;; amdgpu-corpus repo=ggml-org/llama.cpp kind=compiled arch=gfx1201 opt=O3
	.amdgcn_target "amdgcn-amd-amdhsa--gfx1201"
	.amdhsa_code_object_version 6
	.section	.text._ZL15flash_attn_tileILi576ELi512ELi2ELi16ELb0EEvPKcS1_S1_S1_S1_PKiPfP15HIP_vector_typeIfLj2EEffffjfiS5_IjLj3EEiiiiiiiiiiiliiliiiiil,"axG",@progbits,_ZL15flash_attn_tileILi576ELi512ELi2ELi16ELb0EEvPKcS1_S1_S1_S1_PKiPfP15HIP_vector_typeIfLj2EEffffjfiS5_IjLj3EEiiiiiiiiiiiliiliiiiil,comdat
	.globl	_ZL15flash_attn_tileILi576ELi512ELi2ELi16ELb0EEvPKcS1_S1_S1_S1_PKiPfP15HIP_vector_typeIfLj2EEffffjfiS5_IjLj3EEiiiiiiiiiiiliiliiiiil ; -- Begin function _ZL15flash_attn_tileILi576ELi512ELi2ELi16ELb0EEvPKcS1_S1_S1_S1_PKiPfP15HIP_vector_typeIfLj2EEffffjfiS5_IjLj3EEiiiiiiiiiiiliiliiiiil
	.p2align	8
	.type	_ZL15flash_attn_tileILi576ELi512ELi2ELi16ELb0EEvPKcS1_S1_S1_S1_PKiPfP15HIP_vector_typeIfLj2EEffffjfiS5_IjLj3EEiiiiiiiiiiiliiliiiiil,@function
_ZL15flash_attn_tileILi576ELi512ELi2ELi16ELb0EEvPKcS1_S1_S1_S1_PKiPfP15HIP_vector_typeIfLj2EEffffjfiS5_IjLj3EEiiiiiiiiiiiliiliiiiil: ; @_ZL15flash_attn_tileILi576ELi512ELi2ELi16ELb0EEvPKcS1_S1_S1_S1_PKiPfP15HIP_vector_typeIfLj2EEffffjfiS5_IjLj3EEiiiiiiiiiiiliiliiiiil
; %bb.0:
	s_clause 0x1
	s_load_b128 s[20:23], s[0:1], 0x5c
	s_load_b64 s[30:31], s[0:1], 0x80
	s_lshr_b32 s5, ttmp7, 16
	s_mov_b32 s37, 0
	s_mov_b64 s[34:35], 0
	s_wait_kmcnt 0x0
	s_ashr_i32 s2, s23, 31
	s_delay_alu instid0(SALU_CYCLE_1) | instskip(NEXT) | instid1(SALU_CYCLE_1)
	s_lshr_b32 s2, s2, 28
	s_add_co_i32 s2, s23, s2
	s_delay_alu instid0(SALU_CYCLE_1) | instskip(NEXT) | instid1(SALU_CYCLE_1)
	s_ashr_i32 s2, s2, 4
	s_cvt_f32_u32 s3, s2
	s_sub_co_i32 s4, 0, s2
	s_delay_alu instid0(SALU_CYCLE_2) | instskip(NEXT) | instid1(TRANS32_DEP_1)
	v_rcp_iflag_f32_e32 v1, s3
	v_readfirstlane_b32 s3, v1
	s_mul_f32 s3, s3, 0x4f7ffffe
	s_wait_alu 0xfffe
	s_delay_alu instid0(SALU_CYCLE_2) | instskip(SKIP_1) | instid1(SALU_CYCLE_2)
	s_cvt_u32_f32 s3, s3
	s_wait_alu 0xfffe
	s_mul_i32 s4, s4, s3
	s_delay_alu instid0(SALU_CYCLE_1) | instskip(NEXT) | instid1(SALU_CYCLE_1)
	s_mul_hi_u32 s4, s3, s4
	s_add_co_i32 s3, s3, s4
	s_wait_alu 0xfffe
	s_mul_hi_u32 s3, s5, s3
	s_wait_alu 0xfffe
	s_mul_i32 s4, s3, s2
	s_add_co_i32 s6, s3, 1
	s_sub_co_i32 s4, s5, s4
	s_delay_alu instid0(SALU_CYCLE_1)
	s_sub_co_i32 s7, s4, s2
	s_cmp_ge_u32 s4, s2
	s_cselect_b32 s3, s6, s3
	s_cselect_b32 s4, s7, s4
	s_wait_alu 0xfffe
	s_add_co_i32 s6, s3, 1
	s_cmp_ge_u32 s4, s2
	s_cselect_b32 s28, s6, s3
	s_abs_i32 s2, s31
	s_abs_i32 s7, s23
	s_wait_alu 0xfffe
	s_cvt_f32_u32 s3, s2
	s_sub_co_i32 s4, 0, s2
	s_lshl_b32 s5, s5, 4
	s_mul_i32 s6, s28, s23
	s_wait_alu 0xfffe
	v_rcp_iflag_f32_e32 v1, s3
	s_sub_co_i32 s33, s5, s6
	s_delay_alu instid0(TRANS32_DEP_1) | instskip(SKIP_2) | instid1(SALU_CYCLE_2)
	v_readfirstlane_b32 s3, v1
	s_mul_f32 s3, s3, 0x4f7ffffe
	s_wait_alu 0xfffe
	s_cvt_u32_f32 s3, s3
	s_wait_alu 0xfffe
	s_delay_alu instid0(SALU_CYCLE_2) | instskip(NEXT) | instid1(SALU_CYCLE_1)
	s_mul_i32 s4, s4, s3
	s_mul_hi_u32 s4, s3, s4
	s_delay_alu instid0(SALU_CYCLE_1)
	s_add_co_i32 s3, s3, s4
	s_xor_b32 s4, s23, s31
	s_wait_alu 0xfffe
	s_mul_hi_u32 s3, s7, s3
	s_ashr_i32 s24, s4, 31
	s_wait_alu 0xfffe
	s_mul_i32 s5, s3, s2
	s_delay_alu instid0(SALU_CYCLE_1)
	s_sub_co_i32 s4, s7, s5
	s_add_co_i32 s5, s3, 1
	s_sub_co_i32 s6, s4, s2
	s_cmp_ge_u32 s4, s2
	s_cselect_b32 s3, s5, s3
	s_cselect_b32 s4, s6, s4
	s_wait_alu 0xfffe
	s_add_co_i32 s5, s3, 1
	s_cmp_ge_u32 s4, s2
	s_cselect_b32 s2, s5, s3
	s_load_b512 s[4:19], s[0:1], 0x0
	s_xor_b32 s2, s2, s24
	s_wait_alu 0xfffe
	s_sub_co_i32 s29, s2, s24
	s_load_b64 s[2:3], s[0:1], 0xb8
	s_abs_i32 s31, s29
	s_delay_alu instid0(SALU_CYCLE_1) | instskip(NEXT) | instid1(SALU_CYCLE_3)
	s_cvt_f32_u32 s24, s31
	v_rcp_iflag_f32_e32 v1, s24
	s_wait_kmcnt 0x0
	s_cmp_eq_u64 s[10:11], 0
	s_delay_alu instid0(TRANS32_DEP_1)
	v_readfirstlane_b32 s24, v1
	s_cbranch_scc1 .LBB0_2
; %bb.1:
	s_abs_i32 s2, s2
	s_wait_alu 0xfffe
	s_cvt_f32_u32 s25, s2
	s_sub_co_i32 s26, 0, s2
	s_wait_alu 0xfffe
	s_delay_alu instid0(SALU_CYCLE_1) | instskip(NEXT) | instid1(TRANS32_DEP_1)
	v_rcp_iflag_f32_e32 v1, s25
	v_readfirstlane_b32 s25, v1
	s_mul_f32 s25, s25, 0x4f7ffffe
	s_wait_alu 0xfffe
	s_delay_alu instid0(SALU_CYCLE_2) | instskip(SKIP_1) | instid1(SALU_CYCLE_2)
	s_cvt_u32_f32 s25, s25
	s_wait_alu 0xfffe
	s_mul_i32 s26, s26, s25
	s_delay_alu instid0(SALU_CYCLE_1)
	s_mul_hi_u32 s34, s25, s26
	s_load_b64 s[26:27], s[0:1], 0xc8
	s_add_co_i32 s25, s25, s34
	s_wait_alu 0xfffe
	s_mul_hi_u32 s25, s28, s25
	s_wait_alu 0xfffe
	s_mul_i32 s25, s25, s2
	s_wait_alu 0xfffe
	s_sub_co_i32 s25, s28, s25
	s_wait_alu 0xfffe
	s_sub_co_i32 s34, s25, s2
	s_cmp_ge_u32 s25, s2
	s_cselect_b32 s25, s34, s25
	s_wait_alu 0xfffe
	s_sub_co_i32 s34, s25, s2
	s_cmp_ge_u32 s25, s2
	s_cselect_b32 s34, s34, s25
	s_delay_alu instid0(SALU_CYCLE_1) | instskip(SKIP_2) | instid1(SALU_CYCLE_1)
	s_ashr_i32 s35, s34, 31
	s_wait_kmcnt 0x0
	s_mul_u64 s[26:27], s[26:27], s[34:35]
	s_add_nc_u64 s[34:35], s[10:11], s[26:27]
.LBB0_2:
	v_lshrrev_b32_e32 v1, 10, v0
	s_load_b96 s[40:42], s[0:1], 0x70
	v_bfe_u32 v3, v0, 10, 10
	v_and_b32_e32 v17, 0x3ff, v0
	s_delay_alu instid0(VALU_DEP_3) | instskip(NEXT) | instid1(VALU_DEP_3)
	v_bfe_u32 v1, v1, 2, 8
	v_lshlrev_b32_e32 v9, 2, v3
	s_delay_alu instid0(VALU_DEP_3) | instskip(SKIP_1) | instid1(VALU_DEP_4)
	v_lshlrev_b32_e32 v33, 3, v17
	v_mul_u32_u24_e32 v34, 0x1200, v3
	v_lshl_add_u32 v16, ttmp9, 1, v1
	s_delay_alu instid0(VALU_DEP_4) | instskip(NEXT) | instid1(VALU_DEP_2)
	v_and_b32_e32 v31, 12, v9
	v_mul_hi_u32 v1, s20, v16
	s_wait_kmcnt 0x0
	s_mul_i32 s20, s33, s41
	s_ashr_i32 s27, s41, 31
	s_delay_alu instid0(VALU_DEP_1)
	v_add_nc_u32_e32 v1, v16, v1
	s_mov_b32 s26, s41
	s_ashr_i32 s41, s40, 31
	s_mul_i32 s38, s28, s42
	s_lshr_b64 s[10:11], s[40:41], 2
	v_lshrrev_b32_e32 v1, s21, v1
	s_lshr_b32 s2, s41, 2
	s_ashr_i32 s39, s38, 31
	s_wait_alu 0xfffe
	s_ashr_i32 s21, s20, 31
	s_add_nc_u64 s[4:5], s[4:5], s[38:39]
	v_mul_lo_u32 v1, v1, s22
	s_wait_alu 0xfffe
	s_add_nc_u64 s[4:5], s[4:5], s[20:21]
	s_delay_alu instid0(VALU_DEP_1) | instskip(NEXT) | instid1(VALU_DEP_1)
	v_sub_nc_u32_e32 v2, v16, v1
	v_mad_co_u64_u32 v[4:5], null, s10, v2, 0
	s_lshr_b64 s[10:11], s[26:27], 2
	v_mov_b32_e32 v1, v5
	s_delay_alu instid0(VALU_DEP_1) | instskip(SKIP_2) | instid1(VALU_DEP_2)
	v_mad_co_u64_u32 v[5:6], null, s2, v2, v[1:2]
	s_wait_alu 0xfffe
	v_mad_co_u64_u32 v[6:7], null, s10, v31, 0
	v_lshlrev_b64_e32 v[0:1], 2, v[4:5]
	v_lshlrev_b32_e32 v4, 4, v17
	s_delay_alu instid0(VALU_DEP_3) | instskip(NEXT) | instid1(VALU_DEP_3)
	v_mad_i32_i24 v7, s27, v31, v7
	v_add_co_u32 v5, vcc_lo, s4, v0
	s_delay_alu instid0(VALU_DEP_1) | instskip(NEXT) | instid1(VALU_DEP_3)
	v_add_co_ci_u32_e64 v8, null, s5, v1, vcc_lo
	v_lshlrev_b64_e32 v[0:1], 2, v[6:7]
	s_delay_alu instid0(VALU_DEP_3) | instskip(SKIP_1) | instid1(VALU_DEP_3)
	v_add_co_u32 v4, vcc_lo, v5, v4
	s_wait_alu 0xfffd
	v_add_co_ci_u32_e64 v5, null, 0, v8, vcc_lo
	s_load_b32 s4, s[0:1], 0x40
	v_add_co_u32 v0, vcc_lo, v4, v0
	s_wait_alu 0xfffd
	v_add_co_ci_u32_e64 v1, null, v5, v1, vcc_lo
	v_mad_u32_u24 v8, 0x1200, v3, v33
	v_cmp_gt_u32_e32 vcc_lo, 16, v17
	s_clause 0x3
	global_load_b128 v[10:13], v[0:1], off
	global_load_b128 v[18:21], v[0:1], off offset:512
	global_load_b128 v[22:25], v[0:1], off offset:1024
	;; [unrolled: 1-line block ×3, first 2 shown]
	s_wait_loadcnt 0x3
	s_wait_kmcnt 0x0
	v_fma_mixlo_f16 v6, s4, v10, 0
	v_fma_mixlo_f16 v7, s4, v11, 0
	v_fma_mixlo_f16 v10, s4, v12, 0
	v_fma_mixlo_f16 v11, s4, v13, 0
	s_wait_loadcnt 0x2
	v_fma_mixlo_f16 v12, s4, v18, 0
	v_fma_mixlo_f16 v13, s4, v19, 0
	;; [unrolled: 1-line block ×4, first 2 shown]
	s_wait_loadcnt 0x1
	v_fma_mixlo_f16 v18, s4, v22, 0
	v_fma_mixlo_f16 v19, s4, v23, 0
	s_wait_loadcnt 0x0
	v_fma_mixlo_f16 v22, s4, v26, 0
	v_fma_mixlo_f16 v23, s4, v27, 0
	v_lshlrev_b32_e32 v7, 16, v7
	v_and_b32_e32 v6, 0xffff, v6
	v_lshlrev_b32_e32 v11, 16, v11
	v_and_b32_e32 v10, 0xffff, v10
	;; [unrolled: 2-line block ×3, first 2 shown]
	v_fma_mixlo_f16 v20, s4, v24, 0
	v_fma_mixlo_f16 v21, s4, v25, 0
	;; [unrolled: 1-line block ×4, first 2 shown]
	v_lshlrev_b32_e32 v15, 16, v15
	v_and_b32_e32 v14, 0xffff, v14
	v_lshlrev_b32_e32 v19, 16, v19
	v_and_b32_e32 v18, 0xffff, v18
	;; [unrolled: 2-line block ×3, first 2 shown]
	v_or_b32_e32 v6, v7, v6
	v_or3_b32 v7, v11, v10, 0
	v_or_b32_e32 v10, v13, v12
	v_lshlrev_b32_e32 v21, 16, v21
	v_and_b32_e32 v20, 0xffff, v20
	v_lshlrev_b32_e32 v25, 16, v25
	v_and_b32_e32 v24, 0xffff, v24
	v_or3_b32 v11, v15, v14, 0
	v_or_b32_e32 v12, v19, v18
	v_or_b32_e32 v14, v23, v22
	v_or3_b32 v6, 0, 0, v6
	v_or3_b32 v10, 0, 0, v10
	;; [unrolled: 1-line block ×6, first 2 shown]
	ds_store_2addr_b64 v8, v[6:7], v[10:11] offset1:32
	ds_store_2addr_b64 v8, v[12:13], v[14:15] offset0:64 offset1:96
	s_and_saveexec_b32 s2, vcc_lo
	s_cbranch_execz .LBB0_4
; %bb.3:
	global_load_b128 v[10:13], v[0:1], off offset:2048
	s_wait_loadcnt 0x0
	v_fma_mixlo_f16 v0, s4, v11, 0
	v_fma_mixlo_f16 v1, s4, v10, 0
	;; [unrolled: 1-line block ×4, first 2 shown]
	s_delay_alu instid0(VALU_DEP_4) | instskip(NEXT) | instid1(VALU_DEP_4)
	v_lshlrev_b32_e32 v0, 16, v0
	v_and_b32_e32 v1, 0xffff, v1
	s_delay_alu instid0(VALU_DEP_4) | instskip(NEXT) | instid1(VALU_DEP_4)
	v_and_b32_e32 v6, 0xffff, v6
	v_lshlrev_b32_e32 v7, 16, v7
	s_delay_alu instid0(VALU_DEP_3) | instskip(NEXT) | instid1(VALU_DEP_2)
	v_or_b32_e32 v0, v0, v1
	v_or3_b32 v1, v7, v6, 0
	v_add_nc_u32_e32 v6, v33, v34
	s_delay_alu instid0(VALU_DEP_3)
	v_or3_b32 v0, 0, 0, v0
	ds_store_b64 v6, v[0:1] offset:1024
.LBB0_4:
	s_wait_alu 0xfffe
	s_or_b32 exec_lo, exec_lo, s2
	v_or_b32_e32 v8, 1, v9
	s_delay_alu instid0(VALU_DEP_1) | instskip(SKIP_1) | instid1(VALU_DEP_2)
	v_and_b32_e32 v6, 13, v8
	v_mad_u32_u24 v30, 0x480, v8, v33
	v_mad_co_u64_u32 v[0:1], null, s10, v6, 0
	s_delay_alu instid0(VALU_DEP_1) | instskip(NEXT) | instid1(VALU_DEP_1)
	v_mad_co_u64_u32 v[6:7], null, s11, v6, v[1:2]
	v_mov_b32_e32 v1, v6
	v_mul_u32_u24_e32 v6, 0x480, v8
	s_delay_alu instid0(VALU_DEP_2) | instskip(NEXT) | instid1(VALU_DEP_2)
	v_lshlrev_b64_e32 v[0:1], 2, v[0:1]
	v_add_nc_u32_e32 v6, v33, v6
	s_delay_alu instid0(VALU_DEP_2) | instskip(SKIP_1) | instid1(VALU_DEP_3)
	v_add_co_u32 v0, s2, v4, v0
	s_wait_alu 0xf1ff
	v_add_co_ci_u32_e64 v1, null, v5, v1, s2
	s_clause 0x3
	global_load_b128 v[10:13], v[0:1], off
	global_load_b128 v[18:21], v[0:1], off offset:512
	global_load_b128 v[22:25], v[0:1], off offset:1024
	;; [unrolled: 1-line block ×3, first 2 shown]
	s_wait_loadcnt 0x3
	v_fma_mixlo_f16 v7, s4, v10, 0
	v_fma_mixlo_f16 v8, s4, v11, 0
	;; [unrolled: 1-line block ×4, first 2 shown]
	s_wait_loadcnt 0x2
	v_fma_mixlo_f16 v12, s4, v18, 0
	v_fma_mixlo_f16 v13, s4, v19, 0
	;; [unrolled: 1-line block ×4, first 2 shown]
	s_wait_loadcnt 0x1
	v_fma_mixlo_f16 v18, s4, v22, 0
	v_fma_mixlo_f16 v19, s4, v23, 0
	s_wait_loadcnt 0x0
	v_fma_mixlo_f16 v22, s4, v26, 0
	v_fma_mixlo_f16 v23, s4, v27, 0
	v_lshlrev_b32_e32 v8, 16, v8
	v_and_b32_e32 v7, 0xffff, v7
	v_lshlrev_b32_e32 v11, 16, v11
	v_and_b32_e32 v10, 0xffff, v10
	;; [unrolled: 2-line block ×3, first 2 shown]
	v_fma_mixlo_f16 v20, s4, v24, 0
	v_fma_mixlo_f16 v21, s4, v25, 0
	;; [unrolled: 1-line block ×4, first 2 shown]
	v_lshlrev_b32_e32 v15, 16, v15
	v_and_b32_e32 v14, 0xffff, v14
	v_lshlrev_b32_e32 v19, 16, v19
	v_and_b32_e32 v18, 0xffff, v18
	;; [unrolled: 2-line block ×3, first 2 shown]
	v_or_b32_e32 v7, v8, v7
	v_or3_b32 v8, v11, v10, 0
	v_or_b32_e32 v10, v13, v12
	v_lshlrev_b32_e32 v21, 16, v21
	v_and_b32_e32 v20, 0xffff, v20
	v_lshlrev_b32_e32 v25, 16, v25
	v_and_b32_e32 v24, 0xffff, v24
	v_or3_b32 v11, v15, v14, 0
	v_or_b32_e32 v12, v19, v18
	v_or_b32_e32 v14, v23, v22
	v_or3_b32 v7, 0, 0, v7
	v_or3_b32 v10, 0, 0, v10
	;; [unrolled: 1-line block ×6, first 2 shown]
	ds_store_2addr_b64 v30, v[7:8], v[10:11] offset1:32
	ds_store_2addr_b64 v30, v[12:13], v[14:15] offset0:64 offset1:96
	s_and_saveexec_b32 s2, vcc_lo
	s_cbranch_execz .LBB0_6
; %bb.5:
	global_load_b128 v[10:13], v[0:1], off offset:2048
	s_wait_loadcnt 0x0
	v_fma_mixlo_f16 v0, s4, v11, 0
	v_fma_mixlo_f16 v1, s4, v10, 0
	;; [unrolled: 1-line block ×4, first 2 shown]
	s_delay_alu instid0(VALU_DEP_4) | instskip(NEXT) | instid1(VALU_DEP_4)
	v_lshlrev_b32_e32 v0, 16, v0
	v_and_b32_e32 v1, 0xffff, v1
	s_delay_alu instid0(VALU_DEP_4) | instskip(NEXT) | instid1(VALU_DEP_4)
	v_and_b32_e32 v7, 0xffff, v7
	v_lshlrev_b32_e32 v8, 16, v8
	s_delay_alu instid0(VALU_DEP_3) | instskip(NEXT) | instid1(VALU_DEP_2)
	v_or_b32_e32 v0, v0, v1
	v_or3_b32 v1, v8, v7, 0
	s_delay_alu instid0(VALU_DEP_2)
	v_or3_b32 v0, 0, 0, v0
	ds_store_b64 v6, v[0:1] offset:1024
.LBB0_6:
	s_wait_alu 0xfffe
	s_or_b32 exec_lo, exec_lo, s2
	v_or_b32_e32 v0, 2, v9
	s_delay_alu instid0(VALU_DEP_1) | instskip(NEXT) | instid1(VALU_DEP_1)
	v_and_b32_e32 v7, 14, v0
	v_mad_co_u64_u32 v[0:1], null, s10, v7, 0
	s_delay_alu instid0(VALU_DEP_1) | instskip(NEXT) | instid1(VALU_DEP_1)
	v_mad_co_u64_u32 v[7:8], null, s11, v7, v[1:2]
	v_mov_b32_e32 v1, v7
	s_delay_alu instid0(VALU_DEP_1) | instskip(NEXT) | instid1(VALU_DEP_1)
	v_lshlrev_b64_e32 v[0:1], 2, v[0:1]
	v_add_co_u32 v0, s2, v4, v0
	s_wait_alu 0xf1ff
	s_delay_alu instid0(VALU_DEP_2)
	v_add_co_ci_u32_e64 v1, null, v5, v1, s2
	s_clause 0x3
	global_load_b128 v[10:13], v[0:1], off
	global_load_b128 v[18:21], v[0:1], off offset:512
	global_load_b128 v[22:25], v[0:1], off offset:1024
	;; [unrolled: 1-line block ×3, first 2 shown]
	s_wait_loadcnt 0x3
	v_fma_mixlo_f16 v7, s4, v10, 0
	v_fma_mixlo_f16 v8, s4, v11, 0
	;; [unrolled: 1-line block ×4, first 2 shown]
	s_wait_loadcnt 0x2
	v_fma_mixlo_f16 v12, s4, v18, 0
	v_fma_mixlo_f16 v13, s4, v19, 0
	v_fma_mixlo_f16 v14, s4, v20, 0
	v_fma_mixlo_f16 v15, s4, v21, 0
	s_wait_loadcnt 0x1
	v_fma_mixlo_f16 v18, s4, v22, 0
	v_fma_mixlo_f16 v19, s4, v23, 0
	s_wait_loadcnt 0x0
	v_fma_mixlo_f16 v22, s4, v26, 0
	v_fma_mixlo_f16 v23, s4, v27, 0
	v_lshlrev_b32_e32 v8, 16, v8
	v_and_b32_e32 v7, 0xffff, v7
	v_lshlrev_b32_e32 v11, 16, v11
	v_and_b32_e32 v10, 0xffff, v10
	;; [unrolled: 2-line block ×3, first 2 shown]
	v_fma_mixlo_f16 v20, s4, v24, 0
	v_fma_mixlo_f16 v21, s4, v25, 0
	;; [unrolled: 1-line block ×4, first 2 shown]
	v_lshlrev_b32_e32 v15, 16, v15
	v_and_b32_e32 v14, 0xffff, v14
	v_lshlrev_b32_e32 v19, 16, v19
	v_and_b32_e32 v18, 0xffff, v18
	;; [unrolled: 2-line block ×3, first 2 shown]
	v_or_b32_e32 v7, v8, v7
	v_or3_b32 v8, v11, v10, 0
	v_or_b32_e32 v10, v13, v12
	v_lshlrev_b32_e32 v21, 16, v21
	v_and_b32_e32 v20, 0xffff, v20
	v_lshlrev_b32_e32 v25, 16, v25
	v_and_b32_e32 v24, 0xffff, v24
	v_or3_b32 v11, v15, v14, 0
	v_or_b32_e32 v12, v19, v18
	v_or_b32_e32 v14, v23, v22
	v_or3_b32 v7, 0, 0, v7
	v_or3_b32 v10, 0, 0, v10
	;; [unrolled: 1-line block ×6, first 2 shown]
	ds_store_2addr_b64 v6, v[7:8], v[10:11] offset0:144 offset1:176
	ds_store_2addr_b64 v6, v[12:13], v[14:15] offset0:208 offset1:240
	s_and_saveexec_b32 s2, vcc_lo
	s_cbranch_execz .LBB0_8
; %bb.7:
	global_load_b128 v[10:13], v[0:1], off offset:2048
	s_wait_loadcnt 0x0
	v_fma_mixlo_f16 v0, s4, v11, 0
	v_fma_mixlo_f16 v1, s4, v10, 0
	;; [unrolled: 1-line block ×4, first 2 shown]
	s_delay_alu instid0(VALU_DEP_4) | instskip(NEXT) | instid1(VALU_DEP_4)
	v_lshlrev_b32_e32 v0, 16, v0
	v_and_b32_e32 v1, 0xffff, v1
	s_delay_alu instid0(VALU_DEP_4) | instskip(NEXT) | instid1(VALU_DEP_4)
	v_and_b32_e32 v7, 0xffff, v7
	v_lshlrev_b32_e32 v8, 16, v8
	s_delay_alu instid0(VALU_DEP_3) | instskip(NEXT) | instid1(VALU_DEP_2)
	v_or_b32_e32 v0, v0, v1
	v_or3_b32 v1, v8, v7, 0
	s_delay_alu instid0(VALU_DEP_2)
	v_or3_b32 v0, 0, 0, v0
	ds_store_b64 v6, v[0:1] offset:2176
.LBB0_8:
	s_wait_alu 0xfffe
	s_or_b32 exec_lo, exec_lo, s2
	v_or_b32_e32 v0, 3, v9
	v_add_nc_u32_e32 v14, 0x800, v6
	s_delay_alu instid0(VALU_DEP_2) | instskip(NEXT) | instid1(VALU_DEP_1)
	v_and_b32_e32 v7, 15, v0
	v_mad_co_u64_u32 v[0:1], null, s10, v7, 0
	s_delay_alu instid0(VALU_DEP_1) | instskip(NEXT) | instid1(VALU_DEP_1)
	v_mad_co_u64_u32 v[7:8], null, s11, v7, v[1:2]
	v_mov_b32_e32 v1, v7
	s_delay_alu instid0(VALU_DEP_1) | instskip(NEXT) | instid1(VALU_DEP_1)
	v_lshlrev_b64_e32 v[0:1], 2, v[0:1]
	v_add_co_u32 v0, s2, v4, v0
	s_wait_alu 0xf1ff
	s_delay_alu instid0(VALU_DEP_2)
	v_add_co_ci_u32_e64 v1, null, v5, v1, s2
	s_clause 0x3
	global_load_b128 v[10:13], v[0:1], off
	global_load_b128 v[18:21], v[0:1], off offset:512
	global_load_b128 v[22:25], v[0:1], off offset:1024
	;; [unrolled: 1-line block ×3, first 2 shown]
	s_wait_loadcnt 0x3
	v_fma_mixlo_f16 v4, s4, v10, 0
	v_fma_mixlo_f16 v5, s4, v11, 0
	;; [unrolled: 1-line block ×4, first 2 shown]
	s_wait_loadcnt 0x2
	v_fma_mixlo_f16 v10, s4, v18, 0
	v_fma_mixlo_f16 v11, s4, v19, 0
	;; [unrolled: 1-line block ×4, first 2 shown]
	s_wait_loadcnt 0x1
	v_fma_mixlo_f16 v15, s4, v22, 0
	v_fma_mixlo_f16 v18, s4, v23, 0
	s_wait_loadcnt 0x0
	v_fma_mixlo_f16 v21, s4, v26, 0
	v_fma_mixlo_f16 v22, s4, v27, 0
	v_lshlrev_b32_e32 v5, 16, v5
	v_and_b32_e32 v4, 0xffff, v4
	v_lshlrev_b32_e32 v8, 16, v8
	v_and_b32_e32 v7, 0xffff, v7
	;; [unrolled: 2-line block ×3, first 2 shown]
	v_fma_mixlo_f16 v19, s4, v24, 0
	v_fma_mixlo_f16 v20, s4, v25, 0
	;; [unrolled: 1-line block ×4, first 2 shown]
	v_lshlrev_b32_e32 v13, 16, v13
	v_and_b32_e32 v12, 0xffff, v12
	v_lshlrev_b32_e32 v18, 16, v18
	v_and_b32_e32 v15, 0xffff, v15
	;; [unrolled: 2-line block ×3, first 2 shown]
	v_or_b32_e32 v4, v5, v4
	v_or3_b32 v5, v8, v7, 0
	v_or_b32_e32 v7, v11, v10
	v_lshlrev_b32_e32 v20, 16, v20
	v_and_b32_e32 v19, 0xffff, v19
	v_lshlrev_b32_e32 v24, 16, v24
	v_and_b32_e32 v23, 0xffff, v23
	v_or3_b32 v8, v13, v12, 0
	v_or_b32_e32 v10, v18, v15
	v_or_b32_e32 v12, v22, v21
	v_or3_b32 v4, 0, 0, v4
	v_or3_b32 v7, 0, 0, v7
	;; [unrolled: 1-line block ×6, first 2 shown]
	ds_store_2addr_b64 v14, v[4:5], v[7:8] offset0:32 offset1:64
	ds_store_2addr_b64 v14, v[10:11], v[12:13] offset0:96 offset1:128
	s_and_saveexec_b32 s2, vcc_lo
	s_cbranch_execz .LBB0_10
; %bb.9:
	global_load_b128 v[10:13], v[0:1], off offset:2048
	s_wait_loadcnt 0x0
	v_fma_mixlo_f16 v0, s4, v11, 0
	v_fma_mixlo_f16 v1, s4, v10, 0
	;; [unrolled: 1-line block ×4, first 2 shown]
	s_delay_alu instid0(VALU_DEP_4) | instskip(NEXT) | instid1(VALU_DEP_4)
	v_lshlrev_b32_e32 v0, 16, v0
	v_and_b32_e32 v1, 0xffff, v1
	s_delay_alu instid0(VALU_DEP_4) | instskip(NEXT) | instid1(VALU_DEP_4)
	v_and_b32_e32 v4, 0xffff, v4
	v_lshlrev_b32_e32 v5, 16, v5
	s_delay_alu instid0(VALU_DEP_3) | instskip(NEXT) | instid1(VALU_DEP_2)
	v_or_b32_e32 v0, v0, v1
	v_or3_b32 v1, v5, v4, 0
	s_delay_alu instid0(VALU_DEP_2)
	v_or3_b32 v0, 0, 0, v0
	ds_store_b64 v6, v[0:1] offset:3328
.LBB0_10:
	s_wait_alu 0xfffe
	s_or_b32 exec_lo, exec_lo, s2
	s_cmp_eq_u64 s[14:15], 0
	s_wait_dscnt 0x0
	s_barrier_signal -1
	s_barrier_wait -1
	global_inv scope:SCOPE_SE
	s_cbranch_scc1 .LBB0_12
; %bb.11:
	s_load_b32 s2, s[0:1], 0xd0
	s_mov_b32 s5, 0
	s_wait_kmcnt 0x0
	s_mul_i32 s2, s2, s28
	s_wait_alu 0xfffe
	s_add_co_i32 s4, s2, ttmp9
	s_wait_alu 0xfffe
	s_lshl_b64 s[4:5], s[4:5], 2
	s_wait_alu 0xfffe
	s_add_nc_u64 s[4:5], s[14:15], s[4:5]
	s_load_b32 s30, s[4:5], 0x0
.LBB0_12:
	s_and_b32 s2, ttmp7, 0xffff
	v_lshlrev_b32_e32 v32, 2, v17
	v_mbcnt_lo_u32_b32 v35, -1, 0
	s_wait_alu 0xfffe
	s_lshl_b32 s4, s2, 7
	s_wait_kmcnt 0x0
	s_wait_alu 0xfffe
	s_cmp_lt_i32 s4, s30
	s_cbranch_scc1 .LBB0_15
; %bb.13:
	v_mbcnt_lo_u32_b32 v14, -1, 0
	v_mov_b32_e32 v13, 32
	s_delay_alu instid0(VALU_DEP_2)
	v_xor_b32_e32 v4, 16, v14
	v_xor_b32_e32 v5, 8, v14
	v_xor_b32_e32 v6, 4, v14
	v_xor_b32_e32 v7, 2, v14
	v_xor_b32_e32 v8, 1, v14
	s_mov_b32 s11, 0
	s_cbranch_execz .LBB0_16
; %bb.14:
	v_dual_mov_b32 v71, 0 :: v_dual_mov_b32 v2, 0xfeffffff
	v_dual_mov_b32 v9, 0 :: v_dual_mov_b32 v0, 0xfeffffff
	;; [unrolled: 1-line block ×20, first 2 shown]
	s_branch .LBB0_24
.LBB0_15:
                                        ; implicit-def: $vgpr14
                                        ; implicit-def: $vgpr13
                                        ; implicit-def: $vgpr4
                                        ; implicit-def: $vgpr5
                                        ; implicit-def: $vgpr6
                                        ; implicit-def: $vgpr7
                                        ; implicit-def: $vgpr8
	s_mov_b32 s11, 0
.LBB0_16:
	s_mul_f32 s5, s24, 0x4f7ffffe
	s_clause 0x1
	s_load_b128 s[24:27], s[0:1], 0x98
	s_load_b64 s[20:21], s[0:1], 0x8c
	s_sub_co_i32 s10, 0, s31
	s_abs_i32 s36, s33
	s_cvt_u32_f32 s5, s5
	s_mov_b32 s15, s37
	s_ashr_i32 s40, s33, 31
	s_ashr_i32 s41, s29, 31
	s_wait_alu 0xfffe
	s_mul_i32 s10, s10, s5
	s_ashr_i32 s3, s3, 1
	s_wait_alu 0xfffe
	s_mul_hi_u32 s10, s5, s10
	v_lshrrev_b32_e32 v0, 3, v17
	s_wait_alu 0xfffe
	s_add_co_i32 s14, s5, s10
	s_xor_b32 s5, s40, s41
	s_mul_u64 s[14:15], s[36:37], s[14:15]
	s_mov_b32 s29, s11
	s_mul_i32 s10, s15, s31
	s_add_co_i32 s37, s15, 1
	s_wait_alu 0xfffe
	s_sub_co_i32 s10, s36, s10
	v_dual_mov_b32 v84, 0xfeffffff :: v_dual_add_nc_u32 v1, v0, v9
	s_wait_kmcnt 0x0
	s_ashr_i32 s14, s26, 2
	s_ashr_i32 s20, s20, 2
	s_wait_alu 0xfffe
	s_sub_co_i32 s26, s10, s31
	s_cmp_ge_u32 s10, s31
	v_dual_mov_b32 v47, 0 :: v_dual_and_b32 v12, 28, v32
	s_cselect_b32 s15, s37, s15
	s_wait_alu 0xfffe
	s_cselect_b32 s10, s26, s10
	s_add_co_i32 s26, s15, 1
	s_wait_alu 0xfffe
	s_cmp_ge_u32 s10, s31
	s_mul_u64 s[24:25], s[24:25], s[28:29]
	s_cselect_b32 s10, s26, s15
	v_mul_lo_u32 v0, s20, v1
	s_wait_alu 0xfffe
	s_xor_b32 s10, s10, s5
	s_add_nc_u64 s[6:7], s[6:7], s[24:25]
	s_wait_alu 0xfffe
	s_sub_co_i32 s5, s10, s5
	v_dual_mov_b32 v51, 0 :: v_dual_lshlrev_b32 v4, 2, v12
	s_wait_alu 0xfffe
	s_mul_i32 s24, s5, s21
	s_load_b64 s[38:39], s[0:1], 0xa8
	s_ashr_i32 s25, s24, 31
	v_mad_u32_u24 v9, 0x90, v1, v4
	s_wait_alu 0xfffe
	s_add_nc_u64 s[6:7], s[6:7], s[24:25]
	s_mul_i32 s24, s5, s27
	s_lshl_b32 s5, s20, 5
	v_mul_lo_u32 v10, s14, v3
	s_wait_alu 0xfffe
	v_dual_mov_b32 v49, 0 :: v_dual_add_nc_u32 v4, s5, v0
	v_dual_mov_b32 v52, 0 :: v_dual_lshlrev_b32 v11, 10, v3
	v_mad_co_u64_u32 v[18:19], null, v2, s3, v[17:18]
	s_delay_alu instid0(VALU_DEP_3) | instskip(SKIP_2) | instid1(VALU_DEP_3)
	v_dual_mov_b32 v57, 0 :: v_dual_add_nc_u32 v6, s5, v4
	v_lshl_add_u32 v2, s14, 3, v10
	v_dual_mov_b32 v53, 0 :: v_dual_add_nc_u32 v36, 0x9000, v9
	v_dual_mov_b32 v59, 0 :: v_dual_add_nc_u32 v8, s5, v6
	v_ashrrev_i32_e32 v1, 31, v0
	v_dual_mov_b32 v48, 0 :: v_dual_add_nc_u32 v37, 0xa200, v9
	v_ashrrev_i32_e32 v5, 31, v4
	;; [unrolled: 2-line block ×4, first 2 shown]
	v_lshl_add_u32 v13, v32, 2, v11
	v_dual_mov_b32 v54, 0 :: v_dual_add_nc_u32 v41, 0xd800, v11
	v_ashrrev_i32_e32 v11, 31, v10
	v_ashrrev_i32_e32 v3, 31, v2
	s_mov_b32 s10, 0x9000
	s_wait_kmcnt 0x0
	s_mul_u64 s[36:37], s[38:39], s[28:29]
	v_lshlrev_b64_e32 v[19:20], 2, v[0:1]
	v_lshlrev_b64_e32 v[21:22], 2, v[4:5]
	;; [unrolled: 1-line block ×6, first 2 shown]
	s_wait_alu 0xfffe
	v_mad_u32_u24 v40, 0x90, v17, s10
	v_dual_mov_b32 v55, 0 :: v_dual_add_nc_u32 v42, 0x9000, v13
	v_dual_mov_b32 v56, 0 :: v_dual_add_nc_u32 v43, 0x9200, v13
	;; [unrolled: 1-line block ×4, first 2 shown]
	v_dual_mov_b32 v69, 0 :: v_dual_lshlrev_b32 v46, 2, v12
	v_dual_mov_b32 v58, 0 :: v_dual_mov_b32 v67, 0
	v_dual_mov_b32 v62, 0 :: v_dual_mov_b32 v63, 0
	;; [unrolled: 1-line block ×10, first 2 shown]
	v_mov_b32_e32 v86, 0xfeffffff
	v_mov_b32_e32 v82, 0
	;; [unrolled: 1-line block ×3, first 2 shown]
	s_add_nc_u64 s[8:9], s[8:9], s[36:37]
	s_ashr_i32 s25, s24, 31
	s_ashr_i32 s21, s20, 31
	s_wait_alu 0xfffe
	s_add_nc_u64 s[8:9], s[8:9], s[24:25]
	s_ashr_i32 s15, s14, 31
	s_add_nc_u64 s[24:25], s[0:1], 0xd0
.LBB0_17:                               ; =>This Loop Header: Depth=1
                                        ;     Child Loop BB0_19 Depth 2
	s_ashr_i32 s5, s4, 31
	v_dual_mov_b32 v94, 0 :: v_dual_mov_b32 v91, 0
	s_wait_alu 0xfffe
	s_mul_u64 s[26:27], s[4:5], s[20:21]
	v_dual_mov_b32 v89, 0 :: v_dual_mov_b32 v88, 0
	v_dual_mov_b32 v98, 0 :: v_dual_mov_b32 v95, 0
	;; [unrolled: 1-line block ×7, first 2 shown]
	s_wait_alu 0xfffe
	s_lshl_b64 s[26:27], s[26:27], 2
	s_mov_b32 s3, s11
	s_wait_alu 0xfffe
	s_add_nc_u64 s[26:27], s[6:7], s[26:27]
	s_branch .LBB0_19
.LBB0_18:                               ;   in Loop: Header=BB0_19 Depth=2
	s_wait_alu 0xfffe
	s_and_not1_b32 vcc_lo, exec_lo, s10
	s_wait_alu 0xfffe
	s_cbranch_vccz .LBB0_21
.LBB0_19:                               ;   Parent Loop BB0_17 Depth=1
                                        ; =>  This Inner Loop Header: Depth=2
	s_lshr_b32 s10, s3, 1
	v_lshl_add_u32 v79, s3, 1, v34
	s_wait_alu 0xfffe
	s_lshl_b64 s[36:37], s[10:11], 2
	s_add_co_i32 s29, s3, 64
	s_wait_alu 0xfffe
	s_add_nc_u64 s[36:37], s[26:27], s[36:37]
	s_lshr_b32 s10, s29, 1
	s_wait_alu 0xfffe
	v_add_co_u32 v0, vcc_lo, s36, v19
	s_wait_alu 0xfffd
	v_add_co_ci_u32_e64 v1, null, s37, v20, vcc_lo
	v_add_co_u32 v2, vcc_lo, s36, v21
	s_wait_alu 0xfffd
	v_add_co_ci_u32_e64 v3, null, s37, v22, vcc_lo
	;; [unrolled: 3-line block ×8, first 2 shown]
	s_clause 0x3
	global_load_b128 v[0:3], v[0:1], off
	global_load_b128 v[4:7], v[4:5], off
	;; [unrolled: 1-line block ×4, first 2 shown]
	s_lshl_b64 s[36:37], s[10:11], 2
	s_wait_loadcnt 0x3
	ds_store_b128 v36, v[0:3]
	s_wait_loadcnt 0x2
	ds_store_b128 v37, v[4:7]
	;; [unrolled: 2-line block ×4, first 2 shown]
	s_wait_dscnt 0x0
	s_barrier_signal -1
	s_barrier_wait -1
	global_inv scope:SCOPE_SE
	ds_load_b128 v[0:3], v40
	ds_load_b128 v[4:7], v79
	ds_load_b128 v[8:11], v79 offset:1152
	ds_load_b128 v[12:15], v79 offset:2304
	;; [unrolled: 1-line block ×6, first 2 shown]
	s_wait_dscnt 0x6
	;;#ASMSTART
	v_dot2_f32_f16 v94, v0, v4, v94
	;;#ASMEND
	;;#ASMSTART
	v_dot2_f32_f16 v94, v1, v5, v94
	;;#ASMEND
	;;#ASMSTART
	v_dot2_f32_f16 v94, v2, v6, v94
	;;#ASMEND
	;;#ASMSTART
	v_dot2_f32_f16 v94, v3, v7, v94
	;;#ASMEND
	s_wait_dscnt 0x5
	;;#ASMSTART
	v_dot2_f32_f16 v91, v0, v8, v91
	;;#ASMEND
	;;#ASMSTART
	v_dot2_f32_f16 v91, v1, v9, v91
	;;#ASMEND
	;;#ASMSTART
	v_dot2_f32_f16 v91, v2, v10, v91
	;;#ASMEND
	;;#ASMSTART
	v_dot2_f32_f16 v91, v3, v11, v91
	;;#ASMEND
	;; [unrolled: 13-line block ×5, first 2 shown]
	;;#ASMSTART
	v_dot2_f32_f16 v95, v108, v8, v95
	;;#ASMEND
	;;#ASMSTART
	v_dot2_f32_f16 v95, v109, v9, v95
	;;#ASMEND
	;;#ASMSTART
	v_dot2_f32_f16 v95, v110, v10, v95
	;;#ASMEND
	;;#ASMSTART
	v_dot2_f32_f16 v95, v111, v11, v95
	;;#ASMEND
	;;#ASMSTART
	v_dot2_f32_f16 v92, v108, v12, v92
	;;#ASMEND
	;;#ASMSTART
	v_dot2_f32_f16 v92, v109, v13, v92
	;;#ASMEND
	;;#ASMSTART
	v_dot2_f32_f16 v92, v110, v14, v92
	;;#ASMEND
	;;#ASMSTART
	v_dot2_f32_f16 v92, v111, v15, v92
	;;#ASMEND
	;;#ASMSTART
	v_dot2_f32_f16 v90, v108, v104, v90
	;;#ASMEND
	;;#ASMSTART
	v_dot2_f32_f16 v90, v109, v105, v90
	;;#ASMEND
	;;#ASMSTART
	v_dot2_f32_f16 v90, v110, v106, v90
	;;#ASMEND
	;;#ASMSTART
	v_dot2_f32_f16 v90, v111, v107, v90
	;;#ASMEND
	s_wait_dscnt 0x1
	;;#ASMSTART
	v_dot2_f32_f16 v101, v112, v4, v101
	;;#ASMEND
	;;#ASMSTART
	v_dot2_f32_f16 v101, v113, v5, v101
	;;#ASMEND
	;; [unrolled: 3-line block ×16, first 2 shown]
	s_wait_dscnt 0x0
	;;#ASMSTART
	v_dot2_f32_f16 v103, v116, v4, v103
	;;#ASMEND
	;;#ASMSTART
	v_dot2_f32_f16 v103, v117, v5, v103
	;;#ASMEND
	;; [unrolled: 3-line block ×16, first 2 shown]
	ds_load_b128 v[0:3], v40 offset:16
	ds_load_b128 v[4:7], v79 offset:16
	;; [unrolled: 1-line block ×8, first 2 shown]
	s_wait_dscnt 0x6
	;;#ASMSTART
	v_dot2_f32_f16 v94, v0, v4, v94
	;;#ASMEND
	;;#ASMSTART
	v_dot2_f32_f16 v94, v1, v5, v94
	;;#ASMEND
	;;#ASMSTART
	v_dot2_f32_f16 v94, v2, v6, v94
	;;#ASMEND
	;;#ASMSTART
	v_dot2_f32_f16 v94, v3, v7, v94
	;;#ASMEND
	s_wait_dscnt 0x5
	;;#ASMSTART
	v_dot2_f32_f16 v91, v0, v8, v91
	;;#ASMEND
	;;#ASMSTART
	v_dot2_f32_f16 v91, v1, v9, v91
	;;#ASMEND
	;;#ASMSTART
	v_dot2_f32_f16 v91, v2, v10, v91
	;;#ASMEND
	;;#ASMSTART
	v_dot2_f32_f16 v91, v3, v11, v91
	;;#ASMEND
	;; [unrolled: 13-line block ×5, first 2 shown]
	;;#ASMSTART
	v_dot2_f32_f16 v95, v108, v8, v95
	;;#ASMEND
	;;#ASMSTART
	v_dot2_f32_f16 v95, v109, v9, v95
	;;#ASMEND
	;; [unrolled: 3-line block ×12, first 2 shown]
	s_wait_dscnt 0x1
	;;#ASMSTART
	v_dot2_f32_f16 v101, v112, v4, v101
	;;#ASMEND
	;;#ASMSTART
	v_dot2_f32_f16 v101, v113, v5, v101
	;;#ASMEND
	;; [unrolled: 3-line block ×16, first 2 shown]
	s_wait_dscnt 0x0
	;;#ASMSTART
	v_dot2_f32_f16 v103, v116, v4, v103
	;;#ASMEND
	;;#ASMSTART
	v_dot2_f32_f16 v103, v117, v5, v103
	;;#ASMEND
	;; [unrolled: 3-line block ×16, first 2 shown]
	ds_load_b128 v[0:3], v40 offset:32
	ds_load_b128 v[4:7], v79 offset:32
	;; [unrolled: 1-line block ×8, first 2 shown]
	s_wait_dscnt 0x6
	;;#ASMSTART
	v_dot2_f32_f16 v94, v0, v4, v94
	;;#ASMEND
	;;#ASMSTART
	v_dot2_f32_f16 v94, v1, v5, v94
	;;#ASMEND
	;;#ASMSTART
	v_dot2_f32_f16 v94, v2, v6, v94
	;;#ASMEND
	;;#ASMSTART
	v_dot2_f32_f16 v94, v3, v7, v94
	;;#ASMEND
	s_wait_dscnt 0x5
	;;#ASMSTART
	v_dot2_f32_f16 v91, v0, v8, v91
	;;#ASMEND
	;;#ASMSTART
	v_dot2_f32_f16 v91, v1, v9, v91
	;;#ASMEND
	;;#ASMSTART
	v_dot2_f32_f16 v91, v2, v10, v91
	;;#ASMEND
	;;#ASMSTART
	v_dot2_f32_f16 v91, v3, v11, v91
	;;#ASMEND
	;; [unrolled: 13-line block ×5, first 2 shown]
	;;#ASMSTART
	v_dot2_f32_f16 v95, v108, v8, v95
	;;#ASMEND
	;;#ASMSTART
	v_dot2_f32_f16 v95, v109, v9, v95
	;;#ASMEND
	;; [unrolled: 3-line block ×12, first 2 shown]
	s_wait_dscnt 0x1
	;;#ASMSTART
	v_dot2_f32_f16 v101, v112, v4, v101
	;;#ASMEND
	;;#ASMSTART
	v_dot2_f32_f16 v101, v113, v5, v101
	;;#ASMEND
	;;#ASMSTART
	v_dot2_f32_f16 v101, v114, v6, v101
	;;#ASMEND
	;;#ASMSTART
	v_dot2_f32_f16 v101, v115, v7, v101
	;;#ASMEND
	;;#ASMSTART
	v_dot2_f32_f16 v99, v112, v8, v99
	;;#ASMEND
	;;#ASMSTART
	v_dot2_f32_f16 v99, v113, v9, v99
	;;#ASMEND
	;;#ASMSTART
	v_dot2_f32_f16 v99, v114, v10, v99
	;;#ASMEND
	;;#ASMSTART
	v_dot2_f32_f16 v99, v115, v11, v99
	;;#ASMEND
	;;#ASMSTART
	v_dot2_f32_f16 v96, v112, v12, v96
	;;#ASMEND
	;;#ASMSTART
	v_dot2_f32_f16 v96, v113, v13, v96
	;;#ASMEND
	;;#ASMSTART
	v_dot2_f32_f16 v96, v114, v14, v96
	;;#ASMEND
	;;#ASMSTART
	v_dot2_f32_f16 v96, v115, v15, v96
	;;#ASMEND
	;;#ASMSTART
	v_dot2_f32_f16 v93, v112, v104, v93
	;;#ASMEND
	;;#ASMSTART
	v_dot2_f32_f16 v93, v113, v105, v93
	;;#ASMEND
	;;#ASMSTART
	v_dot2_f32_f16 v93, v114, v106, v93
	;;#ASMEND
	;;#ASMSTART
	v_dot2_f32_f16 v93, v115, v107, v93
	;;#ASMEND
	s_wait_dscnt 0x0
	;;#ASMSTART
	v_dot2_f32_f16 v103, v116, v4, v103
	;;#ASMEND
	;;#ASMSTART
	v_dot2_f32_f16 v103, v117, v5, v103
	;;#ASMEND
	;; [unrolled: 3-line block ×16, first 2 shown]
	ds_load_b128 v[0:3], v40 offset:48
	ds_load_b128 v[4:7], v79 offset:48
	;; [unrolled: 1-line block ×8, first 2 shown]
	s_wait_dscnt 0x6
	;;#ASMSTART
	v_dot2_f32_f16 v94, v0, v4, v94
	;;#ASMEND
	;;#ASMSTART
	v_dot2_f32_f16 v94, v1, v5, v94
	;;#ASMEND
	;;#ASMSTART
	v_dot2_f32_f16 v94, v2, v6, v94
	;;#ASMEND
	;;#ASMSTART
	v_dot2_f32_f16 v94, v3, v7, v94
	;;#ASMEND
	s_wait_dscnt 0x5
	;;#ASMSTART
	v_dot2_f32_f16 v91, v0, v8, v91
	;;#ASMEND
	;;#ASMSTART
	v_dot2_f32_f16 v91, v1, v9, v91
	;;#ASMEND
	;;#ASMSTART
	v_dot2_f32_f16 v91, v2, v10, v91
	;;#ASMEND
	;;#ASMSTART
	v_dot2_f32_f16 v91, v3, v11, v91
	;;#ASMEND
	;; [unrolled: 13-line block ×5, first 2 shown]
	;;#ASMSTART
	v_dot2_f32_f16 v95, v108, v8, v95
	;;#ASMEND
	;;#ASMSTART
	v_dot2_f32_f16 v95, v109, v9, v95
	;;#ASMEND
	;; [unrolled: 3-line block ×12, first 2 shown]
	s_wait_dscnt 0x1
	;;#ASMSTART
	v_dot2_f32_f16 v101, v112, v4, v101
	;;#ASMEND
	;;#ASMSTART
	v_dot2_f32_f16 v101, v113, v5, v101
	;;#ASMEND
	;; [unrolled: 3-line block ×16, first 2 shown]
	s_wait_dscnt 0x0
	;;#ASMSTART
	v_dot2_f32_f16 v103, v116, v4, v103
	;;#ASMEND
	;;#ASMSTART
	v_dot2_f32_f16 v103, v117, v5, v103
	;;#ASMEND
	;; [unrolled: 3-line block ×16, first 2 shown]
	ds_load_b128 v[0:3], v40 offset:64
	ds_load_b128 v[4:7], v79 offset:64
	;; [unrolled: 1-line block ×8, first 2 shown]
	s_wait_dscnt 0x6
	;;#ASMSTART
	v_dot2_f32_f16 v94, v0, v4, v94
	;;#ASMEND
	;;#ASMSTART
	v_dot2_f32_f16 v94, v1, v5, v94
	;;#ASMEND
	;;#ASMSTART
	v_dot2_f32_f16 v94, v2, v6, v94
	;;#ASMEND
	;;#ASMSTART
	v_dot2_f32_f16 v94, v3, v7, v94
	;;#ASMEND
	s_wait_dscnt 0x5
	;;#ASMSTART
	v_dot2_f32_f16 v91, v0, v8, v91
	;;#ASMEND
	;;#ASMSTART
	v_dot2_f32_f16 v91, v1, v9, v91
	;;#ASMEND
	;;#ASMSTART
	v_dot2_f32_f16 v91, v2, v10, v91
	;;#ASMEND
	;;#ASMSTART
	v_dot2_f32_f16 v91, v3, v11, v91
	;;#ASMEND
	;; [unrolled: 13-line block ×5, first 2 shown]
	;;#ASMSTART
	v_dot2_f32_f16 v95, v108, v8, v95
	;;#ASMEND
	;;#ASMSTART
	v_dot2_f32_f16 v95, v109, v9, v95
	;;#ASMEND
	;;#ASMSTART
	v_dot2_f32_f16 v95, v110, v10, v95
	;;#ASMEND
	;;#ASMSTART
	v_dot2_f32_f16 v95, v111, v11, v95
	;;#ASMEND
	;;#ASMSTART
	v_dot2_f32_f16 v92, v108, v12, v92
	;;#ASMEND
	;;#ASMSTART
	v_dot2_f32_f16 v92, v109, v13, v92
	;;#ASMEND
	;;#ASMSTART
	v_dot2_f32_f16 v92, v110, v14, v92
	;;#ASMEND
	;;#ASMSTART
	v_dot2_f32_f16 v92, v111, v15, v92
	;;#ASMEND
	;;#ASMSTART
	v_dot2_f32_f16 v90, v108, v104, v90
	;;#ASMEND
	;;#ASMSTART
	v_dot2_f32_f16 v90, v109, v105, v90
	;;#ASMEND
	;;#ASMSTART
	v_dot2_f32_f16 v90, v110, v106, v90
	;;#ASMEND
	;;#ASMSTART
	v_dot2_f32_f16 v90, v111, v107, v90
	;;#ASMEND
	s_wait_dscnt 0x1
	;;#ASMSTART
	v_dot2_f32_f16 v101, v112, v4, v101
	;;#ASMEND
	;;#ASMSTART
	v_dot2_f32_f16 v101, v113, v5, v101
	;;#ASMEND
	;; [unrolled: 3-line block ×16, first 2 shown]
	s_wait_dscnt 0x0
	;;#ASMSTART
	v_dot2_f32_f16 v103, v116, v4, v103
	;;#ASMEND
	;;#ASMSTART
	v_dot2_f32_f16 v103, v117, v5, v103
	;;#ASMEND
	;; [unrolled: 3-line block ×16, first 2 shown]
	ds_load_b128 v[12:15], v40 offset:80
	ds_load_b128 v[0:3], v79 offset:80
	;; [unrolled: 1-line block ×8, first 2 shown]
	s_wait_dscnt 0x6
	;;#ASMSTART
	v_dot2_f32_f16 v94, v12, v0, v94
	;;#ASMEND
	;;#ASMSTART
	v_dot2_f32_f16 v94, v13, v1, v94
	;;#ASMEND
	;;#ASMSTART
	v_dot2_f32_f16 v94, v14, v2, v94
	;;#ASMEND
	;;#ASMSTART
	v_dot2_f32_f16 v94, v15, v3, v94
	;;#ASMEND
	s_wait_dscnt 0x5
	;;#ASMSTART
	v_dot2_f32_f16 v91, v12, v4, v91
	;;#ASMEND
	;;#ASMSTART
	v_dot2_f32_f16 v91, v13, v5, v91
	;;#ASMEND
	;;#ASMSTART
	v_dot2_f32_f16 v91, v14, v6, v91
	;;#ASMEND
	;;#ASMSTART
	v_dot2_f32_f16 v91, v15, v7, v91
	;;#ASMEND
	;; [unrolled: 13-line block ×5, first 2 shown]
	;;#ASMSTART
	v_dot2_f32_f16 v95, v108, v4, v95
	;;#ASMEND
	;;#ASMSTART
	v_dot2_f32_f16 v95, v109, v5, v95
	;;#ASMEND
	;; [unrolled: 3-line block ×12, first 2 shown]
	s_wait_dscnt 0x1
	;;#ASMSTART
	v_dot2_f32_f16 v101, v112, v0, v101
	;;#ASMEND
	;;#ASMSTART
	v_dot2_f32_f16 v101, v113, v1, v101
	;;#ASMEND
	;; [unrolled: 3-line block ×16, first 2 shown]
	s_wait_dscnt 0x0
	;;#ASMSTART
	v_dot2_f32_f16 v103, v116, v0, v103
	;;#ASMEND
	;;#ASMSTART
	v_dot2_f32_f16 v103, v117, v1, v103
	;;#ASMEND
	;; [unrolled: 3-line block ×16, first 2 shown]
	ds_load_b128 v[0:3], v40 offset:96
	ds_load_b128 v[4:7], v79 offset:96
	;; [unrolled: 1-line block ×8, first 2 shown]
	s_wait_dscnt 0x6
	;;#ASMSTART
	v_dot2_f32_f16 v94, v0, v4, v94
	;;#ASMEND
	;;#ASMSTART
	v_dot2_f32_f16 v94, v1, v5, v94
	;;#ASMEND
	;;#ASMSTART
	v_dot2_f32_f16 v94, v2, v6, v94
	;;#ASMEND
	;;#ASMSTART
	v_dot2_f32_f16 v94, v3, v7, v94
	;;#ASMEND
	s_wait_dscnt 0x5
	;;#ASMSTART
	v_dot2_f32_f16 v91, v0, v8, v91
	;;#ASMEND
	;;#ASMSTART
	v_dot2_f32_f16 v91, v1, v9, v91
	;;#ASMEND
	;;#ASMSTART
	v_dot2_f32_f16 v91, v2, v10, v91
	;;#ASMEND
	;;#ASMSTART
	v_dot2_f32_f16 v91, v3, v11, v91
	;;#ASMEND
	;; [unrolled: 13-line block ×5, first 2 shown]
	;;#ASMSTART
	v_dot2_f32_f16 v95, v108, v8, v95
	;;#ASMEND
	;;#ASMSTART
	v_dot2_f32_f16 v95, v109, v9, v95
	;;#ASMEND
	;; [unrolled: 3-line block ×12, first 2 shown]
	s_wait_dscnt 0x1
	;;#ASMSTART
	v_dot2_f32_f16 v101, v112, v4, v101
	;;#ASMEND
	;;#ASMSTART
	v_dot2_f32_f16 v101, v113, v5, v101
	;;#ASMEND
	;; [unrolled: 3-line block ×16, first 2 shown]
	s_wait_dscnt 0x0
	;;#ASMSTART
	v_dot2_f32_f16 v103, v116, v4, v103
	;;#ASMEND
	;;#ASMSTART
	v_dot2_f32_f16 v103, v117, v5, v103
	;;#ASMEND
	;; [unrolled: 3-line block ×16, first 2 shown]
	ds_load_b128 v[0:3], v40 offset:112
	ds_load_b128 v[4:7], v79 offset:112
	;; [unrolled: 1-line block ×8, first 2 shown]
	s_wait_dscnt 0x6
	;;#ASMSTART
	v_dot2_f32_f16 v94, v0, v4, v94
	;;#ASMEND
	;;#ASMSTART
	v_dot2_f32_f16 v94, v1, v5, v94
	;;#ASMEND
	;;#ASMSTART
	v_dot2_f32_f16 v94, v2, v6, v94
	;;#ASMEND
	;;#ASMSTART
	v_dot2_f32_f16 v94, v3, v7, v94
	;;#ASMEND
	s_wait_dscnt 0x5
	;;#ASMSTART
	v_dot2_f32_f16 v91, v0, v8, v91
	;;#ASMEND
	;;#ASMSTART
	v_dot2_f32_f16 v91, v1, v9, v91
	;;#ASMEND
	;;#ASMSTART
	v_dot2_f32_f16 v91, v2, v10, v91
	;;#ASMEND
	;;#ASMSTART
	v_dot2_f32_f16 v91, v3, v11, v91
	;;#ASMEND
	;; [unrolled: 13-line block ×5, first 2 shown]
	;;#ASMSTART
	v_dot2_f32_f16 v95, v108, v8, v95
	;;#ASMEND
	;;#ASMSTART
	v_dot2_f32_f16 v95, v109, v9, v95
	;;#ASMEND
	;; [unrolled: 3-line block ×12, first 2 shown]
	s_wait_dscnt 0x1
	;;#ASMSTART
	v_dot2_f32_f16 v101, v112, v4, v101
	;;#ASMEND
	;;#ASMSTART
	v_dot2_f32_f16 v101, v113, v5, v101
	;;#ASMEND
	;; [unrolled: 3-line block ×5, first 2 shown]
	s_wait_alu 0xfffe
	s_add_nc_u64 s[36:37], s[26:27], s[36:37]
	;;#ASMSTART
	v_dot2_f32_f16 v99, v113, v9, v99
	;;#ASMEND
	;;#ASMSTART
	v_dot2_f32_f16 v99, v114, v10, v99
	;;#ASMEND
	s_wait_alu 0xfffe
	v_add_co_u32 v120, vcc_lo, s36, v19
	;;#ASMSTART
	v_dot2_f32_f16 v99, v115, v11, v99
	;;#ASMEND
	;;#ASMSTART
	v_dot2_f32_f16 v96, v112, v12, v96
	;;#ASMEND
	;; [unrolled: 3-line block ×3, first 2 shown]
	s_wait_alu 0xfffd
	v_add_co_ci_u32_e64 v121, null, s37, v20, vcc_lo
	v_add_co_u32 v122, vcc_lo, s36, v21
	;;#ASMSTART
	v_dot2_f32_f16 v96, v114, v14, v96
	;;#ASMEND
	;;#ASMSTART
	v_dot2_f32_f16 v96, v115, v15, v96
	;;#ASMEND
	;; [unrolled: 3-line block ×3, first 2 shown]
	s_wait_alu 0xfffd
	v_add_co_ci_u32_e64 v123, null, s37, v22, vcc_lo
	v_add_co_u32 v124, vcc_lo, s36, v23
	;;#ASMSTART
	v_dot2_f32_f16 v93, v113, v105, v93
	;;#ASMEND
	;;#ASMSTART
	v_dot2_f32_f16 v93, v114, v106, v93
	;;#ASMEND
	s_wait_alu 0xfffd
	v_add_co_ci_u32_e64 v125, null, s37, v24, vcc_lo
	v_add_co_u32 v126, vcc_lo, s36, v25
	;;#ASMSTART
	v_dot2_f32_f16 v93, v115, v107, v93
	;;#ASMEND
	s_wait_dscnt 0x0
	;;#ASMSTART
	v_dot2_f32_f16 v103, v116, v4, v103
	;;#ASMEND
	;;#ASMSTART
	v_dot2_f32_f16 v103, v117, v5, v103
	;;#ASMEND
	s_wait_alu 0xfffd
	v_add_co_ci_u32_e64 v127, null, s37, v26, vcc_lo
	v_add_co_u32 v120, vcc_lo, v120, v46
	;;#ASMSTART
	v_dot2_f32_f16 v103, v118, v6, v103
	;;#ASMEND
	;;#ASMSTART
	v_dot2_f32_f16 v103, v119, v7, v103
	;;#ASMEND
	;; [unrolled: 3-line block ×3, first 2 shown]
	s_wait_alu 0xfffd
	v_add_co_ci_u32_e64 v121, null, 0, v121, vcc_lo
	v_add_co_u32 v122, vcc_lo, v122, v46
	;;#ASMSTART
	v_dot2_f32_f16 v102, v117, v9, v102
	;;#ASMEND
	;;#ASMSTART
	v_dot2_f32_f16 v102, v118, v10, v102
	;;#ASMEND
	s_wait_alu 0xfffd
	v_add_co_ci_u32_e64 v123, null, 0, v123, vcc_lo
	v_add_co_u32 v124, vcc_lo, v124, v46
	;;#ASMSTART
	v_dot2_f32_f16 v102, v119, v11, v102
	;;#ASMEND
	;;#ASMSTART
	v_dot2_f32_f16 v100, v116, v12, v100
	;;#ASMEND
	;; [unrolled: 3-line block ×3, first 2 shown]
	s_wait_alu 0xfffd
	v_add_co_ci_u32_e64 v125, null, 0, v125, vcc_lo
	v_add_co_u32 v126, vcc_lo, v126, v46
	;;#ASMSTART
	v_dot2_f32_f16 v100, v118, v14, v100
	;;#ASMEND
	;;#ASMSTART
	v_dot2_f32_f16 v100, v119, v15, v100
	;;#ASMEND
	;; [unrolled: 3-line block ×3, first 2 shown]
	s_wait_alu 0xfffd
	v_add_co_ci_u32_e64 v127, null, 0, v127, vcc_lo
	;;#ASMSTART
	v_dot2_f32_f16 v97, v117, v105, v97
	;;#ASMEND
	;;#ASMSTART
	v_dot2_f32_f16 v97, v118, v106, v97
	;;#ASMEND
	;; [unrolled: 3-line block ×3, first 2 shown]
	s_wait_loadcnt 0x0
	s_barrier_signal -1
	s_barrier_wait -1
	global_inv scope:SCOPE_SE
	s_clause 0x3
	global_load_b128 v[0:3], v[120:121], off
	global_load_b128 v[4:7], v[122:123], off
	;; [unrolled: 1-line block ×4, first 2 shown]
	v_lshl_add_u32 v79, s29, 1, v34
	s_add_co_i32 s29, s3, 0x80
	s_wait_loadcnt 0x3
	ds_store_b128 v36, v[0:3]
	s_wait_loadcnt 0x2
	ds_store_b128 v37, v[4:7]
	;; [unrolled: 2-line block ×4, first 2 shown]
	s_wait_dscnt 0x0
	s_barrier_signal -1
	s_barrier_wait -1
	global_inv scope:SCOPE_SE
	ds_load_b128 v[0:3], v40
	ds_load_b128 v[4:7], v79
	ds_load_b128 v[8:11], v79 offset:1152
	ds_load_b128 v[12:15], v79 offset:2304
	;; [unrolled: 1-line block ×6, first 2 shown]
	s_wait_dscnt 0x6
	;;#ASMSTART
	v_dot2_f32_f16 v94, v0, v4, v94
	;;#ASMEND
	;;#ASMSTART
	v_dot2_f32_f16 v94, v1, v5, v94
	;;#ASMEND
	;;#ASMSTART
	v_dot2_f32_f16 v94, v2, v6, v94
	;;#ASMEND
	;;#ASMSTART
	v_dot2_f32_f16 v94, v3, v7, v94
	;;#ASMEND
	s_wait_dscnt 0x5
	;;#ASMSTART
	v_dot2_f32_f16 v91, v0, v8, v91
	;;#ASMEND
	;;#ASMSTART
	v_dot2_f32_f16 v91, v1, v9, v91
	;;#ASMEND
	;;#ASMSTART
	v_dot2_f32_f16 v91, v2, v10, v91
	;;#ASMEND
	;;#ASMSTART
	v_dot2_f32_f16 v91, v3, v11, v91
	;;#ASMEND
	;; [unrolled: 13-line block ×5, first 2 shown]
	;;#ASMSTART
	v_dot2_f32_f16 v95, v108, v8, v95
	;;#ASMEND
	;;#ASMSTART
	v_dot2_f32_f16 v95, v109, v9, v95
	;;#ASMEND
	;; [unrolled: 3-line block ×12, first 2 shown]
	s_wait_dscnt 0x1
	;;#ASMSTART
	v_dot2_f32_f16 v101, v112, v4, v101
	;;#ASMEND
	;;#ASMSTART
	v_dot2_f32_f16 v101, v113, v5, v101
	;;#ASMEND
	;; [unrolled: 3-line block ×16, first 2 shown]
	s_wait_dscnt 0x0
	;;#ASMSTART
	v_dot2_f32_f16 v103, v116, v4, v103
	;;#ASMEND
	;;#ASMSTART
	v_dot2_f32_f16 v103, v117, v5, v103
	;;#ASMEND
	;; [unrolled: 3-line block ×16, first 2 shown]
	ds_load_b128 v[0:3], v40 offset:16
	ds_load_b128 v[4:7], v79 offset:16
	;; [unrolled: 1-line block ×8, first 2 shown]
	s_wait_dscnt 0x6
	;;#ASMSTART
	v_dot2_f32_f16 v94, v0, v4, v94
	;;#ASMEND
	;;#ASMSTART
	v_dot2_f32_f16 v94, v1, v5, v94
	;;#ASMEND
	;;#ASMSTART
	v_dot2_f32_f16 v94, v2, v6, v94
	;;#ASMEND
	;;#ASMSTART
	v_dot2_f32_f16 v94, v3, v7, v94
	;;#ASMEND
	s_wait_dscnt 0x5
	;;#ASMSTART
	v_dot2_f32_f16 v91, v0, v8, v91
	;;#ASMEND
	;;#ASMSTART
	v_dot2_f32_f16 v91, v1, v9, v91
	;;#ASMEND
	;;#ASMSTART
	v_dot2_f32_f16 v91, v2, v10, v91
	;;#ASMEND
	;;#ASMSTART
	v_dot2_f32_f16 v91, v3, v11, v91
	;;#ASMEND
	;; [unrolled: 13-line block ×5, first 2 shown]
	;;#ASMSTART
	v_dot2_f32_f16 v95, v108, v8, v95
	;;#ASMEND
	;;#ASMSTART
	v_dot2_f32_f16 v95, v109, v9, v95
	;;#ASMEND
	;; [unrolled: 3-line block ×12, first 2 shown]
	s_wait_dscnt 0x1
	;;#ASMSTART
	v_dot2_f32_f16 v101, v112, v4, v101
	;;#ASMEND
	;;#ASMSTART
	v_dot2_f32_f16 v101, v113, v5, v101
	;;#ASMEND
	;; [unrolled: 3-line block ×16, first 2 shown]
	s_wait_dscnt 0x0
	;;#ASMSTART
	v_dot2_f32_f16 v103, v116, v4, v103
	;;#ASMEND
	;;#ASMSTART
	v_dot2_f32_f16 v103, v117, v5, v103
	;;#ASMEND
	;; [unrolled: 3-line block ×16, first 2 shown]
	ds_load_b128 v[0:3], v40 offset:32
	ds_load_b128 v[4:7], v79 offset:32
	;; [unrolled: 1-line block ×8, first 2 shown]
	s_wait_dscnt 0x6
	;;#ASMSTART
	v_dot2_f32_f16 v94, v0, v4, v94
	;;#ASMEND
	;;#ASMSTART
	v_dot2_f32_f16 v94, v1, v5, v94
	;;#ASMEND
	;;#ASMSTART
	v_dot2_f32_f16 v94, v2, v6, v94
	;;#ASMEND
	;;#ASMSTART
	v_dot2_f32_f16 v94, v3, v7, v94
	;;#ASMEND
	s_wait_dscnt 0x5
	;;#ASMSTART
	v_dot2_f32_f16 v91, v0, v8, v91
	;;#ASMEND
	;;#ASMSTART
	v_dot2_f32_f16 v91, v1, v9, v91
	;;#ASMEND
	;;#ASMSTART
	v_dot2_f32_f16 v91, v2, v10, v91
	;;#ASMEND
	;;#ASMSTART
	v_dot2_f32_f16 v91, v3, v11, v91
	;;#ASMEND
	;; [unrolled: 13-line block ×5, first 2 shown]
	;;#ASMSTART
	v_dot2_f32_f16 v95, v108, v8, v95
	;;#ASMEND
	;;#ASMSTART
	v_dot2_f32_f16 v95, v109, v9, v95
	;;#ASMEND
	;; [unrolled: 3-line block ×12, first 2 shown]
	s_wait_dscnt 0x1
	;;#ASMSTART
	v_dot2_f32_f16 v101, v112, v4, v101
	;;#ASMEND
	;;#ASMSTART
	v_dot2_f32_f16 v101, v113, v5, v101
	;;#ASMEND
	;; [unrolled: 3-line block ×16, first 2 shown]
	s_wait_dscnt 0x0
	;;#ASMSTART
	v_dot2_f32_f16 v103, v116, v4, v103
	;;#ASMEND
	;;#ASMSTART
	v_dot2_f32_f16 v103, v117, v5, v103
	;;#ASMEND
	;; [unrolled: 3-line block ×16, first 2 shown]
	ds_load_b128 v[0:3], v40 offset:48
	ds_load_b128 v[4:7], v79 offset:48
	;; [unrolled: 1-line block ×8, first 2 shown]
	s_wait_dscnt 0x6
	;;#ASMSTART
	v_dot2_f32_f16 v94, v0, v4, v94
	;;#ASMEND
	;;#ASMSTART
	v_dot2_f32_f16 v94, v1, v5, v94
	;;#ASMEND
	;;#ASMSTART
	v_dot2_f32_f16 v94, v2, v6, v94
	;;#ASMEND
	;;#ASMSTART
	v_dot2_f32_f16 v94, v3, v7, v94
	;;#ASMEND
	s_wait_dscnt 0x5
	;;#ASMSTART
	v_dot2_f32_f16 v91, v0, v8, v91
	;;#ASMEND
	;;#ASMSTART
	v_dot2_f32_f16 v91, v1, v9, v91
	;;#ASMEND
	;;#ASMSTART
	v_dot2_f32_f16 v91, v2, v10, v91
	;;#ASMEND
	;;#ASMSTART
	v_dot2_f32_f16 v91, v3, v11, v91
	;;#ASMEND
	;; [unrolled: 13-line block ×5, first 2 shown]
	;;#ASMSTART
	v_dot2_f32_f16 v95, v108, v8, v95
	;;#ASMEND
	;;#ASMSTART
	v_dot2_f32_f16 v95, v109, v9, v95
	;;#ASMEND
	;; [unrolled: 3-line block ×12, first 2 shown]
	s_wait_dscnt 0x1
	;;#ASMSTART
	v_dot2_f32_f16 v101, v112, v4, v101
	;;#ASMEND
	;;#ASMSTART
	v_dot2_f32_f16 v101, v113, v5, v101
	;;#ASMEND
	;; [unrolled: 3-line block ×16, first 2 shown]
	s_wait_dscnt 0x0
	;;#ASMSTART
	v_dot2_f32_f16 v103, v116, v4, v103
	;;#ASMEND
	;;#ASMSTART
	v_dot2_f32_f16 v103, v117, v5, v103
	;;#ASMEND
	;; [unrolled: 3-line block ×16, first 2 shown]
	ds_load_b128 v[0:3], v40 offset:64
	ds_load_b128 v[4:7], v79 offset:64
	;; [unrolled: 1-line block ×8, first 2 shown]
	s_wait_dscnt 0x6
	;;#ASMSTART
	v_dot2_f32_f16 v94, v0, v4, v94
	;;#ASMEND
	;;#ASMSTART
	v_dot2_f32_f16 v94, v1, v5, v94
	;;#ASMEND
	;;#ASMSTART
	v_dot2_f32_f16 v94, v2, v6, v94
	;;#ASMEND
	;;#ASMSTART
	v_dot2_f32_f16 v94, v3, v7, v94
	;;#ASMEND
	s_wait_dscnt 0x5
	;;#ASMSTART
	v_dot2_f32_f16 v91, v0, v8, v91
	;;#ASMEND
	;;#ASMSTART
	v_dot2_f32_f16 v91, v1, v9, v91
	;;#ASMEND
	;;#ASMSTART
	v_dot2_f32_f16 v91, v2, v10, v91
	;;#ASMEND
	;;#ASMSTART
	v_dot2_f32_f16 v91, v3, v11, v91
	;;#ASMEND
	;; [unrolled: 13-line block ×5, first 2 shown]
	;;#ASMSTART
	v_dot2_f32_f16 v95, v108, v8, v95
	;;#ASMEND
	;;#ASMSTART
	v_dot2_f32_f16 v95, v109, v9, v95
	;;#ASMEND
	;; [unrolled: 3-line block ×12, first 2 shown]
	s_wait_dscnt 0x1
	;;#ASMSTART
	v_dot2_f32_f16 v101, v112, v4, v101
	;;#ASMEND
	;;#ASMSTART
	v_dot2_f32_f16 v101, v113, v5, v101
	;;#ASMEND
	;; [unrolled: 3-line block ×16, first 2 shown]
	s_wait_dscnt 0x0
	;;#ASMSTART
	v_dot2_f32_f16 v103, v116, v4, v103
	;;#ASMEND
	;;#ASMSTART
	v_dot2_f32_f16 v103, v117, v5, v103
	;;#ASMEND
	;; [unrolled: 3-line block ×16, first 2 shown]
	ds_load_b128 v[12:15], v40 offset:80
	ds_load_b128 v[0:3], v79 offset:80
	ds_load_b128 v[4:7], v79 offset:1232
	ds_load_b128 v[8:11], v79 offset:2384
	ds_load_b128 v[104:107], v79 offset:3536
	ds_load_b128 v[108:111], v40 offset:4688
	ds_load_b128 v[112:115], v40 offset:9296
	ds_load_b128 v[116:119], v40 offset:13904
	s_wait_dscnt 0x6
	;;#ASMSTART
	v_dot2_f32_f16 v94, v12, v0, v94
	;;#ASMEND
	;;#ASMSTART
	v_dot2_f32_f16 v94, v13, v1, v94
	;;#ASMEND
	;;#ASMSTART
	v_dot2_f32_f16 v94, v14, v2, v94
	;;#ASMEND
	;;#ASMSTART
	v_dot2_f32_f16 v94, v15, v3, v94
	;;#ASMEND
	s_wait_dscnt 0x5
	;;#ASMSTART
	v_dot2_f32_f16 v91, v12, v4, v91
	;;#ASMEND
	;;#ASMSTART
	v_dot2_f32_f16 v91, v13, v5, v91
	;;#ASMEND
	;;#ASMSTART
	v_dot2_f32_f16 v91, v14, v6, v91
	;;#ASMEND
	;;#ASMSTART
	v_dot2_f32_f16 v91, v15, v7, v91
	;;#ASMEND
	;; [unrolled: 13-line block ×5, first 2 shown]
	;;#ASMSTART
	v_dot2_f32_f16 v95, v108, v4, v95
	;;#ASMEND
	;;#ASMSTART
	v_dot2_f32_f16 v95, v109, v5, v95
	;;#ASMEND
	;; [unrolled: 3-line block ×12, first 2 shown]
	s_wait_dscnt 0x1
	;;#ASMSTART
	v_dot2_f32_f16 v101, v112, v0, v101
	;;#ASMEND
	;;#ASMSTART
	v_dot2_f32_f16 v101, v113, v1, v101
	;;#ASMEND
	;; [unrolled: 3-line block ×16, first 2 shown]
	s_wait_dscnt 0x0
	;;#ASMSTART
	v_dot2_f32_f16 v103, v116, v0, v103
	;;#ASMEND
	;;#ASMSTART
	v_dot2_f32_f16 v103, v117, v1, v103
	;;#ASMEND
	;; [unrolled: 3-line block ×16, first 2 shown]
	ds_load_b128 v[0:3], v40 offset:96
	ds_load_b128 v[4:7], v79 offset:96
	;; [unrolled: 1-line block ×8, first 2 shown]
	s_wait_dscnt 0x6
	;;#ASMSTART
	v_dot2_f32_f16 v94, v0, v4, v94
	;;#ASMEND
	;;#ASMSTART
	v_dot2_f32_f16 v94, v1, v5, v94
	;;#ASMEND
	;;#ASMSTART
	v_dot2_f32_f16 v94, v2, v6, v94
	;;#ASMEND
	;;#ASMSTART
	v_dot2_f32_f16 v94, v3, v7, v94
	;;#ASMEND
	s_wait_dscnt 0x5
	;;#ASMSTART
	v_dot2_f32_f16 v91, v0, v8, v91
	;;#ASMEND
	;;#ASMSTART
	v_dot2_f32_f16 v91, v1, v9, v91
	;;#ASMEND
	;;#ASMSTART
	v_dot2_f32_f16 v91, v2, v10, v91
	;;#ASMEND
	;;#ASMSTART
	v_dot2_f32_f16 v91, v3, v11, v91
	;;#ASMEND
	;; [unrolled: 13-line block ×5, first 2 shown]
	;;#ASMSTART
	v_dot2_f32_f16 v95, v108, v8, v95
	;;#ASMEND
	;;#ASMSTART
	v_dot2_f32_f16 v95, v109, v9, v95
	;;#ASMEND
	;; [unrolled: 3-line block ×12, first 2 shown]
	s_wait_dscnt 0x1
	;;#ASMSTART
	v_dot2_f32_f16 v101, v112, v4, v101
	;;#ASMEND
	;;#ASMSTART
	v_dot2_f32_f16 v101, v113, v5, v101
	;;#ASMEND
	;; [unrolled: 3-line block ×16, first 2 shown]
	s_wait_dscnt 0x0
	;;#ASMSTART
	v_dot2_f32_f16 v103, v116, v4, v103
	;;#ASMEND
	;;#ASMSTART
	v_dot2_f32_f16 v103, v117, v5, v103
	;;#ASMEND
	;; [unrolled: 3-line block ×16, first 2 shown]
	ds_load_b128 v[0:3], v40 offset:112
	ds_load_b128 v[4:7], v79 offset:112
	;; [unrolled: 1-line block ×8, first 2 shown]
	s_wait_dscnt 0x6
	;;#ASMSTART
	v_dot2_f32_f16 v94, v0, v4, v94
	;;#ASMEND
	;;#ASMSTART
	v_dot2_f32_f16 v94, v1, v5, v94
	;;#ASMEND
	;;#ASMSTART
	v_dot2_f32_f16 v94, v2, v6, v94
	;;#ASMEND
	;;#ASMSTART
	v_dot2_f32_f16 v94, v3, v7, v94
	;;#ASMEND
	s_wait_dscnt 0x5
	;;#ASMSTART
	v_dot2_f32_f16 v91, v0, v8, v91
	;;#ASMEND
	;;#ASMSTART
	v_dot2_f32_f16 v91, v1, v9, v91
	;;#ASMEND
	;;#ASMSTART
	v_dot2_f32_f16 v91, v2, v10, v91
	;;#ASMEND
	;;#ASMSTART
	v_dot2_f32_f16 v91, v3, v11, v91
	;;#ASMEND
	;; [unrolled: 13-line block ×5, first 2 shown]
	;;#ASMSTART
	v_dot2_f32_f16 v95, v108, v8, v95
	;;#ASMEND
	;;#ASMSTART
	v_dot2_f32_f16 v95, v109, v9, v95
	;;#ASMEND
	;; [unrolled: 3-line block ×11, first 2 shown]
	s_wait_alu 0xfffe
	s_lshr_b32 s10, s29, 1
	;;#ASMSTART
	v_dot2_f32_f16 v90, v111, v107, v90
	;;#ASMEND
	s_wait_dscnt 0x1
	;;#ASMSTART
	v_dot2_f32_f16 v101, v112, v4, v101
	;;#ASMEND
	;;#ASMSTART
	v_dot2_f32_f16 v101, v113, v5, v101
	;;#ASMEND
	s_wait_alu 0xfffe
	s_lshl_b64 s[36:37], s[10:11], 2
	;;#ASMSTART
	v_dot2_f32_f16 v101, v114, v6, v101
	;;#ASMEND
	;;#ASMSTART
	v_dot2_f32_f16 v101, v115, v7, v101
	;;#ASMEND
	;; [unrolled: 3-line block ×3, first 2 shown]
	s_wait_alu 0xfffe
	s_add_nc_u64 s[36:37], s[26:27], s[36:37]
	;;#ASMSTART
	v_dot2_f32_f16 v99, v113, v9, v99
	;;#ASMEND
	;;#ASMSTART
	v_dot2_f32_f16 v99, v114, v10, v99
	;;#ASMEND
	s_wait_alu 0xfffe
	v_add_co_u32 v120, vcc_lo, s36, v19
	;;#ASMSTART
	v_dot2_f32_f16 v99, v115, v11, v99
	;;#ASMEND
	;;#ASMSTART
	v_dot2_f32_f16 v96, v112, v12, v96
	;;#ASMEND
	;; [unrolled: 3-line block ×3, first 2 shown]
	s_wait_alu 0xfffd
	v_add_co_ci_u32_e64 v121, null, s37, v20, vcc_lo
	v_add_co_u32 v122, vcc_lo, s36, v21
	;;#ASMSTART
	v_dot2_f32_f16 v96, v114, v14, v96
	;;#ASMEND
	;;#ASMSTART
	v_dot2_f32_f16 v96, v115, v15, v96
	;;#ASMEND
	;; [unrolled: 3-line block ×3, first 2 shown]
	s_wait_alu 0xfffd
	v_add_co_ci_u32_e64 v123, null, s37, v22, vcc_lo
	v_add_co_u32 v124, vcc_lo, s36, v23
	;;#ASMSTART
	v_dot2_f32_f16 v93, v113, v105, v93
	;;#ASMEND
	;;#ASMSTART
	v_dot2_f32_f16 v93, v114, v106, v93
	;;#ASMEND
	s_wait_alu 0xfffd
	v_add_co_ci_u32_e64 v125, null, s37, v24, vcc_lo
	v_add_co_u32 v126, vcc_lo, s36, v25
	;;#ASMSTART
	v_dot2_f32_f16 v93, v115, v107, v93
	;;#ASMEND
	s_wait_dscnt 0x0
	;;#ASMSTART
	v_dot2_f32_f16 v103, v116, v4, v103
	;;#ASMEND
	;;#ASMSTART
	v_dot2_f32_f16 v103, v117, v5, v103
	;;#ASMEND
	s_wait_alu 0xfffd
	v_add_co_ci_u32_e64 v127, null, s37, v26, vcc_lo
	v_add_co_u32 v120, vcc_lo, v120, v46
	;;#ASMSTART
	v_dot2_f32_f16 v103, v118, v6, v103
	;;#ASMEND
	;;#ASMSTART
	v_dot2_f32_f16 v103, v119, v7, v103
	;;#ASMEND
	;; [unrolled: 3-line block ×3, first 2 shown]
	s_wait_alu 0xfffd
	v_add_co_ci_u32_e64 v121, null, 0, v121, vcc_lo
	v_add_co_u32 v122, vcc_lo, v122, v46
	;;#ASMSTART
	v_dot2_f32_f16 v102, v117, v9, v102
	;;#ASMEND
	;;#ASMSTART
	v_dot2_f32_f16 v102, v118, v10, v102
	;;#ASMEND
	s_wait_alu 0xfffd
	v_add_co_ci_u32_e64 v123, null, 0, v123, vcc_lo
	v_add_co_u32 v124, vcc_lo, v124, v46
	;;#ASMSTART
	v_dot2_f32_f16 v102, v119, v11, v102
	;;#ASMEND
	;;#ASMSTART
	v_dot2_f32_f16 v100, v116, v12, v100
	;;#ASMEND
	;; [unrolled: 3-line block ×3, first 2 shown]
	s_wait_alu 0xfffd
	v_add_co_ci_u32_e64 v125, null, 0, v125, vcc_lo
	v_add_co_u32 v126, vcc_lo, v126, v46
	;;#ASMSTART
	v_dot2_f32_f16 v100, v118, v14, v100
	;;#ASMEND
	;;#ASMSTART
	v_dot2_f32_f16 v100, v119, v15, v100
	;;#ASMEND
	;; [unrolled: 3-line block ×3, first 2 shown]
	s_wait_alu 0xfffd
	v_add_co_ci_u32_e64 v127, null, 0, v127, vcc_lo
	;;#ASMSTART
	v_dot2_f32_f16 v97, v117, v105, v97
	;;#ASMEND
	;;#ASMSTART
	v_dot2_f32_f16 v97, v118, v106, v97
	;;#ASMEND
	;; [unrolled: 3-line block ×3, first 2 shown]
	s_wait_loadcnt 0x0
	s_barrier_signal -1
	s_barrier_wait -1
	global_inv scope:SCOPE_SE
	s_clause 0x3
	global_load_b128 v[1:4], v[120:121], off
	global_load_b128 v[5:8], v[122:123], off
	;; [unrolled: 1-line block ×4, first 2 shown]
	v_lshl_add_u32 v0, s29, 1, v34
	s_wait_loadcnt 0x3
	ds_store_b128 v36, v[1:4]
	s_wait_loadcnt 0x2
	ds_store_b128 v37, v[5:8]
	;; [unrolled: 2-line block ×4, first 2 shown]
	s_wait_dscnt 0x0
	s_barrier_signal -1
	s_barrier_wait -1
	global_inv scope:SCOPE_SE
	ds_load_b128 v[1:4], v40
	ds_load_b128 v[5:8], v0
	ds_load_b128 v[9:12], v0 offset:1152
	ds_load_b128 v[104:107], v0 offset:2304
	;; [unrolled: 1-line block ×6, first 2 shown]
	s_wait_dscnt 0x6
	;;#ASMSTART
	v_dot2_f32_f16 v94, v1, v5, v94
	;;#ASMEND
	;;#ASMSTART
	v_dot2_f32_f16 v94, v2, v6, v94
	;;#ASMEND
	;;#ASMSTART
	v_dot2_f32_f16 v94, v3, v7, v94
	;;#ASMEND
	;;#ASMSTART
	v_dot2_f32_f16 v94, v4, v8, v94
	;;#ASMEND
	s_wait_dscnt 0x5
	;;#ASMSTART
	v_dot2_f32_f16 v91, v1, v9, v91
	;;#ASMEND
	;;#ASMSTART
	v_dot2_f32_f16 v91, v2, v10, v91
	;;#ASMEND
	;;#ASMSTART
	v_dot2_f32_f16 v91, v3, v11, v91
	;;#ASMEND
	;;#ASMSTART
	v_dot2_f32_f16 v91, v4, v12, v91
	;;#ASMEND
	;; [unrolled: 13-line block ×5, first 2 shown]
	;;#ASMSTART
	v_dot2_f32_f16 v95, v112, v9, v95
	;;#ASMEND
	;;#ASMSTART
	v_dot2_f32_f16 v95, v113, v10, v95
	;;#ASMEND
	;; [unrolled: 3-line block ×12, first 2 shown]
	s_wait_dscnt 0x1
	;;#ASMSTART
	v_dot2_f32_f16 v101, v116, v5, v101
	;;#ASMEND
	;;#ASMSTART
	v_dot2_f32_f16 v101, v117, v6, v101
	;;#ASMEND
	;; [unrolled: 3-line block ×16, first 2 shown]
	s_wait_dscnt 0x0
	;;#ASMSTART
	v_dot2_f32_f16 v103, v120, v5, v103
	;;#ASMEND
	;;#ASMSTART
	v_dot2_f32_f16 v103, v121, v6, v103
	;;#ASMEND
	;; [unrolled: 3-line block ×16, first 2 shown]
	ds_load_b128 v[1:4], v40 offset:16
	ds_load_b128 v[5:8], v0 offset:16
	ds_load_b128 v[9:12], v0 offset:1168
	ds_load_b128 v[104:107], v0 offset:2320
	ds_load_b128 v[108:111], v0 offset:3472
	ds_load_b128 v[112:115], v40 offset:4624
	ds_load_b128 v[116:119], v40 offset:9232
	ds_load_b128 v[120:123], v40 offset:13840
	s_wait_dscnt 0x6
	;;#ASMSTART
	v_dot2_f32_f16 v94, v1, v5, v94
	;;#ASMEND
	;;#ASMSTART
	v_dot2_f32_f16 v94, v2, v6, v94
	;;#ASMEND
	;;#ASMSTART
	v_dot2_f32_f16 v94, v3, v7, v94
	;;#ASMEND
	;;#ASMSTART
	v_dot2_f32_f16 v94, v4, v8, v94
	;;#ASMEND
	s_wait_dscnt 0x5
	;;#ASMSTART
	v_dot2_f32_f16 v91, v1, v9, v91
	;;#ASMEND
	;;#ASMSTART
	v_dot2_f32_f16 v91, v2, v10, v91
	;;#ASMEND
	;;#ASMSTART
	v_dot2_f32_f16 v91, v3, v11, v91
	;;#ASMEND
	;;#ASMSTART
	v_dot2_f32_f16 v91, v4, v12, v91
	;;#ASMEND
	;; [unrolled: 13-line block ×5, first 2 shown]
	;;#ASMSTART
	v_dot2_f32_f16 v95, v112, v9, v95
	;;#ASMEND
	;;#ASMSTART
	v_dot2_f32_f16 v95, v113, v10, v95
	;;#ASMEND
	;; [unrolled: 3-line block ×12, first 2 shown]
	s_wait_dscnt 0x1
	;;#ASMSTART
	v_dot2_f32_f16 v101, v116, v5, v101
	;;#ASMEND
	;;#ASMSTART
	v_dot2_f32_f16 v101, v117, v6, v101
	;;#ASMEND
	;; [unrolled: 3-line block ×16, first 2 shown]
	s_wait_dscnt 0x0
	;;#ASMSTART
	v_dot2_f32_f16 v103, v120, v5, v103
	;;#ASMEND
	;;#ASMSTART
	v_dot2_f32_f16 v103, v121, v6, v103
	;;#ASMEND
	;; [unrolled: 3-line block ×16, first 2 shown]
	ds_load_b128 v[1:4], v40 offset:32
	ds_load_b128 v[5:8], v0 offset:32
	;; [unrolled: 1-line block ×8, first 2 shown]
	s_wait_dscnt 0x6
	;;#ASMSTART
	v_dot2_f32_f16 v94, v1, v5, v94
	;;#ASMEND
	;;#ASMSTART
	v_dot2_f32_f16 v94, v2, v6, v94
	;;#ASMEND
	;;#ASMSTART
	v_dot2_f32_f16 v94, v3, v7, v94
	;;#ASMEND
	;;#ASMSTART
	v_dot2_f32_f16 v94, v4, v8, v94
	;;#ASMEND
	s_wait_dscnt 0x5
	;;#ASMSTART
	v_dot2_f32_f16 v91, v1, v9, v91
	;;#ASMEND
	;;#ASMSTART
	v_dot2_f32_f16 v91, v2, v10, v91
	;;#ASMEND
	;;#ASMSTART
	v_dot2_f32_f16 v91, v3, v11, v91
	;;#ASMEND
	;;#ASMSTART
	v_dot2_f32_f16 v91, v4, v12, v91
	;;#ASMEND
	;; [unrolled: 13-line block ×5, first 2 shown]
	;;#ASMSTART
	v_dot2_f32_f16 v95, v112, v9, v95
	;;#ASMEND
	;;#ASMSTART
	v_dot2_f32_f16 v95, v113, v10, v95
	;;#ASMEND
	;; [unrolled: 3-line block ×12, first 2 shown]
	s_wait_dscnt 0x1
	;;#ASMSTART
	v_dot2_f32_f16 v101, v116, v5, v101
	;;#ASMEND
	;;#ASMSTART
	v_dot2_f32_f16 v101, v117, v6, v101
	;;#ASMEND
	;; [unrolled: 3-line block ×16, first 2 shown]
	s_wait_dscnt 0x0
	;;#ASMSTART
	v_dot2_f32_f16 v103, v120, v5, v103
	;;#ASMEND
	;;#ASMSTART
	v_dot2_f32_f16 v103, v121, v6, v103
	;;#ASMEND
	;; [unrolled: 3-line block ×16, first 2 shown]
	ds_load_b128 v[1:4], v40 offset:48
	ds_load_b128 v[5:8], v0 offset:48
	;; [unrolled: 1-line block ×8, first 2 shown]
	s_wait_dscnt 0x6
	;;#ASMSTART
	v_dot2_f32_f16 v94, v1, v5, v94
	;;#ASMEND
	;;#ASMSTART
	v_dot2_f32_f16 v94, v2, v6, v94
	;;#ASMEND
	;;#ASMSTART
	v_dot2_f32_f16 v94, v3, v7, v94
	;;#ASMEND
	;;#ASMSTART
	v_dot2_f32_f16 v94, v4, v8, v94
	;;#ASMEND
	s_wait_dscnt 0x5
	;;#ASMSTART
	v_dot2_f32_f16 v91, v1, v9, v91
	;;#ASMEND
	;;#ASMSTART
	v_dot2_f32_f16 v91, v2, v10, v91
	;;#ASMEND
	;;#ASMSTART
	v_dot2_f32_f16 v91, v3, v11, v91
	;;#ASMEND
	;;#ASMSTART
	v_dot2_f32_f16 v91, v4, v12, v91
	;;#ASMEND
	;; [unrolled: 13-line block ×5, first 2 shown]
	;;#ASMSTART
	v_dot2_f32_f16 v95, v112, v9, v95
	;;#ASMEND
	;;#ASMSTART
	v_dot2_f32_f16 v95, v113, v10, v95
	;;#ASMEND
	;;#ASMSTART
	v_dot2_f32_f16 v95, v114, v11, v95
	;;#ASMEND
	;;#ASMSTART
	v_dot2_f32_f16 v95, v115, v12, v95
	;;#ASMEND
	;;#ASMSTART
	v_dot2_f32_f16 v92, v112, v104, v92
	;;#ASMEND
	;;#ASMSTART
	v_dot2_f32_f16 v92, v113, v105, v92
	;;#ASMEND
	;;#ASMSTART
	v_dot2_f32_f16 v92, v114, v106, v92
	;;#ASMEND
	;;#ASMSTART
	v_dot2_f32_f16 v92, v115, v107, v92
	;;#ASMEND
	;;#ASMSTART
	v_dot2_f32_f16 v90, v112, v108, v90
	;;#ASMEND
	;;#ASMSTART
	v_dot2_f32_f16 v90, v113, v109, v90
	;;#ASMEND
	;;#ASMSTART
	v_dot2_f32_f16 v90, v114, v110, v90
	;;#ASMEND
	;;#ASMSTART
	v_dot2_f32_f16 v90, v115, v111, v90
	;;#ASMEND
	s_wait_dscnt 0x1
	;;#ASMSTART
	v_dot2_f32_f16 v101, v116, v5, v101
	;;#ASMEND
	;;#ASMSTART
	v_dot2_f32_f16 v101, v117, v6, v101
	;;#ASMEND
	;;#ASMSTART
	v_dot2_f32_f16 v101, v118, v7, v101
	;;#ASMEND
	;;#ASMSTART
	v_dot2_f32_f16 v101, v119, v8, v101
	;;#ASMEND
	;;#ASMSTART
	v_dot2_f32_f16 v99, v116, v9, v99
	;;#ASMEND
	;;#ASMSTART
	v_dot2_f32_f16 v99, v117, v10, v99
	;;#ASMEND
	;;#ASMSTART
	v_dot2_f32_f16 v99, v118, v11, v99
	;;#ASMEND
	;;#ASMSTART
	v_dot2_f32_f16 v99, v119, v12, v99
	;;#ASMEND
	;;#ASMSTART
	v_dot2_f32_f16 v96, v116, v104, v96
	;;#ASMEND
	;;#ASMSTART
	v_dot2_f32_f16 v96, v117, v105, v96
	;;#ASMEND
	;;#ASMSTART
	v_dot2_f32_f16 v96, v118, v106, v96
	;;#ASMEND
	;;#ASMSTART
	v_dot2_f32_f16 v96, v119, v107, v96
	;;#ASMEND
	;;#ASMSTART
	v_dot2_f32_f16 v93, v116, v108, v93
	;;#ASMEND
	;;#ASMSTART
	v_dot2_f32_f16 v93, v117, v109, v93
	;;#ASMEND
	;;#ASMSTART
	v_dot2_f32_f16 v93, v118, v110, v93
	;;#ASMEND
	;;#ASMSTART
	v_dot2_f32_f16 v93, v119, v111, v93
	;;#ASMEND
	s_wait_dscnt 0x0
	;;#ASMSTART
	v_dot2_f32_f16 v103, v120, v5, v103
	;;#ASMEND
	;;#ASMSTART
	v_dot2_f32_f16 v103, v121, v6, v103
	;;#ASMEND
	;; [unrolled: 3-line block ×16, first 2 shown]
	ds_load_b128 v[1:4], v40 offset:64
	ds_load_b128 v[5:8], v0 offset:64
	;; [unrolled: 1-line block ×8, first 2 shown]
	s_wait_dscnt 0x6
	;;#ASMSTART
	v_dot2_f32_f16 v94, v1, v5, v94
	;;#ASMEND
	;;#ASMSTART
	v_dot2_f32_f16 v94, v2, v6, v94
	;;#ASMEND
	;;#ASMSTART
	v_dot2_f32_f16 v94, v3, v7, v94
	;;#ASMEND
	;;#ASMSTART
	v_dot2_f32_f16 v94, v4, v8, v94
	;;#ASMEND
	s_wait_dscnt 0x5
	;;#ASMSTART
	v_dot2_f32_f16 v91, v1, v9, v91
	;;#ASMEND
	;;#ASMSTART
	v_dot2_f32_f16 v91, v2, v10, v91
	;;#ASMEND
	;;#ASMSTART
	v_dot2_f32_f16 v91, v3, v11, v91
	;;#ASMEND
	;;#ASMSTART
	v_dot2_f32_f16 v91, v4, v12, v91
	;;#ASMEND
	;; [unrolled: 13-line block ×5, first 2 shown]
	;;#ASMSTART
	v_dot2_f32_f16 v95, v112, v9, v95
	;;#ASMEND
	;;#ASMSTART
	v_dot2_f32_f16 v95, v113, v10, v95
	;;#ASMEND
	;; [unrolled: 3-line block ×12, first 2 shown]
	s_wait_dscnt 0x1
	;;#ASMSTART
	v_dot2_f32_f16 v101, v116, v5, v101
	;;#ASMEND
	;;#ASMSTART
	v_dot2_f32_f16 v101, v117, v6, v101
	;;#ASMEND
	;; [unrolled: 3-line block ×16, first 2 shown]
	s_wait_dscnt 0x0
	;;#ASMSTART
	v_dot2_f32_f16 v103, v120, v5, v103
	;;#ASMEND
	;;#ASMSTART
	v_dot2_f32_f16 v103, v121, v6, v103
	;;#ASMEND
	;; [unrolled: 3-line block ×16, first 2 shown]
	ds_load_b128 v[1:4], v40 offset:80
	ds_load_b128 v[5:8], v0 offset:80
	;; [unrolled: 1-line block ×8, first 2 shown]
	s_wait_dscnt 0x6
	;;#ASMSTART
	v_dot2_f32_f16 v94, v1, v5, v94
	;;#ASMEND
	;;#ASMSTART
	v_dot2_f32_f16 v94, v2, v6, v94
	;;#ASMEND
	;;#ASMSTART
	v_dot2_f32_f16 v94, v3, v7, v94
	;;#ASMEND
	;;#ASMSTART
	v_dot2_f32_f16 v94, v4, v8, v94
	;;#ASMEND
	s_wait_dscnt 0x5
	;;#ASMSTART
	v_dot2_f32_f16 v91, v1, v9, v91
	;;#ASMEND
	;;#ASMSTART
	v_dot2_f32_f16 v91, v2, v10, v91
	;;#ASMEND
	;;#ASMSTART
	v_dot2_f32_f16 v91, v3, v11, v91
	;;#ASMEND
	;;#ASMSTART
	v_dot2_f32_f16 v91, v4, v12, v91
	;;#ASMEND
	;; [unrolled: 13-line block ×5, first 2 shown]
	;;#ASMSTART
	v_dot2_f32_f16 v95, v112, v9, v95
	;;#ASMEND
	;;#ASMSTART
	v_dot2_f32_f16 v95, v113, v10, v95
	;;#ASMEND
	;; [unrolled: 3-line block ×12, first 2 shown]
	s_wait_dscnt 0x1
	;;#ASMSTART
	v_dot2_f32_f16 v101, v116, v5, v101
	;;#ASMEND
	;;#ASMSTART
	v_dot2_f32_f16 v101, v117, v6, v101
	;;#ASMEND
	;; [unrolled: 3-line block ×16, first 2 shown]
	s_wait_dscnt 0x0
	;;#ASMSTART
	v_dot2_f32_f16 v103, v120, v5, v103
	;;#ASMEND
	;;#ASMSTART
	v_dot2_f32_f16 v103, v121, v6, v103
	;;#ASMEND
	;; [unrolled: 3-line block ×16, first 2 shown]
	ds_load_b128 v[1:4], v40 offset:96
	ds_load_b128 v[5:8], v0 offset:96
	;; [unrolled: 1-line block ×8, first 2 shown]
	s_wait_dscnt 0x6
	;;#ASMSTART
	v_dot2_f32_f16 v94, v1, v5, v94
	;;#ASMEND
	;;#ASMSTART
	v_dot2_f32_f16 v94, v2, v6, v94
	;;#ASMEND
	;;#ASMSTART
	v_dot2_f32_f16 v94, v3, v7, v94
	;;#ASMEND
	;;#ASMSTART
	v_dot2_f32_f16 v94, v4, v8, v94
	;;#ASMEND
	s_wait_dscnt 0x5
	;;#ASMSTART
	v_dot2_f32_f16 v91, v1, v9, v91
	;;#ASMEND
	;;#ASMSTART
	v_dot2_f32_f16 v91, v2, v10, v91
	;;#ASMEND
	;;#ASMSTART
	v_dot2_f32_f16 v91, v3, v11, v91
	;;#ASMEND
	;;#ASMSTART
	v_dot2_f32_f16 v91, v4, v12, v91
	;;#ASMEND
	;; [unrolled: 13-line block ×5, first 2 shown]
	;;#ASMSTART
	v_dot2_f32_f16 v95, v112, v9, v95
	;;#ASMEND
	;;#ASMSTART
	v_dot2_f32_f16 v95, v113, v10, v95
	;;#ASMEND
	;; [unrolled: 3-line block ×12, first 2 shown]
	s_wait_dscnt 0x1
	;;#ASMSTART
	v_dot2_f32_f16 v101, v116, v5, v101
	;;#ASMEND
	;;#ASMSTART
	v_dot2_f32_f16 v101, v117, v6, v101
	;;#ASMEND
	;; [unrolled: 3-line block ×16, first 2 shown]
	s_wait_dscnt 0x0
	;;#ASMSTART
	v_dot2_f32_f16 v103, v120, v5, v103
	;;#ASMEND
	;;#ASMSTART
	v_dot2_f32_f16 v103, v121, v6, v103
	;;#ASMEND
	;; [unrolled: 3-line block ×16, first 2 shown]
	ds_load_b128 v[1:4], v40 offset:112
	ds_load_b128 v[5:8], v0 offset:112
	;; [unrolled: 1-line block ×8, first 2 shown]
	s_wait_dscnt 0x6
	;;#ASMSTART
	v_dot2_f32_f16 v94, v1, v5, v94
	;;#ASMEND
	;;#ASMSTART
	v_dot2_f32_f16 v94, v2, v6, v94
	;;#ASMEND
	;;#ASMSTART
	v_dot2_f32_f16 v94, v3, v7, v94
	;;#ASMEND
	;;#ASMSTART
	v_dot2_f32_f16 v94, v4, v8, v94
	;;#ASMEND
	s_wait_dscnt 0x5
	;;#ASMSTART
	v_dot2_f32_f16 v91, v1, v9, v91
	;;#ASMEND
	;;#ASMSTART
	v_dot2_f32_f16 v91, v2, v10, v91
	;;#ASMEND
	;;#ASMSTART
	v_dot2_f32_f16 v91, v3, v11, v91
	;;#ASMEND
	;;#ASMSTART
	v_dot2_f32_f16 v91, v4, v12, v91
	;;#ASMEND
	;; [unrolled: 13-line block ×5, first 2 shown]
	;;#ASMSTART
	v_dot2_f32_f16 v95, v112, v9, v95
	;;#ASMEND
	;;#ASMSTART
	v_dot2_f32_f16 v95, v113, v10, v95
	;;#ASMEND
	;; [unrolled: 3-line block ×12, first 2 shown]
	s_wait_dscnt 0x1
	;;#ASMSTART
	v_dot2_f32_f16 v101, v116, v5, v101
	;;#ASMEND
	;;#ASMSTART
	v_dot2_f32_f16 v101, v117, v6, v101
	;;#ASMEND
	;; [unrolled: 3-line block ×16, first 2 shown]
	s_wait_dscnt 0x0
	;;#ASMSTART
	v_dot2_f32_f16 v103, v120, v5, v103
	;;#ASMEND
	;;#ASMSTART
	v_dot2_f32_f16 v103, v121, v6, v103
	;;#ASMEND
	;; [unrolled: 3-line block ×13, first 2 shown]
	s_cmp_gt_u32 s3, 0x17f
	;;#ASMSTART
	v_dot2_f32_f16 v97, v121, v109, v97
	;;#ASMEND
	s_mov_b32 s10, -1
	;;#ASMSTART
	v_dot2_f32_f16 v97, v122, v110, v97
	;;#ASMEND
	;;#ASMSTART
	v_dot2_f32_f16 v97, v123, v111, v97
	;;#ASMEND
	s_cbranch_scc1 .LBB0_18
; %bb.20:                               ;   in Loop: Header=BB0_19 Depth=2
	s_wait_loadcnt 0x0
	s_barrier_signal -1
	s_barrier_wait -1
	s_addk_co_i32 s3, 0xc0
	s_mov_b32 s10, 0
	global_inv scope:SCOPE_SE
	s_branch .LBB0_18
.LBB0_21:                               ;   in Loop: Header=BB0_17 Depth=1
	v_add_nc_u32_e32 v0, s4, v18
	s_mul_u64 s[26:27], s[4:5], s[14:15]
	s_wait_alu 0xfffe
	s_lshl_b64 s[26:27], s[26:27], 2
	s_wait_alu 0xfffe
	s_add_nc_u64 s[26:27], s[8:9], s[26:27]
	v_ashrrev_i32_e32 v1, 31, v0
	s_delay_alu instid0(VALU_DEP_1) | instskip(NEXT) | instid1(VALU_DEP_1)
	v_lshlrev_b64_e32 v[0:1], 1, v[0:1]
	v_add_co_u32 v3, vcc_lo, s34, v0
	s_wait_alu 0xfffd
	s_delay_alu instid0(VALU_DEP_2)
	v_add_co_ci_u32_e64 v4, null, s35, v1, vcc_lo
	s_clause 0x3
	global_load_u16 v0, v[3:4], off
	global_load_u16 v1, v[3:4], off offset:64
	global_load_u16 v2, v[3:4], off offset:128
	;; [unrolled: 1-line block ×3, first 2 shown]
	s_wait_alu 0xfffe
	v_add_co_u32 v4, vcc_lo, s26, v27
	s_wait_alu 0xfffd
	v_add_co_ci_u32_e64 v5, null, s27, v28, vcc_lo
	s_wait_loadcnt 0x0
	s_barrier_signal -1
	s_barrier_wait -1
	global_inv scope:SCOPE_SE
	v_cvt_f32_f16_e32 v0, v0
	v_cvt_f32_f16_e32 v1, v1
	v_lshlrev_b32_e32 v79, 2, v32
	v_cvt_f32_f16_e32 v2, v2
	v_cvt_f32_f16_e32 v3, v3
	v_add_f32_e32 v15, v94, v0
	v_add_f32_e32 v98, v98, v1
	v_add_co_u32 v4, vcc_lo, v4, v79
	s_wait_alu 0xfffd
	v_add_co_ci_u32_e64 v5, null, 0, v5, vcc_lo
	v_dual_add_f32 v101, v101, v2 :: v_dual_add_f32 v102, v102, v3
	s_clause 0x1
	global_load_b128 v[9:12], v[4:5], off
	global_load_b128 v[104:107], v[4:5], off offset:512
	v_xor_b32_e32 v4, 16, v35
	v_dual_add_f32 v103, v103, v3 :: v_dual_add_f32 v110, v89, v0
	v_dual_add_f32 v109, v95, v1 :: v_dual_add_f32 v100, v100, v3
	s_delay_alu instid0(VALU_DEP_3)
	v_cmp_gt_i32_e32 vcc_lo, 32, v4
	v_dual_add_f32 v99, v99, v2 :: v_dual_add_f32 v112, v88, v0
	v_dual_add_f32 v111, v92, v1 :: v_dual_add_f32 v114, v93, v2
	s_wait_alu 0xfffd
	v_dual_cndmask_b32 v5, v35, v4 :: v_dual_add_f32 v96, v96, v2
	v_dual_add_f32 v108, v91, v0 :: v_dual_add_f32 v113, v90, v1
	s_delay_alu instid0(VALU_DEP_2) | instskip(NEXT) | instid1(VALU_DEP_2)
	v_dual_add_f32 v0, 0x40051340, v15 :: v_dual_lshlrev_b32 v5, 2, v5
	v_dual_add_f32 v1, 0x40051340, v98 :: v_dual_add_f32 v6, 0x40051340, v108
	v_dual_add_f32 v97, v97, v3 :: v_dual_add_f32 v2, 0x40051340, v101
	v_dual_add_f32 v3, 0x40051340, v103 :: v_dual_add_f32 v14, 0x40051340, v110
	v_dual_add_f32 v7, 0x40051340, v109 :: v_dual_add_f32 v8, 0x40051340, v99
	s_delay_alu instid0(VALU_DEP_4) | instskip(SKIP_1) | instid1(VALU_DEP_3)
	v_max3_num_f32 v0, v84, v0, v1
	v_dual_add_f32 v13, 0x40051340, v102 :: v_dual_add_f32 v88, 0x40051340, v111
	v_max3_num_f32 v6, v87, v6, v7
	v_dual_add_f32 v89, 0x40051340, v96 :: v_dual_add_f32 v92, 0x40051340, v113
	s_delay_alu instid0(VALU_DEP_4) | instskip(SKIP_1) | instid1(VALU_DEP_4)
	v_max3_num_f32 v0, v0, v2, v3
	v_dual_add_f32 v90, 0x40051340, v100 :: v_dual_add_f32 v93, 0x40051340, v114
	v_max3_num_f32 v2, v6, v8, v13
	v_add_f32_e32 v91, 0x40051340, v112
	ds_bpermute_b32 v6, v5, v0
	v_max3_num_f32 v7, v86, v14, v88
	v_add_f32_e32 v1, 0x40051340, v97
	v_max3_num_f32 v14, v85, v91, v92
	s_delay_alu instid0(VALU_DEP_3)
	v_max3_num_f32 v3, v7, v89, v90
	ds_bpermute_b32 v7, v5, v2
	ds_bpermute_b32 v8, v5, v3
	s_wait_dscnt 0x2
	v_max_num_f32_e32 v6, v6, v6
	v_max3_num_f32 v1, v14, v93, v1
	ds_bpermute_b32 v13, v5, v1
	v_xor_b32_e32 v5, 8, v35
	s_wait_dscnt 0x1
	v_dual_max_num_f32 v7, v7, v7 :: v_dual_max_num_f32 v8, v8, v8
	s_delay_alu instid0(VALU_DEP_2) | instskip(SKIP_3) | instid1(VALU_DEP_1)
	v_cmp_gt_i32_e32 vcc_lo, 32, v5
	s_wait_alu 0xfffd
	v_cndmask_b32_e32 v14, v35, v5, vcc_lo
	s_wait_dscnt 0x0
	v_dual_max_num_f32 v13, v13, v13 :: v_dual_lshlrev_b32 v14, 2, v14
	v_dual_max_num_f32 v0, v0, v6 :: v_dual_max_num_f32 v3, v3, v8
	v_max_num_f32_e32 v2, v2, v7
	v_xor_b32_e32 v6, 4, v35
	s_delay_alu instid0(VALU_DEP_4)
	v_max_num_f32_e32 v1, v1, v13
	ds_bpermute_b32 v7, v14, v0
	ds_bpermute_b32 v13, v14, v3
	;; [unrolled: 1-line block ×3, first 2 shown]
	v_cmp_gt_i32_e32 vcc_lo, 32, v6
	ds_bpermute_b32 v14, v14, v1
	s_wait_dscnt 0x2
	s_wait_alu 0xfffd
	v_dual_cndmask_b32 v88, v35, v6 :: v_dual_max_num_f32 v13, v13, v13
	s_delay_alu instid0(VALU_DEP_1) | instskip(SKIP_1) | instid1(VALU_DEP_2)
	v_dual_max_num_f32 v7, v7, v7 :: v_dual_lshlrev_b32 v88, 2, v88
	s_wait_dscnt 0x1
	v_dual_max_num_f32 v8, v8, v8 :: v_dual_max_num_f32 v3, v3, v13
	s_delay_alu instid0(VALU_DEP_2) | instskip(SKIP_1) | instid1(VALU_DEP_1)
	v_max_num_f32_e32 v0, v0, v7
	v_xor_b32_e32 v7, 2, v35
	v_cmp_gt_i32_e32 vcc_lo, 32, v7
	s_wait_dscnt 0x0
	s_wait_alu 0xfffd
	v_dual_max_num_f32 v14, v14, v14 :: v_dual_cndmask_b32 v89, v35, v7
	s_delay_alu instid0(VALU_DEP_1)
	v_dual_max_num_f32 v2, v2, v8 :: v_dual_max_num_f32 v1, v1, v14
	ds_bpermute_b32 v8, v88, v0
	ds_bpermute_b32 v14, v88, v3
	v_lshlrev_b32_e32 v89, 2, v89
	ds_bpermute_b32 v13, v88, v2
	ds_bpermute_b32 v88, v88, v1
	s_wait_dscnt 0x1
	v_dual_max_num_f32 v8, v8, v8 :: v_dual_max_num_f32 v13, v13, v13
	s_wait_dscnt 0x0
	v_max_num_f32_e32 v88, v88, v88
	v_max_num_f32_e32 v14, v14, v14
	s_delay_alu instid0(VALU_DEP_3) | instskip(SKIP_1) | instid1(VALU_DEP_4)
	v_max_num_f32_e32 v0, v0, v8
	v_xor_b32_e32 v8, 1, v35
	v_max_num_f32_e32 v1, v1, v88
	s_delay_alu instid0(VALU_DEP_4) | instskip(NEXT) | instid1(VALU_DEP_3)
	v_max_num_f32_e32 v3, v3, v14
	v_cmp_gt_i32_e32 vcc_lo, 32, v8
	ds_bpermute_b32 v88, v89, v3
	s_wait_dscnt 0x0
	v_max_num_f32_e32 v88, v88, v88
	v_max_num_f32_e32 v2, v2, v13
	ds_bpermute_b32 v13, v89, v0
	v_max_num_f32_e32 v3, v3, v88
	ds_bpermute_b32 v14, v89, v2
	ds_bpermute_b32 v89, v89, v1
	s_wait_dscnt 0x2
	s_wait_alu 0xfffd
	v_dual_cndmask_b32 v90, v35, v8 :: v_dual_max_num_f32 v13, v13, v13
	s_wait_dscnt 0x0
	v_dual_max_num_f32 v14, v14, v14 :: v_dual_max_num_f32 v89, v89, v89
	s_delay_alu instid0(VALU_DEP_2)
	v_dual_max_num_f32 v115, v0, v13 :: v_dual_lshlrev_b32 v90, 2, v90
	v_add_co_u32 v0, vcc_lo, s26, v29
	v_add_nc_u32_e32 v13, 0x9800, v33
	ds_bpermute_b32 v118, v90, v3
	ds_bpermute_b32 v88, v90, v115
	v_max_num_f32_e32 v116, v1, v89
	s_wait_alu 0xfffd
	v_add_co_ci_u32_e64 v1, null, s27, v30, vcc_lo
	v_add_co_u32 v0, vcc_lo, v0, v79
	v_max_num_f32_e32 v2, v2, v14
	s_wait_alu 0xfffd
	s_delay_alu instid0(VALU_DEP_3)
	v_add_co_ci_u32_e64 v1, null, 0, v1, vcc_lo
	ds_bpermute_b32 v119, v90, v116
	s_or_b32 s26, s4, 16
	s_wait_alu 0xfffe
	s_ashr_i32 s27, s26, 31
	s_wait_alu 0xfffe
	s_mul_u64 s[26:27], s[26:27], s[14:15]
	s_wait_alu 0xfffe
	s_lshl_b64 s[26:27], s[26:27], 2
	s_wait_alu 0xfffe
	s_add_nc_u64 s[26:27], s[8:9], s[26:27]
	s_wait_dscnt 0x1
	v_max_num_f32_e32 v121, v88, v88
	ds_bpermute_b32 v117, v90, v2
	s_clause 0x1
	global_load_b128 v[88:91], v[0:1], off
	global_load_b128 v[92:95], v[0:1], off offset:512
	s_wait_loadcnt 0x3
	ds_store_b128 v42, v[9:12]
	s_wait_loadcnt 0x2
	ds_store_b128 v43, v[104:107]
	s_wait_dscnt 0x2
	v_max_num_f32_e32 v1, v117, v117
	v_dual_max_num_f32 v117, v118, v118 :: v_dual_max_num_f32 v118, v119, v119
	s_delay_alu instid0(VALU_DEP_2) | instskip(SKIP_1) | instid1(VALU_DEP_3)
	v_max_num_f32_e32 v1, v2, v1
	v_add_nc_u32_e32 v120, v41, v33
	v_dual_max_num_f32 v2, v3, v117 :: v_dual_max_num_f32 v3, v116, v118
	v_max_num_f32_e32 v0, v115, v121
	s_delay_alu instid0(VALU_DEP_4) | instskip(NEXT) | instid1(VALU_DEP_3)
	v_sub_f32_e32 v99, v99, v1
	v_dual_sub_f32 v85, v85, v3 :: v_dual_add_nc_u32 v14, 0x9000, v33
	s_delay_alu instid0(VALU_DEP_3)
	v_sub_f32_e32 v9, v84, v0
	v_sub_f32_e32 v12, v101, v0
	;; [unrolled: 1-line block ×4, first 2 shown]
	v_dual_sub_f32 v15, v103, v0 :: v_dual_sub_f32 v98, v109, v1
	v_dual_sub_f32 v84, v87, v1 :: v_dual_sub_f32 v105, v113, v3
	v_sub_f32_e32 v87, v108, v1
	v_dual_sub_f32 v101, v102, v1 :: v_dual_sub_f32 v96, v96, v2
	v_dual_sub_f32 v102, v110, v2 :: v_dual_mul_f32 v109, 0x3fb8aa3b, v12
	v_dual_sub_f32 v103, v111, v2 :: v_dual_sub_f32 v104, v112, v3
	v_dual_sub_f32 v100, v100, v2 :: v_dual_mul_f32 v111, 0x3fb8aa3b, v9
	v_dual_sub_f32 v106, v114, v3 :: v_dual_mul_f32 v107, 0x3fb8aa3b, v10
	v_dual_mul_f32 v110, 0x3fb8aa3b, v15 :: v_dual_mul_f32 v115, 0x3fb8aa3b, v101
	v_dual_mul_f32 v112, 0x3fb8aa3b, v87 :: v_dual_mul_f32 v117, 0x3fb8aa3b, v102
	s_delay_alu instid0(VALU_DEP_3)
	v_dual_mul_f32 v116, 0x3fb8aa3b, v84 :: v_dual_mul_f32 v125, 0x3fb8aa3b, v106
	v_fma_f32 v132, 0x3fb8aa3b, v12, -v109
	v_fma_f32 v136, 0x3fb8aa3b, v9, -v111
	v_rndne_f32_e32 v137, v111
	v_dual_mul_f32 v118, 0x3fb8aa3b, v103 :: v_dual_mul_f32 v121, 0x3fb8aa3b, v100
	v_rndne_f32_e32 v135, v110
	v_fma_f32 v138, 0x3fb8aa3b, v87, -v112
	v_fma_f32 v144, 0x3fb8aa3b, v101, -v115
	v_rndne_f32_e32 v145, v115
	v_fma_f32 v148, 0x3fb8aa3b, v102, -v117
	v_rndne_f32_e32 v149, v117
	v_rndne_f32_e32 v163, v125
	v_dual_fmac_f32 v132, 0x32a5705f, v12 :: v_dual_sub_f32 v111, v111, v137
	v_fmac_f32_e32 v136, 0x32a5705f, v9
	v_fma_f32 v134, 0x3fb8aa3b, v15, -v110
	v_fma_f32 v150, 0x3fb8aa3b, v103, -v118
	;; [unrolled: 1-line block ×3, first 2 shown]
	v_dual_sub_f32 v110, v110, v135 :: v_dual_sub_f32 v115, v115, v145
	v_dual_fmac_f32 v138, 0x32a5705f, v87 :: v_dual_sub_f32 v117, v117, v149
	v_dual_sub_f32 v125, v125, v163 :: v_dual_fmac_f32 v144, 0x32a5705f, v101
	v_dual_add_f32 v111, v111, v136 :: v_dual_fmac_f32 v148, 0x32a5705f, v102
	v_dual_mul_f32 v108, 0x3fb8aa3b, v11 :: v_dual_mul_f32 v113, 0x3fb8aa3b, v98
	v_dual_mul_f32 v114, 0x3fb8aa3b, v99 :: v_dual_mul_f32 v119, 0x3fb8aa3b, v96
	v_fma_f32 v128, 0x3fb8aa3b, v10, -v107
	v_rndne_f32_e32 v129, v107
	v_dual_add_f32 v115, v115, v144 :: v_dual_fmac_f32 v150, 0x32a5705f, v103
	v_add_f32_e32 v117, v117, v148
	v_fma_f32 v130, 0x3fb8aa3b, v11, -v108
	v_rndne_f32_e32 v131, v108
	v_fma_f32 v142, 0x3fb8aa3b, v99, -v114
	v_dual_fmac_f32 v128, 0x32a5705f, v10 :: v_dual_sub_f32 v107, v107, v129
	v_exp_f32_e32 v117, v117
	s_delay_alu instid0(VALU_DEP_3)
	v_dual_mul_f32 v127, 0x3fb8aa3b, v85 :: v_dual_sub_f32 v108, v108, v131
	v_rndne_f32_e32 v133, v109
	v_fmac_f32_e32 v130, 0x32a5705f, v11
	v_dual_fmac_f32 v142, 0x32a5705f, v99 :: v_dual_add_f32 v107, v107, v128
	v_cvt_i32_f32_e32 v149, v149
	v_dual_sub_f32 v86, v86, v2 :: v_dual_sub_f32 v97, v97, v3
	v_rndne_f32_e32 v143, v114
	v_sub_f32_e32 v109, v109, v133
	v_exp_f32_e32 v107, v107
	v_ldexp_f32 v117, v117, v149
	v_add_f32_e32 v108, v108, v130
	v_dual_mul_f32 v122, 0x3fb8aa3b, v86 :: v_dual_mul_f32 v123, 0x3fb8aa3b, v104
	v_rndne_f32_e32 v141, v113
	v_cvt_i32_f32_e32 v129, v129
	v_fmac_f32_e32 v134, 0x32a5705f, v15
	v_dual_sub_f32 v114, v114, v143 :: v_dual_add_f32 v109, v109, v132
	v_exp_f32_e32 v108, v108
	v_rndne_f32_e32 v139, v112
	v_fma_f32 v140, 0x3fb8aa3b, v98, -v113
	v_fma_f32 v156, 0x3fb8aa3b, v86, -v122
	v_cvt_i32_f32_e32 v131, v131
	v_dual_sub_f32 v113, v113, v141 :: v_dual_add_f32 v110, v110, v134
	v_exp_f32_e32 v109, v109
	v_ldexp_f32 v107, v107, v129
	v_cmp_ngt_f32_e32 vcc_lo, 0xc2ce8ed0, v10
	v_rndne_f32_e32 v153, v119
	v_cvt_i32_f32_e32 v133, v133
	v_sub_f32_e32 v112, v112, v139
	s_wait_alu 0xfffd
	v_dual_fmac_f32 v156, 0x32a5705f, v86 :: v_dual_cndmask_b32 v107, 0, v107
	v_exp_f32_e32 v110, v110
	v_ldexp_f32 v108, v108, v131
	v_cmp_ngt_f32_e32 vcc_lo, 0xc2ce8ed0, v11
	v_rndne_f32_e32 v147, v116
	v_fma_f32 v152, 0x3fb8aa3b, v96, -v119
	v_fma_f32 v158, 0x3fb8aa3b, v104, -v123
	v_rndne_f32_e32 v167, v127
	v_cvt_i32_f32_e32 v135, v135
	v_dual_fmac_f32 v140, 0x32a5705f, v98 :: v_dual_sub_f32 v119, v119, v153
	v_add_f32_e32 v112, v112, v138
	v_exp_f32_e32 v111, v111
	v_ldexp_f32 v109, v109, v133
	s_wait_alu 0xfffd
	v_cndmask_b32_e32 v108, 0, v108, vcc_lo
	v_cmp_ngt_f32_e32 vcc_lo, 0xc2ce8ed0, v12
	v_fma_f32 v146, 0x3fb8aa3b, v84, -v116
	v_rndne_f32_e32 v155, v121
	v_mul_f32_e32 v124, 0x3fb8aa3b, v105
	v_fma_f32 v166, 0x3fb8aa3b, v85, -v127
	v_cvt_i32_f32_e32 v137, v137
	s_wait_alu 0xfffd
	v_dual_fmac_f32 v158, 0x32a5705f, v104 :: v_dual_cndmask_b32 v109, 0, v109
	v_sub_f32_e32 v127, v127, v167
	v_dual_sub_f32 v116, v116, v147 :: v_dual_add_f32 v113, v113, v140
	v_exp_f32_e32 v112, v112
	v_ldexp_f32 v110, v110, v135
	v_cmp_ngt_f32_e32 vcc_lo, 0xc2ce8ed0, v15
	v_fma_f32 v154, 0x3fb8aa3b, v100, -v121
	v_cvt_i32_f32_e32 v139, v139
	v_sub_f32_e32 v121, v121, v155
	v_fma_f32 v160, 0x3fb8aa3b, v105, -v124
	v_exp_f32_e32 v113, v113
	v_ldexp_f32 v111, v111, v137
	s_wait_alu 0xfffd
	v_cndmask_b32_e32 v110, 0, v110, vcc_lo
	v_cmp_ngt_f32_e32 vcc_lo, 0xc2ce8ed0, v9
	v_cvt_i32_f32_e32 v141, v141
	v_fmac_f32_e32 v160, 0x32a5705f, v105
	v_ldexp_f32 v112, v112, v139
	s_wait_alu 0xfffd
	v_dual_add_f32 v114, v114, v142 :: v_dual_cndmask_b32 v111, 0, v111
	v_cmp_ngt_f32_e32 vcc_lo, 0xc2ce8ed0, v87
	v_ldexp_f32 v113, v113, v141
	v_rndne_f32_e32 v159, v123
	s_delay_alu instid0(VALU_DEP_4)
	v_exp_f32_e32 v114, v114
	v_mul_f32_e32 v126, 0x3fb8aa3b, v97
	s_wait_alu 0xfffd
	v_cndmask_b32_e32 v112, 0, v112, vcc_lo
	v_cmp_ngt_f32_e32 vcc_lo, 0xc2ce8ed0, v98
	v_fmac_f32_e32 v162, 0x32a5705f, v106
	v_rndne_f32_e32 v151, v118
	v_cvt_i32_f32_e32 v143, v143
	v_sub_f32_e32 v123, v123, v159
	s_wait_alu 0xfffd
	v_dual_cndmask_b32 v113, 0, v113 :: v_dual_fmac_f32 v154, 0x32a5705f, v100
	v_dual_add_f32 v125, v125, v162 :: v_dual_fmac_f32 v146, 0x32a5705f, v84
	v_exp_f32_e32 v115, v115
	v_cvt_i32_f32_e32 v145, v145
	s_delay_alu instid0(VALU_DEP_3)
	v_dual_add_f32 v121, v121, v154 :: v_dual_fmac_f32 v152, 0x32a5705f, v96
	v_add_f32_e32 v123, v123, v158
	v_add_f32_e32 v116, v116, v146
	v_sub_f32_e32 v118, v118, v151
	v_ldexp_f32 v114, v114, v143
	v_cmp_ngt_f32_e32 vcc_lo, 0xc2ce8ed0, v99
	v_rndne_f32_e32 v161, v124
	v_exp_f32_e32 v116, v116
	v_cvt_i32_f32_e32 v147, v147
	v_dual_add_f32 v119, v119, v152 :: v_dual_add_f32 v118, v118, v150
	v_ldexp_f32 v115, v115, v145
	s_wait_alu 0xfffd
	v_cndmask_b32_e32 v114, 0, v114, vcc_lo
	v_cmp_ngt_f32_e32 vcc_lo, 0xc2ce8ed0, v101
	v_rndne_f32_e32 v157, v122
	v_sub_f32_e32 v124, v124, v161
	v_exp_f32_e32 v118, v118
	v_ldexp_f32 v116, v116, v147
	s_wait_alu 0xfffd
	v_cndmask_b32_e32 v115, 0, v115, vcc_lo
	v_cmp_ngt_f32_e32 vcc_lo, 0xc2ce8ed0, v84
	v_cvt_i32_f32_e32 v151, v151
	v_fmac_f32_e32 v166, 0x32a5705f, v85
	v_sub_f32_e32 v122, v122, v157
	v_exp_f32_e32 v119, v119
	s_wait_alu 0xfffd
	v_cndmask_b32_e32 v116, 0, v116, vcc_lo
	v_cmp_ngt_f32_e32 vcc_lo, 0xc2ce8ed0, v102
	v_cvt_i32_f32_e32 v153, v153
	v_dual_add_f32 v127, v127, v166 :: v_dual_add_f32 v122, v122, v156
	v_exp_f32_e32 v121, v121
	v_ldexp_f32 v118, v118, v151
	s_wait_alu 0xfffd
	v_cndmask_b32_e32 v117, 0, v117, vcc_lo
	v_cmp_ngt_f32_e32 vcc_lo, 0xc2ce8ed0, v103
	v_fma_f32 v164, 0x3fb8aa3b, v97, -v126
	v_cvt_i32_f32_e32 v155, v155
	v_exp_f32_e32 v122, v122
	v_ldexp_f32 v119, v119, v153
	s_wait_alu 0xfffd
	v_cndmask_b32_e32 v118, 0, v118, vcc_lo
	v_cmp_ngt_f32_e32 vcc_lo, 0xc2ce8ed0, v96
	v_cvt_i32_f32_e32 v157, v157
	v_fmac_f32_e32 v164, 0x32a5705f, v97
	v_exp_f32_e32 v123, v123
	v_ldexp_f32 v121, v121, v155
	s_wait_alu 0xfffd
	v_cndmask_b32_e32 v119, 0, v119, vcc_lo
	v_cmp_ngt_f32_e32 vcc_lo, 0xc2ce8ed0, v100
	v_rndne_f32_e32 v165, v126
	v_cvt_i32_f32_e32 v159, v159
	v_add_f32_e32 v124, v124, v160
	v_ldexp_f32 v122, v122, v157
	s_wait_alu 0xfffd
	v_cndmask_b32_e32 v121, 0, v121, vcc_lo
	v_cmp_ngt_f32_e32 vcc_lo, 0xc2ce8ed0, v86
	v_ldexp_f32 v123, v123, v159
	v_exp_f32_e32 v124, v124
	v_cvt_i32_f32_e32 v161, v161
	v_exp_f32_e32 v125, v125
	s_wait_alu 0xfffd
	v_cndmask_b32_e32 v122, 0, v122, vcc_lo
	v_cmp_ngt_f32_e32 vcc_lo, 0xc2ce8ed0, v104
	v_sub_f32_e32 v126, v126, v165
	v_cvt_i32_f32_e32 v163, v163
	v_cvt_i32_f32_e32 v165, v165
	v_exp_f32_e32 v127, v127
	s_wait_alu 0xfffd
	v_dual_cndmask_b32 v123, 0, v123 :: v_dual_add_f32 v126, v126, v164
	v_ldexp_f32 v124, v124, v161
	v_cmp_ngt_f32_e32 vcc_lo, 0xc2ce8ed0, v105
	v_ldexp_f32 v125, v125, v163
	v_cvt_i32_f32_e32 v167, v167
	v_exp_f32_e32 v126, v126
	s_wait_alu 0xfffd
	v_cndmask_b32_e32 v124, 0, v124, vcc_lo
	v_cmp_ngt_f32_e32 vcc_lo, 0xc2ce8ed0, v106
	v_ldexp_f32 v127, v127, v167
	s_wait_alu 0xfffd
	v_cndmask_b32_e32 v125, 0, v125, vcc_lo
	v_cmp_ngt_f32_e32 vcc_lo, 0xc2ce8ed0, v97
	s_delay_alu instid0(TRANS32_DEP_1) | instskip(SKIP_1) | instid1(VALU_DEP_1)
	v_ldexp_f32 v126, v126, v165
	s_wait_alu 0xfffd
	v_cndmask_b32_e32 v126, 0, v126, vcc_lo
	v_cmp_ngt_f32_e32 vcc_lo, 0xc2ce8ed0, v85
	s_wait_alu 0xfffd
	v_cndmask_b32_e32 v127, 0, v127, vcc_lo
	v_cmp_nlt_f32_e32 vcc_lo, 0x42b17218, v10
	s_wait_alu 0xfffd
	v_cndmask_b32_e32 v10, 0x7f800000, v107, vcc_lo
	v_cmp_nlt_f32_e32 vcc_lo, 0x42b17218, v11
	;; [unrolled: 3-line block ×7, first 2 shown]
	s_delay_alu instid0(VALU_DEP_2) | instskip(SKIP_4) | instid1(VALU_DEP_2)
	v_cvt_f16_f32_e32 v107, v9
	s_wait_alu 0xfffd
	v_cndmask_b32_e32 v87, 0x7f800000, v113, vcc_lo
	v_cmp_nlt_f32_e32 vcc_lo, 0x42b17218, v99
	s_wait_alu 0xfffd
	v_dual_add_f32 v9, v9, v87 :: v_dual_cndmask_b32 v98, 0x7f800000, v114
	v_cmp_nlt_f32_e32 vcc_lo, 0x42b17218, v101
	v_cvt_f16_f32_e32 v108, v87
	s_delay_alu instid0(VALU_DEP_3) | instskip(SKIP_4) | instid1(VALU_DEP_3)
	v_add_f32_e32 v9, v98, v9
	s_wait_alu 0xfffd
	v_cndmask_b32_e32 v101, 0x7f800000, v115, vcc_lo
	v_cmp_nlt_f32_e32 vcc_lo, 0x42b17218, v84
	v_cvt_f16_f32_e32 v109, v98
	v_cvt_f16_f32_e32 v110, v101
	s_wait_alu 0xfffd
	v_cndmask_b32_e32 v116, 0x7f800000, v116, vcc_lo
	v_cmp_nlt_f32_e32 vcc_lo, 0x42b17218, v102
	s_delay_alu instid0(VALU_DEP_2) | instskip(SKIP_3) | instid1(VALU_DEP_2)
	v_cvt_f16_f32_e32 v87, v116
	s_wait_alu 0xfffd
	v_cndmask_b32_e32 v84, 0x7f800000, v117, vcc_lo
	v_cmp_nlt_f32_e32 vcc_lo, 0x42b17218, v103
	v_cvt_f16_f32_e32 v111, v84
	s_wait_alu 0xfffd
	v_cndmask_b32_e32 v99, 0x7f800000, v118, vcc_lo
	v_cmp_nlt_f32_e32 vcc_lo, 0x42b17218, v96
	s_delay_alu instid0(VALU_DEP_2) | instskip(SKIP_4) | instid1(VALU_DEP_3)
	v_add_f32_e32 v84, v84, v99
	s_wait_alu 0xfffd
	v_cndmask_b32_e32 v96, 0x7f800000, v119, vcc_lo
	v_cmp_nlt_f32_e32 vcc_lo, 0x42b17218, v100
	v_cvt_f16_f32_e32 v99, v99
	v_cvt_f16_f32_e32 v112, v96
	s_wait_alu 0xfffd
	v_cndmask_b32_e32 v100, 0x7f800000, v121, vcc_lo
	v_cmp_nlt_f32_e32 vcc_lo, 0x42b17218, v86
	s_delay_alu instid0(VALU_DEP_2)
	v_cvt_f16_f32_e32 v113, v100
	s_wait_alu 0xfffd
	v_cndmask_b32_e32 v117, 0x7f800000, v122, vcc_lo
	v_cmp_nlt_f32_e32 vcc_lo, 0x42b17218, v104
	s_wait_alu 0xfffd
	v_cndmask_b32_e32 v86, 0x7f800000, v123, vcc_lo
	v_cmp_nlt_f32_e32 vcc_lo, 0x42b17218, v105
	v_cvt_f16_f32_e32 v105, v12
	s_delay_alu instid0(VALU_DEP_3)
	v_cvt_f16_f32_e32 v115, v86
	s_wait_alu 0xfffd
	v_cndmask_b32_e32 v102, 0x7f800000, v124, vcc_lo
	v_cmp_nlt_f32_e32 vcc_lo, 0x42b17218, v106
	v_cvt_f16_f32_e32 v106, v15
	v_and_b32_e32 v124, 0xffff, v87
	s_wait_alu 0xfffd
	v_dual_add_f32 v86, v86, v102 :: v_dual_cndmask_b32 v103, 0x7f800000, v125
	v_cmp_nlt_f32_e32 vcc_lo, 0x42b17218, v97
	v_cvt_f16_f32_e32 v97, v10
	v_add_f32_e32 v10, v10, v11
	v_cvt_f16_f32_e32 v11, v11
	v_cvt_f16_f32_e32 v119, v103
	v_add_f32_e32 v103, v103, v86
	v_cvt_f16_f32_e32 v114, v117
	v_cvt_f16_f32_e32 v102, v102
	v_pack_b32_f16 v86, v11, v108
	v_dual_add_f32 v11, v101, v9 :: v_dual_add_f32 v10, v12, v10
	s_delay_alu instid0(VALU_DEP_4) | instskip(SKIP_2) | instid1(VALU_DEP_3)
	v_dual_add_f32 v125, v96, v84 :: v_dual_and_b32 v114, 0xffff, v114
	v_pack_b32_f16 v84, v97, v107
	s_wait_alu 0xfffd
	v_dual_fmac_f32 v11, v82, v116 :: v_dual_cndmask_b32 v104, 0x7f800000, v126
	v_cmp_nlt_f32_e32 vcc_lo, 0x42b17218, v85
	v_cvt_f16_f32_e64 v85, v128
	v_pack_b32_f16 v87, v99, v102
	v_pack_b32_f16 v97, v112, v119
	v_cvt_f16_f32_e32 v121, v104
	v_pack_b32_f16 v96, v105, v109
	v_and_b32_e32 v123, 0xffff, v85
	v_pack_b32_f16 v85, v111, v115
	v_pack_b32_f16 v98, v106, v110
	;; [unrolled: 1-line block ×3, first 2 shown]
	v_add_f32_e32 v12, v15, v10
	v_add_f32_e32 v10, v100, v125
	v_mul_u32_u24_e32 v121, 0x10001, v114
	v_add_f32_e32 v9, v104, v103
	ds_store_2addr_b64 v120, v[84:85], v[86:87] offset1:32
	ds_store_2addr_b64 v120, v[96:97], v[98:99] offset0:64 offset1:96
	s_wait_loadcnt 0x1
	ds_store_b128 v44, v[88:91]
	s_wait_loadcnt 0x0
	ds_store_b128 v45, v[92:95]
	s_wait_dscnt 0x0
	s_barrier_signal -1
	s_barrier_wait -1
	global_inv scope:SCOPE_SE
	ds_load_2addr_b64 v[84:87], v14 offset1:32
	ds_load_2addr_b64 v[88:91], v14 offset0:64 offset1:96
	ds_load_b128 v[92:95], v41
	ds_load_b128 v[96:99], v41 offset:16
	ds_load_b128 v[100:103], v41 offset:32
	;; [unrolled: 1-line block ×3, first 2 shown]
	ds_load_2addr_b64 v[108:111], v14 offset0:128 offset1:160
	ds_load_2addr_b64 v[112:115], v14 offset0:192 offset1:224
	s_wait_alu 0xfffd
	v_cndmask_b32_e32 v118, 0x7f800000, v127, vcc_lo
	v_fmac_f32_e32 v12, v83, v128
	v_mul_u32_u24_e32 v15, 0x10001, v123
	v_mul_u32_u24_e32 v119, 0x10001, v124
	v_fmac_f32_e32 v10, v81, v117
	v_cvt_f16_f32_e32 v122, v118
	v_fmac_f32_e32 v9, v80, v118
	v_pk_mul_f16 v77, v77, v15
	v_pk_mul_f16 v70, v70, v119
	v_pk_mul_f16 v67, v67, v119
	v_and_b32_e32 v122, 0xffff, v122
	v_pk_mul_f16 v69, v69, v119
	v_pk_mul_f16 v66, v66, v119
	;; [unrolled: 1-line block ×3, first 2 shown]
	s_wait_dscnt 0x5
	v_lshrrev_b32_e32 v80, 16, v92
	v_and_b32_e32 v83, 0xffff, v93
	v_mul_u32_u24_e32 v122, 0x10001, v122
	v_lshrrev_b32_e32 v81, 16, v93
	v_and_b32_e32 v82, 0xffff, v92
	v_mul_u32_u24_e32 v80, 0x10001, v80
	v_mul_u32_u24_e32 v83, 0x10001, v83
	v_pk_mul_f16 v64, v64, v119
	v_pk_mul_f16 v65, v65, v119
	;; [unrolled: 1-line block ×7, first 2 shown]
	v_lshrrev_b32_e32 v92, 16, v94
	v_lshrrev_b32_e32 v93, 16, v95
	v_and_b32_e32 v94, 0xffff, v94
	v_and_b32_e32 v95, 0xffff, v95
	v_mul_u32_u24_e32 v82, 0x10001, v82
	v_mul_u32_u24_e32 v81, 0x10001, v81
	v_pk_mul_f16 v117, v84, v80
	v_pk_mul_f16 v118, v84, v83
	v_pk_mul_f16 v75, v75, v15
	v_pk_mul_f16 v78, v78, v15
	v_pk_mul_f16 v74, v74, v15
	v_pk_mul_f16 v76, v76, v15
	v_pk_mul_f16 v72, v72, v15
	v_pk_mul_f16 v73, v73, v15
	v_pk_mul_f16 v62, v62, v121
	v_pk_mul_f16 v59, v59, v121
	v_pk_mul_f16 v61, v61, v121
	v_pk_mul_f16 v58, v58, v121
	v_pk_mul_f16 v60, v60, v121
	v_pk_mul_f16 v56, v56, v121
	v_pk_mul_f16 v57, v57, v121
	v_pk_mul_f16 v54, v54, v122
	v_pk_mul_f16 v52, v52, v122
	v_pk_mul_f16 v51, v51, v122
	v_mul_u32_u24_e32 v94, 0x10001, v94
	v_mul_u32_u24_e32 v92, 0x10001, v92
	;; [unrolled: 1-line block ×4, first 2 shown]
	v_pk_mul_f16 v116, v84, v82
	v_pk_fma_f16 v53, v84, v81, v53
	v_pk_fma_f16 v77, v85, v82, v77
	;; [unrolled: 1-line block ×31, first 2 shown]
	s_wait_dscnt 0x1
	v_pk_fma_f16 v63, v109, v94, v77
	v_pk_fma_f16 v77, v110, v93, v50
	s_wait_dscnt 0x0
	v_pk_fma_f16 v82, v112, v93, v49
	v_pk_fma_f16 v83, v108, v92, v47
	;; [unrolled: 1-line block ×3, first 2 shown]
	ds_load_2addr_b64 v[47:50], v13 offset1:32
	v_pk_fma_f16 v15, v71, v15, v116
	v_pk_fma_f16 v55, v108, v93, v53
	;; [unrolled: 1-line block ×5, first 2 shown]
	ds_load_2addr_b64 v[51:54], v13 offset0:64 offset1:96
	v_and_b32_e32 v87, 0xffff, v96
	v_lshrrev_b32_e32 v88, 16, v96
	v_and_b32_e32 v89, 0xffff, v97
	v_lshrrev_b32_e32 v90, 16, v97
	v_pk_fma_f16 v70, v109, v92, v70
	v_pk_fma_f16 v62, v109, v95, v62
	;; [unrolled: 1-line block ×9, first 2 shown]
	v_mul_u32_u24_e32 v87, 0x10001, v87
	v_mul_u32_u24_e32 v88, 0x10001, v88
	;; [unrolled: 1-line block ×4, first 2 shown]
	v_pk_fma_f16 v74, v112, v94, v74
	v_pk_fma_f16 v66, v112, v92, v66
	;; [unrolled: 1-line block ×8, first 2 shown]
	s_wait_dscnt 0x1
	v_pk_fma_f16 v15, v47, v87, v15
	v_pk_fma_f16 v83, v47, v88, v83
	;; [unrolled: 1-line block ×16, first 2 shown]
	ds_load_2addr_b64 v[47:50], v13 offset0:128 offset1:160
	v_pk_fma_f16 v68, v113, v92, v68
	v_pk_fma_f16 v60, v113, v95, v60
	;; [unrolled: 1-line block ×5, first 2 shown]
	s_wait_dscnt 0x1
	v_pk_fma_f16 v74, v51, v87, v74
	v_pk_fma_f16 v66, v51, v88, v66
	v_pk_fma_f16 v92, v51, v89, v58
	v_pk_fma_f16 v51, v51, v90, v82
	v_pk_fma_f16 v76, v52, v87, v76
	v_pk_fma_f16 v82, v52, v90, v86
	v_pk_fma_f16 v72, v53, v87, v72
	v_pk_fma_f16 v86, v53, v89, v56
	v_pk_fma_f16 v73, v54, v87, v73
	v_pk_fma_f16 v87, v54, v89, v57
	ds_load_2addr_b64 v[55:58], v13 offset0:192 offset1:224
	v_pk_fma_f16 v68, v52, v88, v68
	v_pk_fma_f16 v60, v52, v89, v60
	;; [unrolled: 1-line block ×5, first 2 shown]
	v_and_b32_e32 v52, 0xffff, v98
	v_lshrrev_b32_e32 v53, 16, v98
	v_and_b32_e32 v88, 0xffff, v99
	v_lshrrev_b32_e32 v89, 16, v99
	v_pk_fma_f16 v80, v115, v93, v80
	v_mul_u32_u24_e32 v93, 0x10001, v52
	v_mul_u32_u24_e32 v94, 0x10001, v53
	;; [unrolled: 1-line block ×4, first 2 shown]
	v_pk_fma_f16 v80, v54, v90, v80
	s_wait_dscnt 0x1
	v_pk_fma_f16 v63, v48, v93, v63
	v_pk_fma_f16 v70, v48, v94, v70
	;; [unrolled: 1-line block ×12, first 2 shown]
	v_add_nc_u32_e32 v50, 0xa000, v33
	v_pk_fma_f16 v15, v47, v93, v15
	v_pk_fma_f16 v83, v47, v94, v83
	;; [unrolled: 1-line block ×4, first 2 shown]
	s_wait_dscnt 0x0
	v_pk_fma_f16 v74, v55, v93, v74
	v_pk_fma_f16 v66, v55, v94, v66
	;; [unrolled: 1-line block ×4, first 2 shown]
	ds_load_2addr_b64 v[51:54], v50 offset1:32
	v_pk_fma_f16 v92, v56, v88, v60
	ds_load_2addr_b64 v[59:62], v50 offset0:64 offset1:96
	v_pk_fma_f16 v76, v56, v93, v76
	v_pk_fma_f16 v68, v56, v94, v68
	;; [unrolled: 1-line block ×9, first 2 shown]
	v_and_b32_e32 v86, 0xffff, v100
	v_lshrrev_b32_e32 v87, 16, v100
	v_and_b32_e32 v88, 0xffff, v101
	v_lshrrev_b32_e32 v93, 16, v101
	v_pk_fma_f16 v80, v58, v89, v80
	v_mul_u32_u24_e32 v86, 0x10001, v86
	v_mul_u32_u24_e32 v87, 0x10001, v87
	;; [unrolled: 1-line block ×4, first 2 shown]
	v_pk_fma_f16 v65, v58, v94, v65
	s_wait_dscnt 0x1
	v_pk_fma_f16 v15, v51, v86, v15
	v_pk_fma_f16 v83, v51, v87, v83
	;; [unrolled: 1-line block ×16, first 2 shown]
	ds_load_2addr_b64 v[51:54], v50 offset0:128 offset1:160
	s_wait_dscnt 0x1
	v_pk_fma_f16 v74, v59, v86, v74
	v_pk_fma_f16 v66, v59, v87, v66
	;; [unrolled: 1-line block ×12, first 2 shown]
	ds_load_2addr_b64 v[55:58], v50 offset0:192 offset1:224
	v_pk_fma_f16 v73, v62, v86, v73
	v_pk_fma_f16 v65, v62, v87, v65
	;; [unrolled: 1-line block ×3, first 2 shown]
	v_and_b32_e32 v86, 0xffff, v102
	v_lshrrev_b32_e32 v87, 16, v102
	v_and_b32_e32 v88, 0xffff, v103
	v_lshrrev_b32_e32 v92, 16, v103
	v_pk_fma_f16 v80, v62, v93, v80
	v_mul_u32_u24_e32 v86, 0x10001, v86
	v_mul_u32_u24_e32 v87, 0x10001, v87
	;; [unrolled: 1-line block ×4, first 2 shown]
	v_lshrrev_b32_e32 v94, 16, v105
	s_wait_dscnt 0x1
	v_pk_fma_f16 v15, v51, v86, v15
	v_pk_fma_f16 v83, v51, v87, v83
	;; [unrolled: 1-line block ×4, first 2 shown]
	v_add_nc_u32_e32 v51, 0xa800, v33
	v_pk_fma_f16 v63, v52, v86, v63
	v_pk_fma_f16 v70, v52, v87, v70
	;; [unrolled: 1-line block ×12, first 2 shown]
	s_wait_dscnt 0x0
	v_pk_fma_f16 v74, v55, v86, v74
	v_pk_fma_f16 v66, v55, v87, v66
	;; [unrolled: 1-line block ×4, first 2 shown]
	ds_load_2addr_b64 v[52:55], v51 offset1:32
	v_pk_fma_f16 v76, v56, v86, v76
	v_pk_fma_f16 v68, v56, v87, v68
	v_pk_fma_f16 v91, v56, v88, v91
	v_pk_fma_f16 v56, v56, v92, v60
	v_pk_fma_f16 v72, v57, v86, v72
	v_pk_fma_f16 v64, v57, v87, v64
	v_pk_fma_f16 v82, v57, v88, v82
	v_pk_fma_f16 v57, v57, v92, v61
	v_pk_fma_f16 v73, v58, v86, v73
	v_pk_fma_f16 v65, v58, v87, v65
	v_pk_fma_f16 v84, v58, v88, v84
	v_and_b32_e32 v86, 0xffff, v104
	v_lshrrev_b32_e32 v87, 16, v104
	v_and_b32_e32 v88, 0xffff, v105
	ds_load_2addr_b64 v[59:62], v51 offset0:64 offset1:96
	v_mul_u32_u24_e32 v94, 0x10001, v94
	v_mul_u32_u24_e32 v86, 0x10001, v86
	v_mul_u32_u24_e32 v87, 0x10001, v87
	v_mul_u32_u24_e32 v88, 0x10001, v88
	v_pk_fma_f16 v80, v58, v92, v80
	s_wait_dscnt 0x1
	v_pk_fma_f16 v47, v52, v94, v47
	v_pk_fma_f16 v15, v52, v86, v15
	v_pk_fma_f16 v83, v52, v87, v83
	v_pk_fma_f16 v85, v52, v88, v85
	v_pk_fma_f16 v63, v53, v86, v63
	v_pk_fma_f16 v70, v53, v87, v70
	v_pk_fma_f16 v89, v53, v88, v89
	v_pk_fma_f16 v48, v53, v94, v48
	v_pk_fma_f16 v71, v54, v86, v71
	v_pk_fma_f16 v67, v54, v87, v67
	v_pk_fma_f16 v75, v54, v88, v75
	v_pk_fma_f16 v49, v54, v94, v49
	v_pk_fma_f16 v77, v55, v86, v77
	v_pk_fma_f16 v69, v55, v87, v69
	v_pk_fma_f16 v78, v55, v88, v78
	v_pk_fma_f16 v81, v55, v94, v81
	ds_load_2addr_b64 v[52:55], v51 offset0:128 offset1:160
	s_wait_dscnt 0x1
	v_pk_fma_f16 v74, v59, v86, v74
	v_pk_fma_f16 v66, v59, v87, v66
	v_pk_fma_f16 v90, v59, v88, v90
	v_pk_fma_f16 v156, v59, v94, v93
	v_pk_fma_f16 v157, v60, v86, v76
	v_pk_fma_f16 v158, v60, v87, v68
	v_pk_fma_f16 v159, v60, v88, v91
	v_pk_fma_f16 v160, v60, v94, v56
	v_pk_fma_f16 v164, v61, v94, v57
	v_and_b32_e32 v60, 0xffff, v106
	ds_load_2addr_b64 v[56:59], v51 offset0:192 offset1:224
	v_pk_fma_f16 v166, v62, v87, v65
	v_lshrrev_b32_e32 v65, 16, v107
	s_wait_alu 0xfffe
	v_add_co_u32 v76, vcc_lo, s26, v27
	v_mul_u32_u24_e32 v168, 0x10001, v60
	v_pk_fma_f16 v161, v61, v86, v72
	v_pk_fma_f16 v162, v61, v87, v64
	;; [unrolled: 1-line block ×3, first 2 shown]
	v_lshrrev_b32_e32 v61, 16, v106
	v_and_b32_e32 v64, 0xffff, v107
	v_mul_u32_u24_e32 v171, 0x10001, v65
	s_wait_dscnt 0x1
	v_pk_fma_f16 v185, v55, v168, v77
	s_wait_alu 0xfffd
	v_add_co_ci_u32_e64 v77, null, s27, v28, vcc_lo
	v_add_co_u32 v140, vcc_lo, s26, v29
	s_wait_alu 0xfffd
	v_add_co_ci_u32_e64 v141, null, s27, v30, vcc_lo
	v_add_co_u32 v76, vcc_lo, v76, v79
	v_mul_u32_u24_e32 v169, 0x10001, v61
	v_mul_u32_u24_e32 v170, 0x10001, v64
	v_pk_fma_f16 v173, v52, v168, v15
	v_pk_fma_f16 v176, v52, v171, v47
	;; [unrolled: 1-line block ×3, first 2 shown]
	v_add_nc_u32_e32 v49, 0xb000, v33
	v_add_nc_u32_e32 v47, 0xc000, v33
	;; [unrolled: 1-line block ×3, first 2 shown]
	s_wait_alu 0xfffd
	v_add_co_ci_u32_e64 v77, null, 0, v77, vcc_lo
	v_add_co_u32 v152, vcc_lo, v140, v79
	v_pk_fma_f16 v180, v53, v171, v48
	v_add_nc_u32_e32 v48, 0xb800, v33
	s_wait_alu 0xfffd
	v_add_co_ci_u32_e64 v153, null, 0, v141, vcc_lo
	v_pk_fma_f16 v165, v62, v86, v73
	v_pk_fma_f16 v167, v62, v88, v84
	;; [unrolled: 1-line block ×14, first 2 shown]
	s_wait_dscnt 0x0
	v_pk_fma_f16 v188, v56, v168, v74
	v_pk_fma_f16 v189, v56, v169, v66
	;; [unrolled: 1-line block ×3, first 2 shown]
	ds_load_2addr_b64 v[52:55], v49 offset1:32
	ds_load_2addr_b64 v[60:63], v49 offset0:64 offset1:96
	ds_load_2addr_b64 v[64:67], v49 offset0:128 offset1:160
	;; [unrolled: 1-line block ×3, first 2 shown]
	ds_load_2addr_b64 v[72:75], v48 offset1:32
	ds_load_2addr_b64 v[80:83], v48 offset0:64 offset1:96
	ds_load_b128 v[84:87], v41 offset:64
	ds_load_b128 v[88:91], v41 offset:80
	ds_load_2addr_b64 v[92:95], v48 offset0:128 offset1:160
	ds_load_2addr_b64 v[96:99], v48 offset0:192 offset1:224
	ds_load_2addr_b64 v[100:103], v47 offset1:32
	ds_load_2addr_b64 v[104:107], v47 offset0:64 offset1:96
	ds_load_2addr_b64 v[108:111], v47 offset0:128 offset1:160
	ds_load_2addr_b64 v[112:115], v47 offset0:192 offset1:224
	ds_load_2addr_b64 v[116:119], v15 offset1:32
	ds_load_2addr_b64 v[120:123], v15 offset0:64 offset1:96
	ds_load_b128 v[124:127], v41 offset:96
	ds_load_b128 v[128:131], v41 offset:112
	ds_load_2addr_b64 v[132:135], v15 offset0:128 offset1:160
	ds_load_2addr_b64 v[136:139], v15 offset0:192 offset1:224
	s_wait_loadcnt_dscnt 0x0
	s_barrier_signal -1
	s_barrier_wait -1
	global_inv scope:SCOPE_SE
	s_clause 0x3
	global_load_b128 v[140:143], v[76:77], off
	global_load_b128 v[144:147], v[76:77], off offset:512
	global_load_b128 v[148:151], v[152:153], off
	global_load_b128 v[152:155], v[152:153], off offset:512
	v_pk_fma_f16 v56, v56, v171, v156
	v_pk_fma_f16 v77, v57, v169, v158
	;; [unrolled: 1-line block ×6, first 2 shown]
	v_and_b32_e32 v162, 0xffff, v84
	v_lshrrev_b32_e32 v84, 16, v84
	v_and_b32_e32 v163, 0xffff, v85
	v_lshrrev_b32_e32 v85, 16, v85
	v_pk_fma_f16 v57, v57, v171, v160
	v_pk_fma_f16 v157, v58, v168, v161
	v_mul_u32_u24_e32 v162, 0x10001, v162
	v_mul_u32_u24_e32 v84, 0x10001, v84
	;; [unrolled: 1-line block ×4, first 2 shown]
	v_pk_fma_f16 v58, v58, v171, v164
	v_pk_fma_f16 v160, v59, v168, v165
	v_pk_fma_f16 v161, v59, v169, v166
	v_pk_fma_f16 v164, v59, v170, v167
	v_pk_fma_f16 v165, v52, v162, v173
	v_pk_fma_f16 v166, v52, v84, v174
	v_pk_fma_f16 v167, v52, v163, v175
	v_pk_fma_f16 v52, v52, v85, v176
	v_pk_fma_f16 v168, v53, v162, v177
	v_pk_fma_f16 v169, v53, v84, v178
	v_pk_fma_f16 v176, v60, v162, v188
	v_pk_fma_f16 v177, v60, v84, v189
	v_pk_fma_f16 v178, v60, v163, v190
	v_pk_fma_f16 v56, v60, v85, v56
	v_pk_fma_f16 v60, v61, v162, v76
	v_pk_fma_f16 v76, v61, v84, v77
	v_pk_fma_f16 v77, v61, v163, v156
	v_pk_fma_f16 v57, v61, v85, v57
	v_pk_fma_f16 v61, v62, v162, v157
	v_pk_fma_f16 v156, v62, v84, v158
	v_pk_fma_f16 v157, v62, v163, v159
	v_and_b32_e32 v158, 0xffff, v86
	v_lshrrev_b32_e32 v86, 16, v86
	v_and_b32_e32 v159, 0xffff, v87
	v_lshrrev_b32_e32 v87, 16, v87
	v_pk_fma_f16 v59, v59, v171, v172
	v_pk_fma_f16 v170, v53, v163, v179
	;; [unrolled: 1-line block ×13, first 2 shown]
	v_mul_u32_u24_e32 v158, 0x10001, v158
	v_mul_u32_u24_e32 v86, 0x10001, v86
	;; [unrolled: 1-line block ×4, first 2 shown]
	v_pk_fma_f16 v62, v63, v162, v160
	v_pk_fma_f16 v160, v63, v163, v164
	;; [unrolled: 1-line block ×32, first 2 shown]
	v_and_b32_e32 v84, 0xffff, v88
	v_lshrrev_b32_e32 v86, 16, v88
	v_and_b32_e32 v88, 0xffff, v89
	v_lshrrev_b32_e32 v89, 16, v89
	v_pk_fma_f16 v62, v71, v158, v62
	v_mul_u32_u24_e32 v84, 0x10001, v84
	v_mul_u32_u24_e32 v86, 0x10001, v86
	;; [unrolled: 1-line block ×4, first 2 shown]
	v_pk_fma_f16 v156, v71, v159, v160
	v_pk_fma_f16 v60, v81, v84, v60
	;; [unrolled: 1-line block ×5, first 2 shown]
	v_lshrrev_b32_e32 v81, 16, v90
	v_pk_fma_f16 v59, v71, v87, v59
	v_pk_fma_f16 v63, v72, v84, v63
	;; [unrolled: 1-line block ×20, first 2 shown]
	v_mul_u32_u24_e32 v81, 0x10001, v81
	v_pk_fma_f16 v67, v80, v84, v67
	v_pk_fma_f16 v158, v80, v88, v168
	;; [unrolled: 1-line block ×12, first 2 shown]
	v_lshrrev_b32_e32 v81, 16, v124
	v_pk_fma_f16 v77, v82, v88, v77
	v_pk_fma_f16 v58, v82, v89, v58
	v_and_b32_e32 v80, 0xffff, v90
	v_and_b32_e32 v82, 0xffff, v91
	v_mul_u32_u24_e32 v81, 0x10001, v81
	v_pk_fma_f16 v62, v83, v84, v62
	v_lshrrev_b32_e32 v84, 16, v91
	v_pk_fma_f16 v86, v83, v88, v156
	v_mul_u32_u24_e32 v80, 0x10001, v80
	v_mul_u32_u24_e32 v82, 0x10001, v82
	v_pk_fma_f16 v59, v83, v89, v59
	v_and_b32_e32 v89, 0xffff, v125
	v_pk_fma_f16 v71, v100, v81, v71
	v_pk_fma_f16 v72, v101, v81, v72
	;; [unrolled: 1-line block ×8, first 2 shown]
	v_lshrrev_b32_e32 v81, 16, v126
	v_mul_u32_u24_e32 v84, 0x10001, v84
	v_pk_fma_f16 v63, v92, v80, v63
	v_pk_fma_f16 v83, v92, v82, v85
	v_pk_fma_f16 v64, v93, v80, v64
	v_pk_fma_f16 v85, v93, v82, v87
	v_pk_fma_f16 v65, v94, v80, v65
	v_pk_fma_f16 v87, v94, v82, v157
	v_pk_fma_f16 v66, v95, v80, v66
	v_pk_fma_f16 v78, v95, v82, v78
	v_pk_fma_f16 v67, v96, v80, v67
	v_pk_fma_f16 v88, v96, v82, v158
	v_pk_fma_f16 v60, v97, v80, v60
	v_pk_fma_f16 v76, v97, v82, v76
	v_pk_fma_f16 v61, v98, v80, v61
	v_pk_fma_f16 v77, v98, v82, v77
	v_pk_fma_f16 v62, v99, v80, v62
	v_and_b32_e32 v80, 0xffff, v124
	v_lshrrev_b32_e32 v90, 16, v125
	v_pk_fma_f16 v82, v99, v82, v86
	v_mul_u32_u24_e32 v86, 0x10001, v89
	v_mul_u32_u24_e32 v81, 0x10001, v81
	v_pk_fma_f16 v52, v92, v84, v52
	v_pk_fma_f16 v53, v93, v84, v53
	;; [unrolled: 1-line block ×7, first 2 shown]
	v_mul_u32_u24_e32 v80, 0x10001, v80
	v_mul_u32_u24_e32 v89, 0x10001, v90
	v_pk_fma_f16 v59, v99, v84, v59
	v_pk_fma_f16 v84, v101, v86, v85
	;; [unrolled: 1-line block ×4, first 2 shown]
	v_and_b32_e32 v88, 0xffff, v127
	v_lshrrev_b32_e32 v90, 16, v127
	v_pk_fma_f16 v71, v108, v81, v71
	v_pk_fma_f16 v72, v109, v81, v72
	;; [unrolled: 1-line block ×8, first 2 shown]
	v_lshrrev_b32_e32 v81, 16, v128
	v_pk_fma_f16 v63, v100, v80, v63
	v_pk_fma_f16 v83, v100, v86, v83
	;; [unrolled: 1-line block ×19, first 2 shown]
	v_and_b32_e32 v80, 0xffff, v126
	v_pk_fma_f16 v82, v107, v86, v82
	v_mul_u32_u24_e32 v86, 0x10001, v88
	v_mul_u32_u24_e32 v88, 0x10001, v90
	v_pk_fma_f16 v59, v107, v89, v59
	v_and_b32_e32 v89, 0xffff, v129
	v_lshrrev_b32_e32 v90, 16, v129
	v_mul_u32_u24_e32 v81, 0x10001, v81
	v_mul_u32_u24_e32 v80, 0x10001, v80
	v_pk_fma_f16 v83, v108, v86, v83
	v_pk_fma_f16 v52, v108, v88, v52
	;; [unrolled: 1-line block ×12, first 2 shown]
	v_mul_u32_u24_e32 v86, 0x10001, v89
	v_mul_u32_u24_e32 v89, 0x10001, v90
	v_pk_fma_f16 v71, v116, v81, v71
	v_pk_fma_f16 v72, v117, v81, v72
	;; [unrolled: 1-line block ×8, first 2 shown]
	v_lshrrev_b32_e32 v81, 16, v131
	v_pk_fma_f16 v63, v108, v80, v63
	v_pk_fma_f16 v64, v109, v80, v64
	;; [unrolled: 1-line block ×11, first 2 shown]
	v_and_b32_e32 v80, 0xffff, v128
	v_pk_fma_f16 v59, v115, v88, v59
	v_pk_fma_f16 v52, v116, v89, v52
	;; [unrolled: 1-line block ×5, first 2 shown]
	v_and_b32_e32 v55, 0xffff, v130
	v_mul_u32_u24_e32 v81, 0x10001, v81
	v_mul_u32_u24_e32 v80, 0x10001, v80
	v_pk_fma_f16 v83, v116, v86, v83
	v_pk_fma_f16 v84, v117, v86, v84
	;; [unrolled: 1-line block ×8, first 2 shown]
	v_mul_u32_u24_e32 v86, 0x10001, v55
	v_pk_fma_f16 v94, v132, v81, v52
	v_pk_fma_f16 v97, v133, v81, v53
	;; [unrolled: 1-line block ×3, first 2 shown]
	s_wait_loadcnt 0x3
	ds_store_b128 v42, v[140:143]
	s_wait_loadcnt 0x2
	ds_store_b128 v43, v[144:147]
	;; [unrolled: 2-line block ×4, first 2 shown]
	s_wait_dscnt 0x0
	s_barrier_signal -1
	s_barrier_wait -1
	global_inv scope:SCOPE_SE
	ds_load_b128 v[52:55], v41 offset:128
	v_pk_fma_f16 v64, v117, v80, v64
	v_pk_fma_f16 v65, v118, v80, v65
	;; [unrolled: 1-line block ×7, first 2 shown]
	v_lshrrev_b32_e32 v58, 16, v130
	v_pk_fma_f16 v89, v123, v89, v59
	v_pk_fma_f16 v95, v133, v86, v64
	;; [unrolled: 1-line block ×4, first 2 shown]
	v_mul_u32_u24_e32 v91, 0x10001, v58
	v_pk_fma_f16 v103, v136, v86, v67
	v_pk_fma_f16 v105, v136, v81, v56
	;; [unrolled: 1-line block ×3, first 2 shown]
	ds_load_2addr_b64 v[56:59], v14 offset1:32
	ds_load_2addr_b64 v[64:67], v14 offset0:64 offset1:96
	v_pk_fma_f16 v63, v116, v80, v63
	v_pk_fma_f16 v60, v121, v80, v60
	;; [unrolled: 1-line block ×4, first 2 shown]
	v_and_b32_e32 v80, 0xffff, v131
	v_pk_fma_f16 v92, v132, v86, v63
	v_pk_fma_f16 v106, v137, v86, v60
	v_pk_fma_f16 v107, v137, v91, v68
	v_pk_fma_f16 v109, v138, v86, v61
	v_mul_u32_u24_e32 v80, 0x10001, v80
	v_pk_fma_f16 v110, v138, v91, v69
	v_pk_fma_f16 v86, v139, v86, v62
	ds_load_b128 v[60:63], v41 offset:144
	s_wait_dscnt 0x3
	v_and_b32_e32 v68, 0xffff, v52
	v_lshrrev_b32_e32 v52, 16, v52
	v_and_b32_e32 v69, 0xffff, v53
	v_lshrrev_b32_e32 v53, 16, v53
	v_pk_fma_f16 v93, v132, v91, v71
	v_pk_fma_f16 v83, v132, v80, v83
	;; [unrolled: 1-line block ×17, first 2 shown]
	v_mul_u32_u24_e32 v82, 0x10001, v68
	v_mul_u32_u24_e32 v52, 0x10001, v52
	;; [unrolled: 1-line block ×4, first 2 shown]
	ds_load_b128 v[68:71], v41 offset:160
	ds_load_b128 v[72:75], v41 offset:176
	s_wait_dscnt 0x4
	v_pk_fma_f16 v92, v56, v82, v92
	v_pk_fma_f16 v93, v56, v52, v93
	;; [unrolled: 1-line block ×16, first 2 shown]
	s_wait_dscnt 0x3
	v_pk_fma_f16 v103, v64, v82, v103
	v_pk_fma_f16 v104, v64, v52, v104
	;; [unrolled: 1-line block ×6, first 2 shown]
	ds_load_2addr_b64 v[56:59], v14 offset0:128 offset1:160
	v_pk_fma_f16 v76, v65, v89, v76
	v_pk_fma_f16 v65, v65, v111, v108
	v_pk_fma_f16 v107, v66, v82, v109
	v_pk_fma_f16 v108, v66, v52, v110
	v_pk_fma_f16 v77, v66, v89, v77
	v_pk_fma_f16 v66, v66, v111, v90
	v_pk_fma_f16 v82, v67, v82, v86
	v_pk_fma_f16 v86, v67, v52, v91
	v_pk_fma_f16 v80, v67, v89, v80
	v_and_b32_e32 v89, 0xffff, v54
	v_lshrrev_b32_e32 v90, 16, v54
	v_and_b32_e32 v91, 0xffff, v55
	v_lshrrev_b32_e32 v109, 16, v55
	ds_load_2addr_b64 v[52:55], v14 offset0:192 offset1:224
	v_mul_u32_u24_e32 v89, 0x10001, v89
	v_mul_u32_u24_e32 v90, 0x10001, v90
	;; [unrolled: 1-line block ×4, first 2 shown]
	v_pk_fma_f16 v81, v67, v111, v81
	s_wait_dscnt 0x1
	v_pk_fma_f16 v92, v56, v89, v92
	v_pk_fma_f16 v93, v56, v90, v93
	;; [unrolled: 1-line block ×16, first 2 shown]
	s_wait_dscnt 0x0
	v_pk_fma_f16 v103, v52, v89, v103
	v_pk_fma_f16 v104, v52, v90, v104
	;; [unrolled: 1-line block ×4, first 2 shown]
	ds_load_2addr_b64 v[56:59], v13 offset1:32
	v_pk_fma_f16 v110, v53, v109, v65
	v_pk_fma_f16 v111, v54, v109, v66
	ds_load_2addr_b64 v[64:67], v13 offset0:64 offset1:96
	v_pk_fma_f16 v105, v53, v89, v105
	v_pk_fma_f16 v106, v53, v90, v106
	;; [unrolled: 1-line block ×6, first 2 shown]
	v_and_b32_e32 v53, 0xffff, v60
	v_lshrrev_b32_e32 v54, 16, v60
	v_and_b32_e32 v60, 0xffff, v61
	v_lshrrev_b32_e32 v61, 16, v61
	v_pk_fma_f16 v82, v55, v89, v82
	v_pk_fma_f16 v86, v55, v90, v86
	v_mul_u32_u24_e32 v89, 0x10001, v53
	v_mul_u32_u24_e32 v90, 0x10001, v54
	;; [unrolled: 1-line block ×4, first 2 shown]
	v_pk_fma_f16 v80, v55, v91, v80
	v_pk_fma_f16 v81, v55, v109, v81
	s_wait_dscnt 0x1
	v_pk_fma_f16 v91, v56, v89, v92
	v_pk_fma_f16 v92, v56, v90, v93
	;; [unrolled: 1-line block ×16, first 2 shown]
	s_wait_dscnt 0x0
	v_pk_fma_f16 v102, v64, v89, v103
	v_pk_fma_f16 v103, v64, v90, v104
	;; [unrolled: 1-line block ×4, first 2 shown]
	ds_load_2addr_b64 v[52:55], v13 offset0:128 offset1:160
	ds_load_2addr_b64 v[56:59], v13 offset0:192 offset1:224
	v_pk_fma_f16 v104, v65, v89, v105
	v_pk_fma_f16 v105, v65, v90, v106
	;; [unrolled: 1-line block ×7, first 2 shown]
	v_and_b32_e32 v80, 0xffff, v62
	v_lshrrev_b32_e32 v62, 16, v62
	v_and_b32_e32 v89, 0xffff, v63
	v_lshrrev_b32_e32 v63, 16, v63
	v_pk_fma_f16 v65, v65, v61, v110
	v_pk_fma_f16 v107, v66, v90, v108
	;; [unrolled: 1-line block ×4, first 2 shown]
	v_mul_u32_u24_e32 v80, 0x10001, v80
	v_mul_u32_u24_e32 v62, 0x10001, v62
	;; [unrolled: 1-line block ×4, first 2 shown]
	v_pk_fma_f16 v67, v67, v61, v81
	s_wait_dscnt 0x1
	v_pk_fma_f16 v81, v52, v80, v91
	v_pk_fma_f16 v91, v52, v62, v92
	;; [unrolled: 1-line block ×16, first 2 shown]
	s_wait_dscnt 0x0
	v_pk_fma_f16 v101, v56, v80, v102
	v_pk_fma_f16 v102, v56, v62, v103
	;; [unrolled: 1-line block ×6, first 2 shown]
	ds_load_2addr_b64 v[52:55], v50 offset1:32
	v_pk_fma_f16 v76, v57, v89, v76
	v_pk_fma_f16 v57, v57, v90, v65
	;; [unrolled: 1-line block ×9, first 2 shown]
	ds_load_2addr_b64 v[60:63], v50 offset0:64 offset1:96
	v_and_b32_e32 v86, 0xffff, v68
	v_lshrrev_b32_e32 v68, 16, v68
	v_and_b32_e32 v89, 0xffff, v69
	v_lshrrev_b32_e32 v69, 16, v69
	v_pk_fma_f16 v67, v59, v90, v67
	v_mul_u32_u24_e32 v86, 0x10001, v86
	v_mul_u32_u24_e32 v68, 0x10001, v68
	v_mul_u32_u24_e32 v89, 0x10001, v89
	v_mul_u32_u24_e32 v69, 0x10001, v69
	s_or_b32 s26, s4, 32
	s_wait_dscnt 0x1
	v_pk_fma_f16 v81, v52, v86, v81
	v_pk_fma_f16 v90, v52, v68, v91
	;; [unrolled: 1-line block ×16, first 2 shown]
	s_wait_dscnt 0x0
	v_pk_fma_f16 v100, v60, v86, v101
	v_pk_fma_f16 v101, v60, v68, v102
	;; [unrolled: 1-line block ×6, first 2 shown]
	ds_load_2addr_b64 v[52:55], v50 offset0:128 offset1:160
	v_pk_fma_f16 v76, v61, v89, v76
	v_pk_fma_f16 v61, v61, v69, v57
	;; [unrolled: 1-line block ×6, first 2 shown]
	ds_load_2addr_b64 v[56:59], v50 offset0:192 offset1:224
	v_pk_fma_f16 v66, v63, v86, v66
	v_pk_fma_f16 v68, v63, v68, v80
	;; [unrolled: 1-line block ×3, first 2 shown]
	v_and_b32_e32 v82, 0xffff, v70
	v_lshrrev_b32_e32 v70, 16, v70
	v_and_b32_e32 v86, 0xffff, v71
	v_lshrrev_b32_e32 v71, 16, v71
	v_pk_fma_f16 v67, v63, v69, v67
	v_mul_u32_u24_e32 v82, 0x10001, v82
	v_mul_u32_u24_e32 v70, 0x10001, v70
	;; [unrolled: 1-line block ×4, first 2 shown]
	s_wait_alu 0xfffe
	s_ashr_i32 s27, s26, 31
	s_wait_dscnt 0x1
	v_pk_fma_f16 v69, v52, v82, v81
	v_pk_fma_f16 v81, v52, v70, v90
	;; [unrolled: 1-line block ×16, first 2 shown]
	s_wait_dscnt 0x0
	v_pk_fma_f16 v98, v56, v82, v100
	v_pk_fma_f16 v99, v56, v70, v101
	;; [unrolled: 1-line block ×6, first 2 shown]
	ds_load_2addr_b64 v[52:55], v51 offset1:32
	v_pk_fma_f16 v76, v57, v86, v76
	v_pk_fma_f16 v57, v57, v71, v61
	;; [unrolled: 1-line block ×6, first 2 shown]
	ds_load_2addr_b64 v[60:63], v51 offset0:64 offset1:96
	v_pk_fma_f16 v66, v59, v82, v66
	v_pk_fma_f16 v68, v59, v70, v68
	;; [unrolled: 1-line block ×3, first 2 shown]
	v_and_b32_e32 v80, 0xffff, v72
	v_lshrrev_b32_e32 v72, 16, v72
	v_and_b32_e32 v82, 0xffff, v73
	v_lshrrev_b32_e32 v73, 16, v73
	v_pk_fma_f16 v67, v59, v71, v67
	v_mul_u32_u24_e32 v80, 0x10001, v80
	v_mul_u32_u24_e32 v72, 0x10001, v72
	;; [unrolled: 1-line block ×4, first 2 shown]
	s_wait_alu 0xfffe
	s_mul_u64 s[26:27], s[26:27], s[14:15]
	s_wait_dscnt 0x1
	v_pk_fma_f16 v69, v52, v80, v69
	v_pk_fma_f16 v71, v52, v72, v81
	;; [unrolled: 1-line block ×16, first 2 shown]
	s_wait_dscnt 0x0
	v_pk_fma_f16 v156, v60, v73, v56
	ds_load_2addr_b64 v[52:55], v51 offset0:128 offset1:160
	v_pk_fma_f16 v160, v61, v73, v57
	v_pk_fma_f16 v164, v62, v73, v58
	ds_load_2addr_b64 v[56:59], v51 offset0:192 offset1:224
	s_wait_alu 0xfffe
	s_lshl_b64 s[26:27], s[26:27], 2
	v_pk_fma_f16 v159, v61, v82, v76
	s_wait_alu 0xfffe
	s_add_nc_u64 s[26:27], s[8:9], s[26:27]
	v_pk_fma_f16 v96, v60, v80, v98
	s_wait_alu 0xfffe
	v_add_co_u32 v76, vcc_lo, s26, v27
	v_pk_fma_f16 v97, v60, v72, v99
	v_pk_fma_f16 v87, v60, v82, v87
	;; [unrolled: 1-line block ×7, first 2 shown]
	v_and_b32_e32 v60, 0xffff, v74
	v_lshrrev_b32_e32 v61, 16, v74
	v_and_b32_e32 v62, 0xffff, v75
	v_lshrrev_b32_e32 v64, 16, v75
	s_wait_alu 0xfffd
	v_add_co_ci_u32_e64 v77, null, s27, v28, vcc_lo
	v_add_co_u32 v140, vcc_lo, s26, v29
	s_wait_alu 0xfffd
	v_add_co_ci_u32_e64 v141, null, s27, v30, vcc_lo
	v_add_co_u32 v76, vcc_lo, v76, v79
	v_mul_u32_u24_e32 v168, 0x10001, v60
	v_mul_u32_u24_e32 v169, 0x10001, v61
	;; [unrolled: 1-line block ×4, first 2 shown]
	s_wait_alu 0xfffd
	v_add_co_ci_u32_e64 v77, null, 0, v77, vcc_lo
	v_add_co_u32 v152, vcc_lo, v140, v79
	s_wait_alu 0xfffd
	v_add_co_ci_u32_e64 v153, null, 0, v141, vcc_lo
	v_pk_fma_f16 v165, v63, v80, v66
	v_pk_fma_f16 v166, v63, v72, v68
	;; [unrolled: 1-line block ×4, first 2 shown]
	s_wait_dscnt 0x1
	v_pk_fma_f16 v173, v52, v168, v69
	v_pk_fma_f16 v174, v52, v169, v71
	;; [unrolled: 1-line block ×16, first 2 shown]
	s_wait_dscnt 0x0
	v_pk_fma_f16 v188, v56, v168, v96
	v_pk_fma_f16 v189, v56, v169, v97
	;; [unrolled: 1-line block ×3, first 2 shown]
	ds_load_2addr_b64 v[52:55], v49 offset1:32
	ds_load_2addr_b64 v[60:63], v49 offset0:64 offset1:96
	ds_load_2addr_b64 v[64:67], v49 offset0:128 offset1:160
	;; [unrolled: 1-line block ×3, first 2 shown]
	ds_load_2addr_b64 v[72:75], v48 offset1:32
	ds_load_2addr_b64 v[80:83], v48 offset0:64 offset1:96
	ds_load_b128 v[84:87], v41 offset:192
	ds_load_b128 v[88:91], v41 offset:208
	ds_load_2addr_b64 v[92:95], v48 offset0:128 offset1:160
	ds_load_2addr_b64 v[96:99], v48 offset0:192 offset1:224
	ds_load_2addr_b64 v[100:103], v47 offset1:32
	ds_load_2addr_b64 v[104:107], v47 offset0:64 offset1:96
	ds_load_2addr_b64 v[108:111], v47 offset0:128 offset1:160
	;; [unrolled: 1-line block ×3, first 2 shown]
	ds_load_2addr_b64 v[116:119], v15 offset1:32
	ds_load_2addr_b64 v[120:123], v15 offset0:64 offset1:96
	ds_load_b128 v[124:127], v41 offset:224
	ds_load_b128 v[128:131], v41 offset:240
	ds_load_2addr_b64 v[132:135], v15 offset0:128 offset1:160
	ds_load_2addr_b64 v[136:139], v15 offset0:192 offset1:224
	s_wait_loadcnt_dscnt 0x0
	s_barrier_signal -1
	s_barrier_wait -1
	global_inv scope:SCOPE_SE
	s_clause 0x3
	global_load_b128 v[140:143], v[76:77], off
	global_load_b128 v[144:147], v[76:77], off offset:512
	global_load_b128 v[148:151], v[152:153], off
	global_load_b128 v[152:155], v[152:153], off offset:512
	v_pk_fma_f16 v56, v56, v171, v156
	v_pk_fma_f16 v77, v57, v169, v158
	;; [unrolled: 1-line block ×5, first 2 shown]
	v_and_b32_e32 v162, 0xffff, v84
	v_lshrrev_b32_e32 v84, 16, v84
	v_and_b32_e32 v163, 0xffff, v85
	v_lshrrev_b32_e32 v85, 16, v85
	v_pk_fma_f16 v76, v57, v168, v157
	v_pk_fma_f16 v57, v57, v171, v160
	;; [unrolled: 1-line block ×3, first 2 shown]
	v_mul_u32_u24_e32 v162, 0x10001, v162
	v_mul_u32_u24_e32 v84, 0x10001, v84
	;; [unrolled: 1-line block ×4, first 2 shown]
	v_pk_fma_f16 v58, v58, v171, v164
	v_pk_fma_f16 v160, v59, v168, v165
	;; [unrolled: 1-line block ×21, first 2 shown]
	v_and_b32_e32 v158, 0xffff, v86
	v_lshrrev_b32_e32 v86, 16, v86
	v_and_b32_e32 v159, 0xffff, v87
	v_lshrrev_b32_e32 v87, 16, v87
	v_pk_fma_f16 v59, v59, v171, v172
	v_pk_fma_f16 v170, v53, v163, v179
	;; [unrolled: 1-line block ×13, first 2 shown]
	v_mul_u32_u24_e32 v158, 0x10001, v158
	v_mul_u32_u24_e32 v86, 0x10001, v86
	;; [unrolled: 1-line block ×4, first 2 shown]
	v_pk_fma_f16 v62, v63, v162, v160
	v_pk_fma_f16 v160, v63, v163, v164
	;; [unrolled: 1-line block ×32, first 2 shown]
	v_and_b32_e32 v84, 0xffff, v88
	v_lshrrev_b32_e32 v86, 16, v88
	v_and_b32_e32 v88, 0xffff, v89
	v_lshrrev_b32_e32 v89, 16, v89
	v_pk_fma_f16 v62, v71, v158, v62
	v_mul_u32_u24_e32 v84, 0x10001, v84
	v_mul_u32_u24_e32 v86, 0x10001, v86
	v_mul_u32_u24_e32 v88, 0x10001, v88
	v_mul_u32_u24_e32 v89, 0x10001, v89
	v_pk_fma_f16 v156, v71, v159, v160
	v_pk_fma_f16 v60, v81, v84, v60
	;; [unrolled: 1-line block ×5, first 2 shown]
	v_lshrrev_b32_e32 v81, 16, v90
	v_pk_fma_f16 v59, v71, v87, v59
	v_pk_fma_f16 v63, v72, v84, v63
	;; [unrolled: 1-line block ×20, first 2 shown]
	v_mul_u32_u24_e32 v81, 0x10001, v81
	v_pk_fma_f16 v67, v80, v84, v67
	v_pk_fma_f16 v158, v80, v88, v168
	;; [unrolled: 1-line block ×12, first 2 shown]
	v_lshrrev_b32_e32 v81, 16, v124
	v_pk_fma_f16 v77, v82, v88, v77
	v_pk_fma_f16 v58, v82, v89, v58
	v_and_b32_e32 v80, 0xffff, v90
	v_and_b32_e32 v82, 0xffff, v91
	v_mul_u32_u24_e32 v81, 0x10001, v81
	v_pk_fma_f16 v62, v83, v84, v62
	v_lshrrev_b32_e32 v84, 16, v91
	v_pk_fma_f16 v86, v83, v88, v156
	v_mul_u32_u24_e32 v80, 0x10001, v80
	v_mul_u32_u24_e32 v82, 0x10001, v82
	v_pk_fma_f16 v59, v83, v89, v59
	v_and_b32_e32 v89, 0xffff, v125
	v_pk_fma_f16 v71, v100, v81, v71
	v_pk_fma_f16 v72, v101, v81, v72
	;; [unrolled: 1-line block ×8, first 2 shown]
	v_lshrrev_b32_e32 v81, 16, v126
	v_mul_u32_u24_e32 v84, 0x10001, v84
	v_pk_fma_f16 v63, v92, v80, v63
	v_pk_fma_f16 v83, v92, v82, v85
	;; [unrolled: 1-line block ×15, first 2 shown]
	v_and_b32_e32 v80, 0xffff, v124
	v_lshrrev_b32_e32 v90, 16, v125
	v_pk_fma_f16 v82, v99, v82, v86
	v_mul_u32_u24_e32 v86, 0x10001, v89
	v_mul_u32_u24_e32 v81, 0x10001, v81
	v_pk_fma_f16 v52, v92, v84, v52
	v_pk_fma_f16 v53, v93, v84, v53
	v_pk_fma_f16 v54, v94, v84, v54
	v_pk_fma_f16 v55, v95, v84, v55
	v_pk_fma_f16 v56, v96, v84, v56
	v_pk_fma_f16 v57, v97, v84, v57
	v_pk_fma_f16 v58, v98, v84, v58
	v_mul_u32_u24_e32 v80, 0x10001, v80
	v_mul_u32_u24_e32 v89, 0x10001, v90
	v_pk_fma_f16 v59, v99, v84, v59
	v_pk_fma_f16 v84, v101, v86, v85
	;; [unrolled: 1-line block ×4, first 2 shown]
	v_and_b32_e32 v88, 0xffff, v127
	v_lshrrev_b32_e32 v90, 16, v127
	v_pk_fma_f16 v71, v108, v81, v71
	v_pk_fma_f16 v72, v109, v81, v72
	;; [unrolled: 1-line block ×8, first 2 shown]
	v_lshrrev_b32_e32 v81, 16, v128
	v_pk_fma_f16 v63, v100, v80, v63
	v_pk_fma_f16 v83, v100, v86, v83
	v_pk_fma_f16 v52, v100, v89, v52
	v_pk_fma_f16 v64, v101, v80, v64
	v_pk_fma_f16 v53, v101, v89, v53
	v_pk_fma_f16 v65, v102, v80, v65
	v_pk_fma_f16 v54, v102, v89, v54
	v_pk_fma_f16 v66, v103, v80, v66
	v_pk_fma_f16 v78, v103, v86, v78
	v_pk_fma_f16 v55, v103, v89, v55
	v_pk_fma_f16 v67, v104, v80, v67
	v_pk_fma_f16 v56, v104, v89, v56
	v_pk_fma_f16 v60, v105, v80, v60
	v_pk_fma_f16 v76, v105, v86, v76
	v_pk_fma_f16 v57, v105, v89, v57
	v_pk_fma_f16 v61, v106, v80, v61
	v_pk_fma_f16 v77, v106, v86, v77
	v_pk_fma_f16 v58, v106, v89, v58
	v_pk_fma_f16 v62, v107, v80, v62
	v_and_b32_e32 v80, 0xffff, v126
	v_pk_fma_f16 v82, v107, v86, v82
	v_mul_u32_u24_e32 v86, 0x10001, v88
	v_mul_u32_u24_e32 v88, 0x10001, v90
	v_pk_fma_f16 v59, v107, v89, v59
	v_and_b32_e32 v89, 0xffff, v129
	v_lshrrev_b32_e32 v90, 16, v129
	v_mul_u32_u24_e32 v81, 0x10001, v81
	v_mul_u32_u24_e32 v80, 0x10001, v80
	v_pk_fma_f16 v83, v108, v86, v83
	v_pk_fma_f16 v52, v108, v88, v52
	;; [unrolled: 1-line block ×12, first 2 shown]
	v_mul_u32_u24_e32 v86, 0x10001, v89
	v_mul_u32_u24_e32 v89, 0x10001, v90
	v_pk_fma_f16 v71, v116, v81, v71
	v_pk_fma_f16 v72, v117, v81, v72
	;; [unrolled: 1-line block ×8, first 2 shown]
	v_lshrrev_b32_e32 v81, 16, v131
	v_pk_fma_f16 v63, v108, v80, v63
	v_pk_fma_f16 v64, v109, v80, v64
	;; [unrolled: 1-line block ×11, first 2 shown]
	v_and_b32_e32 v80, 0xffff, v128
	v_pk_fma_f16 v59, v115, v88, v59
	v_pk_fma_f16 v52, v116, v89, v52
	;; [unrolled: 1-line block ×5, first 2 shown]
	v_and_b32_e32 v55, 0xffff, v130
	v_mul_u32_u24_e32 v81, 0x10001, v81
	v_mul_u32_u24_e32 v80, 0x10001, v80
	v_pk_fma_f16 v83, v116, v86, v83
	v_pk_fma_f16 v84, v117, v86, v84
	;; [unrolled: 1-line block ×8, first 2 shown]
	v_mul_u32_u24_e32 v86, 0x10001, v55
	v_pk_fma_f16 v94, v132, v81, v52
	v_pk_fma_f16 v97, v133, v81, v53
	;; [unrolled: 1-line block ×3, first 2 shown]
	s_wait_loadcnt 0x3
	ds_store_b128 v42, v[140:143]
	s_wait_loadcnt 0x2
	ds_store_b128 v43, v[144:147]
	;; [unrolled: 2-line block ×4, first 2 shown]
	s_wait_dscnt 0x0
	s_barrier_signal -1
	s_barrier_wait -1
	global_inv scope:SCOPE_SE
	ds_load_b128 v[52:55], v41 offset:256
	v_pk_fma_f16 v64, v117, v80, v64
	v_pk_fma_f16 v65, v118, v80, v65
	;; [unrolled: 1-line block ×7, first 2 shown]
	v_lshrrev_b32_e32 v58, 16, v130
	v_pk_fma_f16 v89, v123, v89, v59
	v_pk_fma_f16 v95, v133, v86, v64
	;; [unrolled: 1-line block ×4, first 2 shown]
	v_mul_u32_u24_e32 v91, 0x10001, v58
	v_pk_fma_f16 v103, v136, v86, v67
	v_pk_fma_f16 v105, v136, v81, v56
	;; [unrolled: 1-line block ×3, first 2 shown]
	ds_load_2addr_b64 v[56:59], v14 offset1:32
	ds_load_2addr_b64 v[64:67], v14 offset0:64 offset1:96
	v_pk_fma_f16 v63, v116, v80, v63
	v_pk_fma_f16 v60, v121, v80, v60
	;; [unrolled: 1-line block ×4, first 2 shown]
	v_and_b32_e32 v80, 0xffff, v131
	v_pk_fma_f16 v92, v132, v86, v63
	v_pk_fma_f16 v106, v137, v86, v60
	;; [unrolled: 1-line block ×4, first 2 shown]
	v_mul_u32_u24_e32 v80, 0x10001, v80
	v_pk_fma_f16 v110, v138, v91, v69
	v_pk_fma_f16 v86, v139, v86, v62
	ds_load_b128 v[60:63], v41 offset:272
	s_wait_dscnt 0x3
	v_and_b32_e32 v68, 0xffff, v52
	v_lshrrev_b32_e32 v52, 16, v52
	v_and_b32_e32 v69, 0xffff, v53
	v_lshrrev_b32_e32 v53, 16, v53
	v_pk_fma_f16 v93, v132, v91, v71
	v_pk_fma_f16 v83, v132, v80, v83
	;; [unrolled: 1-line block ×17, first 2 shown]
	v_mul_u32_u24_e32 v82, 0x10001, v68
	v_mul_u32_u24_e32 v52, 0x10001, v52
	;; [unrolled: 1-line block ×4, first 2 shown]
	ds_load_b128 v[68:71], v41 offset:288
	ds_load_b128 v[72:75], v41 offset:304
	s_wait_dscnt 0x4
	v_pk_fma_f16 v92, v56, v82, v92
	v_pk_fma_f16 v93, v56, v52, v93
	;; [unrolled: 1-line block ×16, first 2 shown]
	s_wait_dscnt 0x3
	v_pk_fma_f16 v103, v64, v82, v103
	v_pk_fma_f16 v104, v64, v52, v104
	;; [unrolled: 1-line block ×6, first 2 shown]
	ds_load_2addr_b64 v[56:59], v14 offset0:128 offset1:160
	v_pk_fma_f16 v76, v65, v89, v76
	v_pk_fma_f16 v65, v65, v111, v108
	;; [unrolled: 1-line block ×9, first 2 shown]
	v_and_b32_e32 v89, 0xffff, v54
	v_lshrrev_b32_e32 v90, 16, v54
	v_and_b32_e32 v91, 0xffff, v55
	v_lshrrev_b32_e32 v109, 16, v55
	ds_load_2addr_b64 v[52:55], v14 offset0:192 offset1:224
	v_mul_u32_u24_e32 v89, 0x10001, v89
	v_mul_u32_u24_e32 v90, 0x10001, v90
	;; [unrolled: 1-line block ×4, first 2 shown]
	v_pk_fma_f16 v81, v67, v111, v81
	s_wait_dscnt 0x1
	v_pk_fma_f16 v92, v56, v89, v92
	v_pk_fma_f16 v93, v56, v90, v93
	;; [unrolled: 1-line block ×16, first 2 shown]
	s_wait_dscnt 0x0
	v_pk_fma_f16 v103, v52, v89, v103
	v_pk_fma_f16 v104, v52, v90, v104
	;; [unrolled: 1-line block ×4, first 2 shown]
	ds_load_2addr_b64 v[56:59], v13 offset1:32
	v_pk_fma_f16 v110, v53, v109, v65
	v_pk_fma_f16 v111, v54, v109, v66
	ds_load_2addr_b64 v[64:67], v13 offset0:64 offset1:96
	v_pk_fma_f16 v105, v53, v89, v105
	v_pk_fma_f16 v106, v53, v90, v106
	;; [unrolled: 1-line block ×6, first 2 shown]
	v_and_b32_e32 v53, 0xffff, v60
	v_lshrrev_b32_e32 v54, 16, v60
	v_and_b32_e32 v60, 0xffff, v61
	v_lshrrev_b32_e32 v61, 16, v61
	v_pk_fma_f16 v82, v55, v89, v82
	v_pk_fma_f16 v86, v55, v90, v86
	v_mul_u32_u24_e32 v89, 0x10001, v53
	v_mul_u32_u24_e32 v90, 0x10001, v54
	;; [unrolled: 1-line block ×4, first 2 shown]
	v_pk_fma_f16 v80, v55, v91, v80
	v_pk_fma_f16 v81, v55, v109, v81
	s_wait_dscnt 0x1
	v_pk_fma_f16 v91, v56, v89, v92
	v_pk_fma_f16 v92, v56, v90, v93
	;; [unrolled: 1-line block ×16, first 2 shown]
	s_wait_dscnt 0x0
	v_pk_fma_f16 v102, v64, v89, v103
	v_pk_fma_f16 v103, v64, v90, v104
	;; [unrolled: 1-line block ×4, first 2 shown]
	ds_load_2addr_b64 v[52:55], v13 offset0:128 offset1:160
	ds_load_2addr_b64 v[56:59], v13 offset0:192 offset1:224
	v_pk_fma_f16 v104, v65, v89, v105
	v_pk_fma_f16 v105, v65, v90, v106
	;; [unrolled: 1-line block ×7, first 2 shown]
	v_and_b32_e32 v80, 0xffff, v62
	v_lshrrev_b32_e32 v62, 16, v62
	v_and_b32_e32 v89, 0xffff, v63
	v_lshrrev_b32_e32 v63, 16, v63
	v_pk_fma_f16 v65, v65, v61, v110
	v_pk_fma_f16 v107, v66, v90, v108
	;; [unrolled: 1-line block ×4, first 2 shown]
	v_mul_u32_u24_e32 v80, 0x10001, v80
	v_mul_u32_u24_e32 v62, 0x10001, v62
	;; [unrolled: 1-line block ×4, first 2 shown]
	v_pk_fma_f16 v67, v67, v61, v81
	s_wait_dscnt 0x1
	v_pk_fma_f16 v81, v52, v80, v91
	v_pk_fma_f16 v91, v52, v62, v92
	;; [unrolled: 1-line block ×16, first 2 shown]
	s_wait_dscnt 0x0
	v_pk_fma_f16 v101, v56, v80, v102
	v_pk_fma_f16 v102, v56, v62, v103
	;; [unrolled: 1-line block ×6, first 2 shown]
	ds_load_2addr_b64 v[52:55], v50 offset1:32
	v_pk_fma_f16 v76, v57, v89, v76
	v_pk_fma_f16 v57, v57, v90, v65
	;; [unrolled: 1-line block ×9, first 2 shown]
	ds_load_2addr_b64 v[60:63], v50 offset0:64 offset1:96
	v_and_b32_e32 v86, 0xffff, v68
	v_lshrrev_b32_e32 v68, 16, v68
	v_and_b32_e32 v89, 0xffff, v69
	v_lshrrev_b32_e32 v69, 16, v69
	v_pk_fma_f16 v67, v59, v90, v67
	v_mul_u32_u24_e32 v86, 0x10001, v86
	v_mul_u32_u24_e32 v68, 0x10001, v68
	;; [unrolled: 1-line block ×4, first 2 shown]
	s_or_b32 s26, s4, 48
	s_wait_dscnt 0x1
	v_pk_fma_f16 v81, v52, v86, v81
	v_pk_fma_f16 v90, v52, v68, v91
	;; [unrolled: 1-line block ×16, first 2 shown]
	s_wait_dscnt 0x0
	v_pk_fma_f16 v100, v60, v86, v101
	v_pk_fma_f16 v101, v60, v68, v102
	;; [unrolled: 1-line block ×6, first 2 shown]
	ds_load_2addr_b64 v[52:55], v50 offset0:128 offset1:160
	v_pk_fma_f16 v76, v61, v89, v76
	v_pk_fma_f16 v61, v61, v69, v57
	v_pk_fma_f16 v65, v62, v86, v65
	v_pk_fma_f16 v103, v62, v68, v104
	v_pk_fma_f16 v77, v62, v89, v77
	v_pk_fma_f16 v62, v62, v69, v58
	ds_load_2addr_b64 v[56:59], v50 offset0:192 offset1:224
	v_pk_fma_f16 v66, v63, v86, v66
	v_pk_fma_f16 v68, v63, v68, v80
	;; [unrolled: 1-line block ×3, first 2 shown]
	v_and_b32_e32 v82, 0xffff, v70
	v_lshrrev_b32_e32 v70, 16, v70
	v_and_b32_e32 v86, 0xffff, v71
	v_lshrrev_b32_e32 v71, 16, v71
	v_pk_fma_f16 v67, v63, v69, v67
	v_mul_u32_u24_e32 v82, 0x10001, v82
	v_mul_u32_u24_e32 v70, 0x10001, v70
	;; [unrolled: 1-line block ×4, first 2 shown]
	s_wait_alu 0xfffe
	s_ashr_i32 s27, s26, 31
	s_wait_dscnt 0x1
	v_pk_fma_f16 v69, v52, v82, v81
	v_pk_fma_f16 v81, v52, v70, v90
	;; [unrolled: 1-line block ×16, first 2 shown]
	s_wait_dscnt 0x0
	v_pk_fma_f16 v98, v56, v82, v100
	v_pk_fma_f16 v99, v56, v70, v101
	;; [unrolled: 1-line block ×6, first 2 shown]
	ds_load_2addr_b64 v[52:55], v51 offset1:32
	v_pk_fma_f16 v76, v57, v86, v76
	v_pk_fma_f16 v57, v57, v71, v61
	;; [unrolled: 1-line block ×6, first 2 shown]
	ds_load_2addr_b64 v[60:63], v51 offset0:64 offset1:96
	v_pk_fma_f16 v66, v59, v82, v66
	v_pk_fma_f16 v68, v59, v70, v68
	;; [unrolled: 1-line block ×3, first 2 shown]
	v_and_b32_e32 v80, 0xffff, v72
	v_lshrrev_b32_e32 v72, 16, v72
	v_and_b32_e32 v82, 0xffff, v73
	v_lshrrev_b32_e32 v73, 16, v73
	v_pk_fma_f16 v67, v59, v71, v67
	v_mul_u32_u24_e32 v80, 0x10001, v80
	v_mul_u32_u24_e32 v72, 0x10001, v72
	;; [unrolled: 1-line block ×4, first 2 shown]
	s_wait_alu 0xfffe
	s_mul_u64 s[26:27], s[26:27], s[14:15]
	s_wait_dscnt 0x1
	v_pk_fma_f16 v69, v52, v80, v69
	v_pk_fma_f16 v71, v52, v72, v81
	;; [unrolled: 1-line block ×16, first 2 shown]
	s_wait_dscnt 0x0
	v_pk_fma_f16 v156, v60, v73, v56
	ds_load_2addr_b64 v[52:55], v51 offset0:128 offset1:160
	v_pk_fma_f16 v160, v61, v73, v57
	v_pk_fma_f16 v164, v62, v73, v58
	ds_load_2addr_b64 v[56:59], v51 offset0:192 offset1:224
	s_wait_alu 0xfffe
	s_lshl_b64 s[26:27], s[26:27], 2
	v_pk_fma_f16 v159, v61, v82, v76
	s_wait_alu 0xfffe
	s_add_nc_u64 s[26:27], s[8:9], s[26:27]
	v_pk_fma_f16 v96, v60, v80, v98
	s_wait_alu 0xfffe
	v_add_co_u32 v76, vcc_lo, s26, v27
	v_pk_fma_f16 v97, v60, v72, v99
	v_pk_fma_f16 v87, v60, v82, v87
	;; [unrolled: 1-line block ×7, first 2 shown]
	v_and_b32_e32 v60, 0xffff, v74
	v_lshrrev_b32_e32 v61, 16, v74
	v_and_b32_e32 v62, 0xffff, v75
	v_lshrrev_b32_e32 v64, 16, v75
	s_wait_alu 0xfffd
	v_add_co_ci_u32_e64 v77, null, s27, v28, vcc_lo
	v_add_co_u32 v140, vcc_lo, s26, v29
	s_wait_alu 0xfffd
	v_add_co_ci_u32_e64 v141, null, s27, v30, vcc_lo
	v_add_co_u32 v76, vcc_lo, v76, v79
	v_mul_u32_u24_e32 v168, 0x10001, v60
	v_mul_u32_u24_e32 v169, 0x10001, v61
	;; [unrolled: 1-line block ×4, first 2 shown]
	s_wait_alu 0xfffd
	v_add_co_ci_u32_e64 v77, null, 0, v77, vcc_lo
	v_add_co_u32 v152, vcc_lo, v140, v79
	s_wait_alu 0xfffd
	v_add_co_ci_u32_e64 v153, null, 0, v141, vcc_lo
	v_pk_fma_f16 v165, v63, v80, v66
	v_pk_fma_f16 v166, v63, v72, v68
	;; [unrolled: 1-line block ×4, first 2 shown]
	s_wait_dscnt 0x1
	v_pk_fma_f16 v173, v52, v168, v69
	v_pk_fma_f16 v174, v52, v169, v71
	v_pk_fma_f16 v175, v52, v170, v81
	v_pk_fma_f16 v176, v52, v171, v83
	v_pk_fma_f16 v177, v53, v168, v86
	v_pk_fma_f16 v178, v53, v169, v89
	v_pk_fma_f16 v179, v53, v170, v84
	v_pk_fma_f16 v180, v53, v171, v90
	v_pk_fma_f16 v181, v54, v168, v91
	v_pk_fma_f16 v182, v54, v169, v92
	v_pk_fma_f16 v183, v54, v170, v85
	v_pk_fma_f16 v184, v54, v171, v93
	v_pk_fma_f16 v185, v55, v168, v94
	v_pk_fma_f16 v186, v55, v169, v95
	v_pk_fma_f16 v78, v55, v170, v78
	v_pk_fma_f16 v187, v55, v171, v88
	s_wait_dscnt 0x0
	v_pk_fma_f16 v188, v56, v168, v96
	v_pk_fma_f16 v189, v56, v169, v97
	;; [unrolled: 1-line block ×3, first 2 shown]
	ds_load_2addr_b64 v[52:55], v49 offset1:32
	ds_load_2addr_b64 v[60:63], v49 offset0:64 offset1:96
	ds_load_2addr_b64 v[64:67], v49 offset0:128 offset1:160
	;; [unrolled: 1-line block ×3, first 2 shown]
	ds_load_2addr_b64 v[72:75], v48 offset1:32
	ds_load_2addr_b64 v[80:83], v48 offset0:64 offset1:96
	ds_load_b128 v[84:87], v41 offset:320
	ds_load_b128 v[88:91], v41 offset:336
	ds_load_2addr_b64 v[92:95], v48 offset0:128 offset1:160
	ds_load_2addr_b64 v[96:99], v48 offset0:192 offset1:224
	ds_load_2addr_b64 v[100:103], v47 offset1:32
	ds_load_2addr_b64 v[104:107], v47 offset0:64 offset1:96
	ds_load_2addr_b64 v[108:111], v47 offset0:128 offset1:160
	;; [unrolled: 1-line block ×3, first 2 shown]
	ds_load_2addr_b64 v[116:119], v15 offset1:32
	ds_load_2addr_b64 v[120:123], v15 offset0:64 offset1:96
	ds_load_b128 v[124:127], v41 offset:352
	ds_load_b128 v[128:131], v41 offset:368
	ds_load_2addr_b64 v[132:135], v15 offset0:128 offset1:160
	ds_load_2addr_b64 v[136:139], v15 offset0:192 offset1:224
	s_wait_loadcnt_dscnt 0x0
	s_barrier_signal -1
	s_barrier_wait -1
	global_inv scope:SCOPE_SE
	s_clause 0x3
	global_load_b128 v[140:143], v[76:77], off
	global_load_b128 v[144:147], v[76:77], off offset:512
	global_load_b128 v[148:151], v[152:153], off
	global_load_b128 v[152:155], v[152:153], off offset:512
	v_pk_fma_f16 v56, v56, v171, v156
	v_pk_fma_f16 v77, v57, v169, v158
	;; [unrolled: 1-line block ×5, first 2 shown]
	v_and_b32_e32 v162, 0xffff, v84
	v_lshrrev_b32_e32 v84, 16, v84
	v_and_b32_e32 v163, 0xffff, v85
	v_lshrrev_b32_e32 v85, 16, v85
	v_pk_fma_f16 v76, v57, v168, v157
	v_pk_fma_f16 v57, v57, v171, v160
	;; [unrolled: 1-line block ×3, first 2 shown]
	v_mul_u32_u24_e32 v162, 0x10001, v162
	v_mul_u32_u24_e32 v84, 0x10001, v84
	v_mul_u32_u24_e32 v163, 0x10001, v163
	v_mul_u32_u24_e32 v85, 0x10001, v85
	v_pk_fma_f16 v58, v58, v171, v164
	v_pk_fma_f16 v160, v59, v168, v165
	;; [unrolled: 1-line block ×21, first 2 shown]
	v_and_b32_e32 v158, 0xffff, v86
	v_lshrrev_b32_e32 v86, 16, v86
	v_and_b32_e32 v159, 0xffff, v87
	v_lshrrev_b32_e32 v87, 16, v87
	v_pk_fma_f16 v59, v59, v171, v172
	v_pk_fma_f16 v170, v53, v163, v179
	;; [unrolled: 1-line block ×13, first 2 shown]
	v_mul_u32_u24_e32 v158, 0x10001, v158
	v_mul_u32_u24_e32 v86, 0x10001, v86
	;; [unrolled: 1-line block ×4, first 2 shown]
	v_pk_fma_f16 v62, v63, v162, v160
	v_pk_fma_f16 v160, v63, v163, v164
	;; [unrolled: 1-line block ×32, first 2 shown]
	v_and_b32_e32 v84, 0xffff, v88
	v_lshrrev_b32_e32 v86, 16, v88
	v_and_b32_e32 v88, 0xffff, v89
	v_lshrrev_b32_e32 v89, 16, v89
	v_pk_fma_f16 v62, v71, v158, v62
	v_mul_u32_u24_e32 v84, 0x10001, v84
	v_mul_u32_u24_e32 v86, 0x10001, v86
	;; [unrolled: 1-line block ×4, first 2 shown]
	v_pk_fma_f16 v156, v71, v159, v160
	v_pk_fma_f16 v60, v81, v84, v60
	;; [unrolled: 1-line block ×5, first 2 shown]
	v_lshrrev_b32_e32 v81, 16, v90
	v_pk_fma_f16 v59, v71, v87, v59
	v_pk_fma_f16 v63, v72, v84, v63
	;; [unrolled: 1-line block ×20, first 2 shown]
	v_mul_u32_u24_e32 v81, 0x10001, v81
	v_pk_fma_f16 v67, v80, v84, v67
	v_pk_fma_f16 v158, v80, v88, v168
	;; [unrolled: 1-line block ×12, first 2 shown]
	v_lshrrev_b32_e32 v81, 16, v124
	v_pk_fma_f16 v77, v82, v88, v77
	v_pk_fma_f16 v58, v82, v89, v58
	v_and_b32_e32 v80, 0xffff, v90
	v_and_b32_e32 v82, 0xffff, v91
	v_mul_u32_u24_e32 v81, 0x10001, v81
	v_pk_fma_f16 v62, v83, v84, v62
	v_lshrrev_b32_e32 v84, 16, v91
	v_pk_fma_f16 v86, v83, v88, v156
	v_mul_u32_u24_e32 v80, 0x10001, v80
	v_mul_u32_u24_e32 v82, 0x10001, v82
	v_pk_fma_f16 v59, v83, v89, v59
	v_and_b32_e32 v89, 0xffff, v125
	v_pk_fma_f16 v71, v100, v81, v71
	v_pk_fma_f16 v72, v101, v81, v72
	;; [unrolled: 1-line block ×8, first 2 shown]
	v_lshrrev_b32_e32 v81, 16, v126
	v_mul_u32_u24_e32 v84, 0x10001, v84
	v_pk_fma_f16 v63, v92, v80, v63
	v_pk_fma_f16 v83, v92, v82, v85
	;; [unrolled: 1-line block ×15, first 2 shown]
	v_and_b32_e32 v80, 0xffff, v124
	v_lshrrev_b32_e32 v90, 16, v125
	v_pk_fma_f16 v82, v99, v82, v86
	v_mul_u32_u24_e32 v86, 0x10001, v89
	v_mul_u32_u24_e32 v81, 0x10001, v81
	v_pk_fma_f16 v52, v92, v84, v52
	v_pk_fma_f16 v53, v93, v84, v53
	;; [unrolled: 1-line block ×7, first 2 shown]
	v_mul_u32_u24_e32 v80, 0x10001, v80
	v_mul_u32_u24_e32 v89, 0x10001, v90
	v_pk_fma_f16 v59, v99, v84, v59
	v_pk_fma_f16 v84, v101, v86, v85
	;; [unrolled: 1-line block ×4, first 2 shown]
	v_and_b32_e32 v88, 0xffff, v127
	v_lshrrev_b32_e32 v90, 16, v127
	v_pk_fma_f16 v71, v108, v81, v71
	v_pk_fma_f16 v72, v109, v81, v72
	;; [unrolled: 1-line block ×8, first 2 shown]
	v_lshrrev_b32_e32 v81, 16, v128
	v_pk_fma_f16 v63, v100, v80, v63
	v_pk_fma_f16 v83, v100, v86, v83
	;; [unrolled: 1-line block ×19, first 2 shown]
	v_and_b32_e32 v80, 0xffff, v126
	v_pk_fma_f16 v82, v107, v86, v82
	v_mul_u32_u24_e32 v86, 0x10001, v88
	v_mul_u32_u24_e32 v88, 0x10001, v90
	v_pk_fma_f16 v59, v107, v89, v59
	v_and_b32_e32 v89, 0xffff, v129
	v_lshrrev_b32_e32 v90, 16, v129
	v_mul_u32_u24_e32 v81, 0x10001, v81
	v_mul_u32_u24_e32 v80, 0x10001, v80
	v_pk_fma_f16 v83, v108, v86, v83
	v_pk_fma_f16 v52, v108, v88, v52
	;; [unrolled: 1-line block ×12, first 2 shown]
	v_mul_u32_u24_e32 v86, 0x10001, v89
	v_mul_u32_u24_e32 v89, 0x10001, v90
	v_pk_fma_f16 v71, v116, v81, v71
	v_pk_fma_f16 v72, v117, v81, v72
	;; [unrolled: 1-line block ×8, first 2 shown]
	v_lshrrev_b32_e32 v81, 16, v131
	v_pk_fma_f16 v63, v108, v80, v63
	v_pk_fma_f16 v64, v109, v80, v64
	;; [unrolled: 1-line block ×11, first 2 shown]
	v_and_b32_e32 v80, 0xffff, v128
	v_pk_fma_f16 v59, v115, v88, v59
	v_pk_fma_f16 v52, v116, v89, v52
	;; [unrolled: 1-line block ×5, first 2 shown]
	v_and_b32_e32 v55, 0xffff, v130
	v_mul_u32_u24_e32 v81, 0x10001, v81
	v_mul_u32_u24_e32 v80, 0x10001, v80
	v_pk_fma_f16 v83, v116, v86, v83
	v_pk_fma_f16 v84, v117, v86, v84
	;; [unrolled: 1-line block ×8, first 2 shown]
	v_mul_u32_u24_e32 v86, 0x10001, v55
	v_pk_fma_f16 v94, v132, v81, v52
	v_pk_fma_f16 v97, v133, v81, v53
	;; [unrolled: 1-line block ×3, first 2 shown]
	s_wait_loadcnt 0x3
	ds_store_b128 v42, v[140:143]
	s_wait_loadcnt 0x2
	ds_store_b128 v43, v[144:147]
	;; [unrolled: 2-line block ×4, first 2 shown]
	s_wait_dscnt 0x0
	s_barrier_signal -1
	s_barrier_wait -1
	global_inv scope:SCOPE_SE
	ds_load_b128 v[52:55], v41 offset:384
	v_pk_fma_f16 v64, v117, v80, v64
	v_pk_fma_f16 v65, v118, v80, v65
	;; [unrolled: 1-line block ×7, first 2 shown]
	v_lshrrev_b32_e32 v58, 16, v130
	v_pk_fma_f16 v89, v123, v89, v59
	v_pk_fma_f16 v95, v133, v86, v64
	v_pk_fma_f16 v98, v134, v86, v65
	v_pk_fma_f16 v101, v135, v86, v66
	v_mul_u32_u24_e32 v91, 0x10001, v58
	v_pk_fma_f16 v103, v136, v86, v67
	v_pk_fma_f16 v105, v136, v81, v56
	;; [unrolled: 1-line block ×3, first 2 shown]
	ds_load_2addr_b64 v[56:59], v14 offset1:32
	ds_load_2addr_b64 v[64:67], v14 offset0:64 offset1:96
	v_pk_fma_f16 v63, v116, v80, v63
	v_pk_fma_f16 v60, v121, v80, v60
	v_pk_fma_f16 v61, v122, v80, v61
	v_pk_fma_f16 v62, v123, v80, v62
	v_and_b32_e32 v80, 0xffff, v131
	v_pk_fma_f16 v92, v132, v86, v63
	v_pk_fma_f16 v106, v137, v86, v60
	;; [unrolled: 1-line block ×4, first 2 shown]
	v_mul_u32_u24_e32 v80, 0x10001, v80
	v_pk_fma_f16 v110, v138, v91, v69
	v_pk_fma_f16 v86, v139, v86, v62
	ds_load_b128 v[60:63], v41 offset:400
	s_wait_dscnt 0x3
	v_and_b32_e32 v68, 0xffff, v52
	v_lshrrev_b32_e32 v52, 16, v52
	v_and_b32_e32 v69, 0xffff, v53
	v_lshrrev_b32_e32 v53, 16, v53
	v_pk_fma_f16 v93, v132, v91, v71
	v_pk_fma_f16 v83, v132, v80, v83
	;; [unrolled: 1-line block ×17, first 2 shown]
	v_mul_u32_u24_e32 v82, 0x10001, v68
	v_mul_u32_u24_e32 v52, 0x10001, v52
	;; [unrolled: 1-line block ×4, first 2 shown]
	ds_load_b128 v[68:71], v41 offset:416
	ds_load_b128 v[72:75], v41 offset:432
	s_wait_dscnt 0x4
	v_pk_fma_f16 v92, v56, v82, v92
	v_pk_fma_f16 v93, v56, v52, v93
	;; [unrolled: 1-line block ×16, first 2 shown]
	s_wait_dscnt 0x3
	v_pk_fma_f16 v103, v64, v82, v103
	v_pk_fma_f16 v104, v64, v52, v104
	;; [unrolled: 1-line block ×6, first 2 shown]
	ds_load_2addr_b64 v[56:59], v14 offset0:128 offset1:160
	v_pk_fma_f16 v76, v65, v89, v76
	v_pk_fma_f16 v65, v65, v111, v108
	;; [unrolled: 1-line block ×9, first 2 shown]
	v_and_b32_e32 v89, 0xffff, v54
	v_lshrrev_b32_e32 v90, 16, v54
	v_and_b32_e32 v91, 0xffff, v55
	v_lshrrev_b32_e32 v109, 16, v55
	ds_load_2addr_b64 v[52:55], v14 offset0:192 offset1:224
	v_mul_u32_u24_e32 v89, 0x10001, v89
	v_mul_u32_u24_e32 v90, 0x10001, v90
	;; [unrolled: 1-line block ×4, first 2 shown]
	v_pk_fma_f16 v81, v67, v111, v81
	s_wait_dscnt 0x1
	v_pk_fma_f16 v92, v56, v89, v92
	v_pk_fma_f16 v93, v56, v90, v93
	;; [unrolled: 1-line block ×16, first 2 shown]
	s_wait_dscnt 0x0
	v_pk_fma_f16 v103, v52, v89, v103
	v_pk_fma_f16 v104, v52, v90, v104
	;; [unrolled: 1-line block ×4, first 2 shown]
	ds_load_2addr_b64 v[56:59], v13 offset1:32
	v_pk_fma_f16 v110, v53, v109, v65
	v_pk_fma_f16 v111, v54, v109, v66
	ds_load_2addr_b64 v[64:67], v13 offset0:64 offset1:96
	v_pk_fma_f16 v105, v53, v89, v105
	v_pk_fma_f16 v106, v53, v90, v106
	;; [unrolled: 1-line block ×6, first 2 shown]
	v_and_b32_e32 v53, 0xffff, v60
	v_lshrrev_b32_e32 v54, 16, v60
	v_and_b32_e32 v60, 0xffff, v61
	v_lshrrev_b32_e32 v61, 16, v61
	v_pk_fma_f16 v82, v55, v89, v82
	v_pk_fma_f16 v86, v55, v90, v86
	v_mul_u32_u24_e32 v89, 0x10001, v53
	v_mul_u32_u24_e32 v90, 0x10001, v54
	;; [unrolled: 1-line block ×4, first 2 shown]
	v_pk_fma_f16 v80, v55, v91, v80
	v_pk_fma_f16 v81, v55, v109, v81
	s_wait_dscnt 0x1
	v_pk_fma_f16 v91, v56, v89, v92
	v_pk_fma_f16 v92, v56, v90, v93
	;; [unrolled: 1-line block ×16, first 2 shown]
	s_wait_dscnt 0x0
	v_pk_fma_f16 v102, v64, v89, v103
	v_pk_fma_f16 v103, v64, v90, v104
	;; [unrolled: 1-line block ×4, first 2 shown]
	ds_load_2addr_b64 v[52:55], v13 offset0:128 offset1:160
	ds_load_2addr_b64 v[56:59], v13 offset0:192 offset1:224
	v_pk_fma_f16 v104, v65, v89, v105
	v_pk_fma_f16 v105, v65, v90, v106
	;; [unrolled: 1-line block ×7, first 2 shown]
	v_and_b32_e32 v80, 0xffff, v62
	v_lshrrev_b32_e32 v62, 16, v62
	v_and_b32_e32 v89, 0xffff, v63
	v_lshrrev_b32_e32 v63, 16, v63
	v_pk_fma_f16 v65, v65, v61, v110
	v_pk_fma_f16 v107, v66, v90, v108
	;; [unrolled: 1-line block ×4, first 2 shown]
	v_mul_u32_u24_e32 v80, 0x10001, v80
	v_mul_u32_u24_e32 v62, 0x10001, v62
	;; [unrolled: 1-line block ×4, first 2 shown]
	v_pk_fma_f16 v67, v67, v61, v81
	s_wait_dscnt 0x1
	v_pk_fma_f16 v81, v52, v80, v91
	v_pk_fma_f16 v91, v52, v62, v92
	;; [unrolled: 1-line block ×16, first 2 shown]
	s_wait_dscnt 0x0
	v_pk_fma_f16 v101, v56, v80, v102
	v_pk_fma_f16 v102, v56, v62, v103
	;; [unrolled: 1-line block ×6, first 2 shown]
	ds_load_2addr_b64 v[52:55], v50 offset1:32
	v_pk_fma_f16 v76, v57, v89, v76
	v_pk_fma_f16 v57, v57, v90, v65
	;; [unrolled: 1-line block ×9, first 2 shown]
	ds_load_2addr_b64 v[60:63], v50 offset0:64 offset1:96
	v_and_b32_e32 v86, 0xffff, v68
	v_lshrrev_b32_e32 v68, 16, v68
	v_and_b32_e32 v89, 0xffff, v69
	v_lshrrev_b32_e32 v69, 16, v69
	v_pk_fma_f16 v67, v59, v90, v67
	v_mul_u32_u24_e32 v86, 0x10001, v86
	v_mul_u32_u24_e32 v68, 0x10001, v68
	;; [unrolled: 1-line block ×4, first 2 shown]
	s_or_b32 s26, s4, 64
	s_wait_dscnt 0x1
	v_pk_fma_f16 v81, v52, v86, v81
	v_pk_fma_f16 v90, v52, v68, v91
	;; [unrolled: 1-line block ×16, first 2 shown]
	s_wait_dscnt 0x0
	v_pk_fma_f16 v100, v60, v86, v101
	v_pk_fma_f16 v101, v60, v68, v102
	;; [unrolled: 1-line block ×6, first 2 shown]
	ds_load_2addr_b64 v[52:55], v50 offset0:128 offset1:160
	v_pk_fma_f16 v76, v61, v89, v76
	v_pk_fma_f16 v61, v61, v69, v57
	v_pk_fma_f16 v65, v62, v86, v65
	v_pk_fma_f16 v103, v62, v68, v104
	v_pk_fma_f16 v77, v62, v89, v77
	v_pk_fma_f16 v62, v62, v69, v58
	ds_load_2addr_b64 v[56:59], v50 offset0:192 offset1:224
	v_pk_fma_f16 v66, v63, v86, v66
	v_pk_fma_f16 v68, v63, v68, v80
	;; [unrolled: 1-line block ×3, first 2 shown]
	v_and_b32_e32 v82, 0xffff, v70
	v_lshrrev_b32_e32 v70, 16, v70
	v_and_b32_e32 v86, 0xffff, v71
	v_lshrrev_b32_e32 v71, 16, v71
	v_pk_fma_f16 v67, v63, v69, v67
	v_mul_u32_u24_e32 v82, 0x10001, v82
	v_mul_u32_u24_e32 v70, 0x10001, v70
	;; [unrolled: 1-line block ×4, first 2 shown]
	s_wait_alu 0xfffe
	s_ashr_i32 s27, s26, 31
	s_wait_dscnt 0x1
	v_pk_fma_f16 v69, v52, v82, v81
	v_pk_fma_f16 v81, v52, v70, v90
	;; [unrolled: 1-line block ×16, first 2 shown]
	s_wait_dscnt 0x0
	v_pk_fma_f16 v98, v56, v82, v100
	v_pk_fma_f16 v99, v56, v70, v101
	;; [unrolled: 1-line block ×6, first 2 shown]
	ds_load_2addr_b64 v[52:55], v51 offset1:32
	v_pk_fma_f16 v76, v57, v86, v76
	v_pk_fma_f16 v57, v57, v71, v61
	;; [unrolled: 1-line block ×6, first 2 shown]
	ds_load_2addr_b64 v[60:63], v51 offset0:64 offset1:96
	v_pk_fma_f16 v66, v59, v82, v66
	v_pk_fma_f16 v68, v59, v70, v68
	;; [unrolled: 1-line block ×3, first 2 shown]
	v_and_b32_e32 v80, 0xffff, v72
	v_lshrrev_b32_e32 v72, 16, v72
	v_and_b32_e32 v82, 0xffff, v73
	v_lshrrev_b32_e32 v73, 16, v73
	v_pk_fma_f16 v67, v59, v71, v67
	v_mul_u32_u24_e32 v80, 0x10001, v80
	v_mul_u32_u24_e32 v72, 0x10001, v72
	;; [unrolled: 1-line block ×4, first 2 shown]
	s_wait_alu 0xfffe
	s_mul_u64 s[26:27], s[26:27], s[14:15]
	s_wait_dscnt 0x1
	v_pk_fma_f16 v69, v52, v80, v69
	v_pk_fma_f16 v71, v52, v72, v81
	v_pk_fma_f16 v81, v52, v82, v83
	v_pk_fma_f16 v83, v52, v73, v89
	v_pk_fma_f16 v86, v53, v80, v90
	v_pk_fma_f16 v89, v53, v72, v91
	v_pk_fma_f16 v84, v53, v82, v84
	v_pk_fma_f16 v90, v53, v73, v92
	v_pk_fma_f16 v91, v54, v80, v93
	v_pk_fma_f16 v92, v54, v72, v94
	v_pk_fma_f16 v85, v54, v82, v85
	v_pk_fma_f16 v93, v54, v73, v95
	v_pk_fma_f16 v94, v55, v80, v96
	v_pk_fma_f16 v95, v55, v72, v97
	v_pk_fma_f16 v78, v55, v82, v78
	v_pk_fma_f16 v88, v55, v73, v88
	s_wait_dscnt 0x0
	v_pk_fma_f16 v156, v60, v73, v56
	ds_load_2addr_b64 v[52:55], v51 offset0:128 offset1:160
	v_pk_fma_f16 v160, v61, v73, v57
	v_pk_fma_f16 v164, v62, v73, v58
	ds_load_2addr_b64 v[56:59], v51 offset0:192 offset1:224
	s_wait_alu 0xfffe
	s_lshl_b64 s[26:27], s[26:27], 2
	v_pk_fma_f16 v159, v61, v82, v76
	s_wait_alu 0xfffe
	s_add_nc_u64 s[26:27], s[8:9], s[26:27]
	v_pk_fma_f16 v96, v60, v80, v98
	s_wait_alu 0xfffe
	v_add_co_u32 v76, vcc_lo, s26, v27
	v_pk_fma_f16 v97, v60, v72, v99
	v_pk_fma_f16 v87, v60, v82, v87
	;; [unrolled: 1-line block ×7, first 2 shown]
	v_and_b32_e32 v60, 0xffff, v74
	v_lshrrev_b32_e32 v61, 16, v74
	v_and_b32_e32 v62, 0xffff, v75
	v_lshrrev_b32_e32 v64, 16, v75
	s_wait_alu 0xfffd
	v_add_co_ci_u32_e64 v77, null, s27, v28, vcc_lo
	v_add_co_u32 v140, vcc_lo, s26, v29
	s_wait_alu 0xfffd
	v_add_co_ci_u32_e64 v141, null, s27, v30, vcc_lo
	v_add_co_u32 v76, vcc_lo, v76, v79
	v_mul_u32_u24_e32 v168, 0x10001, v60
	v_mul_u32_u24_e32 v169, 0x10001, v61
	;; [unrolled: 1-line block ×4, first 2 shown]
	s_wait_alu 0xfffd
	v_add_co_ci_u32_e64 v77, null, 0, v77, vcc_lo
	v_add_co_u32 v152, vcc_lo, v140, v79
	s_wait_alu 0xfffd
	v_add_co_ci_u32_e64 v153, null, 0, v141, vcc_lo
	v_pk_fma_f16 v165, v63, v80, v66
	v_pk_fma_f16 v166, v63, v72, v68
	;; [unrolled: 1-line block ×4, first 2 shown]
	s_wait_dscnt 0x1
	v_pk_fma_f16 v173, v52, v168, v69
	v_pk_fma_f16 v174, v52, v169, v71
	;; [unrolled: 1-line block ×16, first 2 shown]
	s_wait_dscnt 0x0
	v_pk_fma_f16 v188, v56, v168, v96
	v_pk_fma_f16 v189, v56, v169, v97
	;; [unrolled: 1-line block ×3, first 2 shown]
	ds_load_2addr_b64 v[52:55], v49 offset1:32
	ds_load_2addr_b64 v[60:63], v49 offset0:64 offset1:96
	ds_load_2addr_b64 v[64:67], v49 offset0:128 offset1:160
	;; [unrolled: 1-line block ×3, first 2 shown]
	ds_load_2addr_b64 v[72:75], v48 offset1:32
	ds_load_2addr_b64 v[80:83], v48 offset0:64 offset1:96
	ds_load_b128 v[84:87], v41 offset:448
	ds_load_b128 v[88:91], v41 offset:464
	ds_load_2addr_b64 v[92:95], v48 offset0:128 offset1:160
	ds_load_2addr_b64 v[96:99], v48 offset0:192 offset1:224
	ds_load_2addr_b64 v[100:103], v47 offset1:32
	ds_load_2addr_b64 v[104:107], v47 offset0:64 offset1:96
	ds_load_2addr_b64 v[108:111], v47 offset0:128 offset1:160
	;; [unrolled: 1-line block ×3, first 2 shown]
	ds_load_2addr_b64 v[116:119], v15 offset1:32
	ds_load_2addr_b64 v[120:123], v15 offset0:64 offset1:96
	ds_load_b128 v[124:127], v41 offset:480
	ds_load_b128 v[128:131], v41 offset:496
	ds_load_2addr_b64 v[132:135], v15 offset0:128 offset1:160
	ds_load_2addr_b64 v[136:139], v15 offset0:192 offset1:224
	s_wait_loadcnt_dscnt 0x0
	s_barrier_signal -1
	s_barrier_wait -1
	global_inv scope:SCOPE_SE
	s_clause 0x3
	global_load_b128 v[140:143], v[76:77], off
	global_load_b128 v[144:147], v[76:77], off offset:512
	global_load_b128 v[148:151], v[152:153], off
	global_load_b128 v[152:155], v[152:153], off offset:512
	v_pk_fma_f16 v56, v56, v171, v156
	v_pk_fma_f16 v77, v57, v169, v158
	;; [unrolled: 1-line block ×5, first 2 shown]
	v_and_b32_e32 v162, 0xffff, v84
	v_lshrrev_b32_e32 v84, 16, v84
	v_and_b32_e32 v163, 0xffff, v85
	v_lshrrev_b32_e32 v85, 16, v85
	v_pk_fma_f16 v76, v57, v168, v157
	v_pk_fma_f16 v57, v57, v171, v160
	;; [unrolled: 1-line block ×3, first 2 shown]
	v_mul_u32_u24_e32 v162, 0x10001, v162
	v_mul_u32_u24_e32 v84, 0x10001, v84
	;; [unrolled: 1-line block ×4, first 2 shown]
	v_pk_fma_f16 v58, v58, v171, v164
	v_pk_fma_f16 v160, v59, v168, v165
	;; [unrolled: 1-line block ×21, first 2 shown]
	v_and_b32_e32 v158, 0xffff, v86
	v_lshrrev_b32_e32 v86, 16, v86
	v_and_b32_e32 v159, 0xffff, v87
	v_lshrrev_b32_e32 v87, 16, v87
	v_pk_fma_f16 v59, v59, v171, v172
	v_pk_fma_f16 v170, v53, v163, v179
	;; [unrolled: 1-line block ×13, first 2 shown]
	v_mul_u32_u24_e32 v158, 0x10001, v158
	v_mul_u32_u24_e32 v86, 0x10001, v86
	;; [unrolled: 1-line block ×4, first 2 shown]
	v_pk_fma_f16 v62, v63, v162, v160
	v_pk_fma_f16 v160, v63, v163, v164
	;; [unrolled: 1-line block ×32, first 2 shown]
	v_and_b32_e32 v84, 0xffff, v88
	v_lshrrev_b32_e32 v86, 16, v88
	v_and_b32_e32 v88, 0xffff, v89
	v_lshrrev_b32_e32 v89, 16, v89
	v_pk_fma_f16 v62, v71, v158, v62
	v_mul_u32_u24_e32 v84, 0x10001, v84
	v_mul_u32_u24_e32 v86, 0x10001, v86
	;; [unrolled: 1-line block ×4, first 2 shown]
	v_pk_fma_f16 v156, v71, v159, v160
	v_pk_fma_f16 v60, v81, v84, v60
	;; [unrolled: 1-line block ×5, first 2 shown]
	v_lshrrev_b32_e32 v81, 16, v90
	v_pk_fma_f16 v59, v71, v87, v59
	v_pk_fma_f16 v63, v72, v84, v63
	;; [unrolled: 1-line block ×20, first 2 shown]
	v_mul_u32_u24_e32 v81, 0x10001, v81
	v_pk_fma_f16 v67, v80, v84, v67
	v_pk_fma_f16 v158, v80, v88, v168
	;; [unrolled: 1-line block ×12, first 2 shown]
	v_lshrrev_b32_e32 v81, 16, v124
	v_pk_fma_f16 v77, v82, v88, v77
	v_pk_fma_f16 v58, v82, v89, v58
	v_and_b32_e32 v80, 0xffff, v90
	v_and_b32_e32 v82, 0xffff, v91
	v_mul_u32_u24_e32 v81, 0x10001, v81
	v_pk_fma_f16 v62, v83, v84, v62
	v_lshrrev_b32_e32 v84, 16, v91
	v_pk_fma_f16 v86, v83, v88, v156
	v_mul_u32_u24_e32 v80, 0x10001, v80
	v_mul_u32_u24_e32 v82, 0x10001, v82
	v_pk_fma_f16 v59, v83, v89, v59
	v_and_b32_e32 v89, 0xffff, v125
	v_pk_fma_f16 v71, v100, v81, v71
	v_pk_fma_f16 v72, v101, v81, v72
	v_pk_fma_f16 v73, v102, v81, v73
	v_pk_fma_f16 v74, v103, v81, v74
	v_pk_fma_f16 v75, v104, v81, v75
	v_pk_fma_f16 v68, v105, v81, v68
	v_pk_fma_f16 v69, v106, v81, v69
	v_pk_fma_f16 v70, v107, v81, v70
	v_lshrrev_b32_e32 v81, 16, v126
	v_mul_u32_u24_e32 v84, 0x10001, v84
	v_pk_fma_f16 v63, v92, v80, v63
	v_pk_fma_f16 v83, v92, v82, v85
	;; [unrolled: 1-line block ×15, first 2 shown]
	v_and_b32_e32 v80, 0xffff, v124
	v_lshrrev_b32_e32 v90, 16, v125
	v_pk_fma_f16 v82, v99, v82, v86
	v_mul_u32_u24_e32 v86, 0x10001, v89
	v_mul_u32_u24_e32 v81, 0x10001, v81
	v_pk_fma_f16 v52, v92, v84, v52
	v_pk_fma_f16 v53, v93, v84, v53
	;; [unrolled: 1-line block ×7, first 2 shown]
	v_mul_u32_u24_e32 v80, 0x10001, v80
	v_mul_u32_u24_e32 v89, 0x10001, v90
	v_pk_fma_f16 v59, v99, v84, v59
	v_pk_fma_f16 v84, v101, v86, v85
	;; [unrolled: 1-line block ×4, first 2 shown]
	v_and_b32_e32 v88, 0xffff, v127
	v_lshrrev_b32_e32 v90, 16, v127
	v_pk_fma_f16 v71, v108, v81, v71
	v_pk_fma_f16 v72, v109, v81, v72
	;; [unrolled: 1-line block ×8, first 2 shown]
	v_lshrrev_b32_e32 v81, 16, v128
	v_pk_fma_f16 v63, v100, v80, v63
	v_pk_fma_f16 v83, v100, v86, v83
	;; [unrolled: 1-line block ×19, first 2 shown]
	v_and_b32_e32 v80, 0xffff, v126
	v_pk_fma_f16 v82, v107, v86, v82
	v_mul_u32_u24_e32 v86, 0x10001, v88
	v_mul_u32_u24_e32 v88, 0x10001, v90
	v_pk_fma_f16 v59, v107, v89, v59
	v_and_b32_e32 v89, 0xffff, v129
	v_lshrrev_b32_e32 v90, 16, v129
	v_mul_u32_u24_e32 v81, 0x10001, v81
	v_mul_u32_u24_e32 v80, 0x10001, v80
	v_pk_fma_f16 v83, v108, v86, v83
	v_pk_fma_f16 v52, v108, v88, v52
	;; [unrolled: 1-line block ×12, first 2 shown]
	v_mul_u32_u24_e32 v86, 0x10001, v89
	v_mul_u32_u24_e32 v89, 0x10001, v90
	v_pk_fma_f16 v71, v116, v81, v71
	v_pk_fma_f16 v72, v117, v81, v72
	;; [unrolled: 1-line block ×8, first 2 shown]
	v_lshrrev_b32_e32 v81, 16, v131
	v_pk_fma_f16 v63, v108, v80, v63
	v_pk_fma_f16 v64, v109, v80, v64
	;; [unrolled: 1-line block ×11, first 2 shown]
	v_and_b32_e32 v80, 0xffff, v128
	v_pk_fma_f16 v59, v115, v88, v59
	v_pk_fma_f16 v52, v116, v89, v52
	v_pk_fma_f16 v53, v117, v89, v53
	v_pk_fma_f16 v54, v118, v89, v54
	v_pk_fma_f16 v88, v119, v89, v55
	v_and_b32_e32 v55, 0xffff, v130
	v_mul_u32_u24_e32 v81, 0x10001, v81
	v_mul_u32_u24_e32 v80, 0x10001, v80
	v_pk_fma_f16 v83, v116, v86, v83
	v_pk_fma_f16 v84, v117, v86, v84
	;; [unrolled: 1-line block ×8, first 2 shown]
	v_mul_u32_u24_e32 v86, 0x10001, v55
	v_pk_fma_f16 v94, v132, v81, v52
	v_pk_fma_f16 v97, v133, v81, v53
	v_pk_fma_f16 v100, v134, v81, v54
	s_wait_loadcnt 0x3
	ds_store_b128 v42, v[140:143]
	s_wait_loadcnt 0x2
	ds_store_b128 v43, v[144:147]
	s_wait_loadcnt 0x1
	ds_store_b128 v44, v[148:151]
	s_wait_loadcnt 0x0
	ds_store_b128 v45, v[152:155]
	s_wait_dscnt 0x0
	s_barrier_signal -1
	s_barrier_wait -1
	global_inv scope:SCOPE_SE
	ds_load_b128 v[52:55], v41 offset:512
	v_pk_fma_f16 v64, v117, v80, v64
	v_pk_fma_f16 v65, v118, v80, v65
	;; [unrolled: 1-line block ×7, first 2 shown]
	v_lshrrev_b32_e32 v58, 16, v130
	v_pk_fma_f16 v89, v123, v89, v59
	v_pk_fma_f16 v95, v133, v86, v64
	;; [unrolled: 1-line block ×4, first 2 shown]
	v_mul_u32_u24_e32 v91, 0x10001, v58
	v_pk_fma_f16 v103, v136, v86, v67
	v_pk_fma_f16 v105, v136, v81, v56
	;; [unrolled: 1-line block ×3, first 2 shown]
	ds_load_2addr_b64 v[56:59], v14 offset1:32
	ds_load_2addr_b64 v[64:67], v14 offset0:64 offset1:96
	v_pk_fma_f16 v63, v116, v80, v63
	v_pk_fma_f16 v60, v121, v80, v60
	;; [unrolled: 1-line block ×4, first 2 shown]
	v_and_b32_e32 v80, 0xffff, v131
	v_pk_fma_f16 v92, v132, v86, v63
	v_pk_fma_f16 v106, v137, v86, v60
	;; [unrolled: 1-line block ×4, first 2 shown]
	v_mul_u32_u24_e32 v80, 0x10001, v80
	v_pk_fma_f16 v110, v138, v91, v69
	v_pk_fma_f16 v86, v139, v86, v62
	ds_load_b128 v[60:63], v41 offset:528
	s_wait_dscnt 0x3
	v_and_b32_e32 v68, 0xffff, v52
	v_lshrrev_b32_e32 v52, 16, v52
	v_and_b32_e32 v69, 0xffff, v53
	v_lshrrev_b32_e32 v53, 16, v53
	v_pk_fma_f16 v93, v132, v91, v71
	v_pk_fma_f16 v83, v132, v80, v83
	;; [unrolled: 1-line block ×17, first 2 shown]
	v_mul_u32_u24_e32 v82, 0x10001, v68
	v_mul_u32_u24_e32 v52, 0x10001, v52
	;; [unrolled: 1-line block ×4, first 2 shown]
	ds_load_b128 v[68:71], v41 offset:544
	ds_load_b128 v[72:75], v41 offset:560
	s_wait_dscnt 0x4
	v_pk_fma_f16 v92, v56, v82, v92
	v_pk_fma_f16 v93, v56, v52, v93
	v_pk_fma_f16 v83, v56, v89, v83
	v_pk_fma_f16 v94, v56, v111, v94
	v_pk_fma_f16 v95, v57, v82, v95
	v_pk_fma_f16 v96, v57, v52, v96
	v_pk_fma_f16 v84, v57, v89, v84
	v_pk_fma_f16 v97, v57, v111, v97
	v_pk_fma_f16 v98, v58, v82, v98
	v_pk_fma_f16 v99, v58, v52, v99
	v_pk_fma_f16 v85, v58, v89, v85
	v_pk_fma_f16 v100, v58, v111, v100
	v_pk_fma_f16 v101, v59, v82, v101
	v_pk_fma_f16 v102, v59, v52, v102
	v_pk_fma_f16 v78, v59, v89, v78
	v_pk_fma_f16 v88, v59, v111, v88
	s_wait_dscnt 0x3
	v_pk_fma_f16 v103, v64, v82, v103
	v_pk_fma_f16 v104, v64, v52, v104
	;; [unrolled: 1-line block ×6, first 2 shown]
	ds_load_2addr_b64 v[56:59], v14 offset0:128 offset1:160
	v_pk_fma_f16 v76, v65, v89, v76
	v_pk_fma_f16 v65, v65, v111, v108
	;; [unrolled: 1-line block ×9, first 2 shown]
	v_and_b32_e32 v89, 0xffff, v54
	v_lshrrev_b32_e32 v90, 16, v54
	v_and_b32_e32 v91, 0xffff, v55
	v_lshrrev_b32_e32 v109, 16, v55
	ds_load_2addr_b64 v[52:55], v14 offset0:192 offset1:224
	v_mul_u32_u24_e32 v89, 0x10001, v89
	v_mul_u32_u24_e32 v90, 0x10001, v90
	;; [unrolled: 1-line block ×4, first 2 shown]
	v_pk_fma_f16 v81, v67, v111, v81
	s_wait_dscnt 0x1
	v_pk_fma_f16 v92, v56, v89, v92
	v_pk_fma_f16 v93, v56, v90, v93
	;; [unrolled: 1-line block ×16, first 2 shown]
	s_wait_dscnt 0x0
	v_pk_fma_f16 v103, v52, v89, v103
	v_pk_fma_f16 v104, v52, v90, v104
	;; [unrolled: 1-line block ×4, first 2 shown]
	ds_load_2addr_b64 v[56:59], v13 offset1:32
	v_pk_fma_f16 v110, v53, v109, v65
	v_pk_fma_f16 v111, v54, v109, v66
	ds_load_2addr_b64 v[64:67], v13 offset0:64 offset1:96
	v_pk_fma_f16 v105, v53, v89, v105
	v_pk_fma_f16 v106, v53, v90, v106
	;; [unrolled: 1-line block ×6, first 2 shown]
	v_and_b32_e32 v53, 0xffff, v60
	v_lshrrev_b32_e32 v54, 16, v60
	v_and_b32_e32 v60, 0xffff, v61
	v_lshrrev_b32_e32 v61, 16, v61
	v_pk_fma_f16 v82, v55, v89, v82
	v_pk_fma_f16 v86, v55, v90, v86
	v_mul_u32_u24_e32 v89, 0x10001, v53
	v_mul_u32_u24_e32 v90, 0x10001, v54
	v_mul_u32_u24_e32 v60, 0x10001, v60
	v_mul_u32_u24_e32 v61, 0x10001, v61
	v_pk_fma_f16 v80, v55, v91, v80
	v_pk_fma_f16 v81, v55, v109, v81
	s_wait_dscnt 0x1
	v_pk_fma_f16 v91, v56, v89, v92
	v_pk_fma_f16 v92, v56, v90, v93
	;; [unrolled: 1-line block ×16, first 2 shown]
	s_wait_dscnt 0x0
	v_pk_fma_f16 v102, v64, v89, v103
	v_pk_fma_f16 v103, v64, v90, v104
	;; [unrolled: 1-line block ×4, first 2 shown]
	ds_load_2addr_b64 v[52:55], v13 offset0:128 offset1:160
	ds_load_2addr_b64 v[56:59], v13 offset0:192 offset1:224
	v_pk_fma_f16 v104, v65, v89, v105
	v_pk_fma_f16 v105, v65, v90, v106
	;; [unrolled: 1-line block ×7, first 2 shown]
	v_and_b32_e32 v80, 0xffff, v62
	v_lshrrev_b32_e32 v62, 16, v62
	v_and_b32_e32 v89, 0xffff, v63
	v_lshrrev_b32_e32 v63, 16, v63
	v_pk_fma_f16 v65, v65, v61, v110
	v_pk_fma_f16 v107, v66, v90, v108
	;; [unrolled: 1-line block ×4, first 2 shown]
	v_mul_u32_u24_e32 v80, 0x10001, v80
	v_mul_u32_u24_e32 v62, 0x10001, v62
	;; [unrolled: 1-line block ×4, first 2 shown]
	v_pk_fma_f16 v67, v67, v61, v81
	s_wait_dscnt 0x1
	v_pk_fma_f16 v81, v52, v80, v91
	v_pk_fma_f16 v91, v52, v62, v92
	;; [unrolled: 1-line block ×16, first 2 shown]
	s_wait_dscnt 0x0
	v_pk_fma_f16 v101, v56, v80, v102
	v_pk_fma_f16 v102, v56, v62, v103
	;; [unrolled: 1-line block ×6, first 2 shown]
	ds_load_2addr_b64 v[52:55], v50 offset1:32
	v_pk_fma_f16 v76, v57, v89, v76
	v_pk_fma_f16 v57, v57, v90, v65
	;; [unrolled: 1-line block ×9, first 2 shown]
	ds_load_2addr_b64 v[60:63], v50 offset0:64 offset1:96
	v_and_b32_e32 v86, 0xffff, v68
	v_lshrrev_b32_e32 v68, 16, v68
	v_and_b32_e32 v89, 0xffff, v69
	v_lshrrev_b32_e32 v69, 16, v69
	v_pk_fma_f16 v67, v59, v90, v67
	v_mul_u32_u24_e32 v86, 0x10001, v86
	v_mul_u32_u24_e32 v68, 0x10001, v68
	;; [unrolled: 1-line block ×4, first 2 shown]
	s_or_b32 s26, s4, 0x50
	s_wait_dscnt 0x1
	v_pk_fma_f16 v81, v52, v86, v81
	v_pk_fma_f16 v90, v52, v68, v91
	v_pk_fma_f16 v83, v52, v89, v83
	v_pk_fma_f16 v91, v52, v69, v92
	v_pk_fma_f16 v92, v53, v86, v93
	v_pk_fma_f16 v93, v53, v68, v94
	v_pk_fma_f16 v84, v53, v89, v84
	v_pk_fma_f16 v94, v53, v69, v95
	v_pk_fma_f16 v95, v54, v86, v96
	v_pk_fma_f16 v96, v54, v68, v97
	v_pk_fma_f16 v85, v54, v89, v85
	v_pk_fma_f16 v97, v54, v69, v98
	v_pk_fma_f16 v98, v55, v86, v99
	v_pk_fma_f16 v99, v55, v68, v100
	v_pk_fma_f16 v78, v55, v89, v78
	v_pk_fma_f16 v88, v55, v69, v88
	s_wait_dscnt 0x0
	v_pk_fma_f16 v100, v60, v86, v101
	v_pk_fma_f16 v101, v60, v68, v102
	v_pk_fma_f16 v87, v60, v89, v87
	v_pk_fma_f16 v60, v60, v69, v56
	v_pk_fma_f16 v64, v61, v86, v64
	v_pk_fma_f16 v102, v61, v68, v103
	ds_load_2addr_b64 v[52:55], v50 offset0:128 offset1:160
	v_pk_fma_f16 v76, v61, v89, v76
	v_pk_fma_f16 v61, v61, v69, v57
	;; [unrolled: 1-line block ×6, first 2 shown]
	ds_load_2addr_b64 v[56:59], v50 offset0:192 offset1:224
	v_pk_fma_f16 v66, v63, v86, v66
	v_pk_fma_f16 v68, v63, v68, v80
	;; [unrolled: 1-line block ×3, first 2 shown]
	v_and_b32_e32 v82, 0xffff, v70
	v_lshrrev_b32_e32 v70, 16, v70
	v_and_b32_e32 v86, 0xffff, v71
	v_lshrrev_b32_e32 v71, 16, v71
	v_pk_fma_f16 v67, v63, v69, v67
	v_mul_u32_u24_e32 v82, 0x10001, v82
	v_mul_u32_u24_e32 v70, 0x10001, v70
	;; [unrolled: 1-line block ×4, first 2 shown]
	s_wait_alu 0xfffe
	s_ashr_i32 s27, s26, 31
	s_wait_dscnt 0x1
	v_pk_fma_f16 v69, v52, v82, v81
	v_pk_fma_f16 v81, v52, v70, v90
	;; [unrolled: 1-line block ×16, first 2 shown]
	s_wait_dscnt 0x0
	v_pk_fma_f16 v98, v56, v82, v100
	v_pk_fma_f16 v99, v56, v70, v101
	;; [unrolled: 1-line block ×6, first 2 shown]
	ds_load_2addr_b64 v[52:55], v51 offset1:32
	v_pk_fma_f16 v76, v57, v86, v76
	v_pk_fma_f16 v57, v57, v71, v61
	v_pk_fma_f16 v65, v58, v82, v65
	v_pk_fma_f16 v101, v58, v70, v103
	v_pk_fma_f16 v77, v58, v86, v77
	v_pk_fma_f16 v58, v58, v71, v62
	ds_load_2addr_b64 v[60:63], v51 offset0:64 offset1:96
	v_pk_fma_f16 v66, v59, v82, v66
	v_pk_fma_f16 v68, v59, v70, v68
	;; [unrolled: 1-line block ×3, first 2 shown]
	v_and_b32_e32 v80, 0xffff, v72
	v_lshrrev_b32_e32 v72, 16, v72
	v_and_b32_e32 v82, 0xffff, v73
	v_lshrrev_b32_e32 v73, 16, v73
	v_pk_fma_f16 v67, v59, v71, v67
	v_mul_u32_u24_e32 v80, 0x10001, v80
	v_mul_u32_u24_e32 v72, 0x10001, v72
	;; [unrolled: 1-line block ×4, first 2 shown]
	s_wait_alu 0xfffe
	s_mul_u64 s[26:27], s[26:27], s[14:15]
	s_wait_dscnt 0x1
	v_pk_fma_f16 v69, v52, v80, v69
	v_pk_fma_f16 v71, v52, v72, v81
	;; [unrolled: 1-line block ×16, first 2 shown]
	s_wait_dscnt 0x0
	v_pk_fma_f16 v156, v60, v73, v56
	ds_load_2addr_b64 v[52:55], v51 offset0:128 offset1:160
	v_pk_fma_f16 v160, v61, v73, v57
	v_pk_fma_f16 v164, v62, v73, v58
	ds_load_2addr_b64 v[56:59], v51 offset0:192 offset1:224
	s_wait_alu 0xfffe
	s_lshl_b64 s[26:27], s[26:27], 2
	v_pk_fma_f16 v159, v61, v82, v76
	s_wait_alu 0xfffe
	s_add_nc_u64 s[26:27], s[8:9], s[26:27]
	v_pk_fma_f16 v96, v60, v80, v98
	s_wait_alu 0xfffe
	v_add_co_u32 v76, vcc_lo, s26, v27
	v_pk_fma_f16 v97, v60, v72, v99
	v_pk_fma_f16 v87, v60, v82, v87
	;; [unrolled: 1-line block ×7, first 2 shown]
	v_and_b32_e32 v60, 0xffff, v74
	v_lshrrev_b32_e32 v61, 16, v74
	v_and_b32_e32 v62, 0xffff, v75
	v_lshrrev_b32_e32 v64, 16, v75
	s_wait_alu 0xfffd
	v_add_co_ci_u32_e64 v77, null, s27, v28, vcc_lo
	v_add_co_u32 v140, vcc_lo, s26, v29
	s_wait_alu 0xfffd
	v_add_co_ci_u32_e64 v141, null, s27, v30, vcc_lo
	v_add_co_u32 v76, vcc_lo, v76, v79
	v_mul_u32_u24_e32 v168, 0x10001, v60
	v_mul_u32_u24_e32 v169, 0x10001, v61
	;; [unrolled: 1-line block ×4, first 2 shown]
	s_wait_alu 0xfffd
	v_add_co_ci_u32_e64 v77, null, 0, v77, vcc_lo
	v_add_co_u32 v152, vcc_lo, v140, v79
	s_wait_alu 0xfffd
	v_add_co_ci_u32_e64 v153, null, 0, v141, vcc_lo
	v_pk_fma_f16 v165, v63, v80, v66
	v_pk_fma_f16 v166, v63, v72, v68
	;; [unrolled: 1-line block ×4, first 2 shown]
	s_wait_dscnt 0x1
	v_pk_fma_f16 v173, v52, v168, v69
	v_pk_fma_f16 v174, v52, v169, v71
	;; [unrolled: 1-line block ×16, first 2 shown]
	s_wait_dscnt 0x0
	v_pk_fma_f16 v188, v56, v168, v96
	v_pk_fma_f16 v189, v56, v169, v97
	;; [unrolled: 1-line block ×3, first 2 shown]
	ds_load_2addr_b64 v[52:55], v49 offset1:32
	ds_load_2addr_b64 v[60:63], v49 offset0:64 offset1:96
	ds_load_2addr_b64 v[64:67], v49 offset0:128 offset1:160
	;; [unrolled: 1-line block ×3, first 2 shown]
	ds_load_2addr_b64 v[72:75], v48 offset1:32
	ds_load_2addr_b64 v[80:83], v48 offset0:64 offset1:96
	ds_load_b128 v[84:87], v41 offset:576
	ds_load_b128 v[88:91], v41 offset:592
	ds_load_2addr_b64 v[92:95], v48 offset0:128 offset1:160
	ds_load_2addr_b64 v[96:99], v48 offset0:192 offset1:224
	ds_load_2addr_b64 v[100:103], v47 offset1:32
	ds_load_2addr_b64 v[104:107], v47 offset0:64 offset1:96
	ds_load_2addr_b64 v[108:111], v47 offset0:128 offset1:160
	ds_load_2addr_b64 v[112:115], v47 offset0:192 offset1:224
	ds_load_2addr_b64 v[116:119], v15 offset1:32
	ds_load_2addr_b64 v[120:123], v15 offset0:64 offset1:96
	ds_load_b128 v[124:127], v41 offset:608
	ds_load_b128 v[128:131], v41 offset:624
	ds_load_2addr_b64 v[132:135], v15 offset0:128 offset1:160
	ds_load_2addr_b64 v[136:139], v15 offset0:192 offset1:224
	s_wait_loadcnt_dscnt 0x0
	s_barrier_signal -1
	s_barrier_wait -1
	global_inv scope:SCOPE_SE
	s_clause 0x3
	global_load_b128 v[140:143], v[76:77], off
	global_load_b128 v[144:147], v[76:77], off offset:512
	global_load_b128 v[148:151], v[152:153], off
	global_load_b128 v[152:155], v[152:153], off offset:512
	v_pk_fma_f16 v56, v56, v171, v156
	v_pk_fma_f16 v77, v57, v169, v158
	;; [unrolled: 1-line block ×5, first 2 shown]
	v_and_b32_e32 v162, 0xffff, v84
	v_lshrrev_b32_e32 v84, 16, v84
	v_and_b32_e32 v163, 0xffff, v85
	v_lshrrev_b32_e32 v85, 16, v85
	v_pk_fma_f16 v76, v57, v168, v157
	v_pk_fma_f16 v57, v57, v171, v160
	;; [unrolled: 1-line block ×3, first 2 shown]
	v_mul_u32_u24_e32 v162, 0x10001, v162
	v_mul_u32_u24_e32 v84, 0x10001, v84
	;; [unrolled: 1-line block ×4, first 2 shown]
	v_pk_fma_f16 v58, v58, v171, v164
	v_pk_fma_f16 v160, v59, v168, v165
	v_pk_fma_f16 v161, v59, v169, v166
	v_pk_fma_f16 v164, v59, v170, v167
	v_pk_fma_f16 v165, v52, v162, v173
	v_pk_fma_f16 v166, v52, v84, v174
	v_pk_fma_f16 v167, v52, v163, v175
	v_pk_fma_f16 v52, v52, v85, v176
	v_pk_fma_f16 v168, v53, v162, v177
	v_pk_fma_f16 v169, v53, v84, v178
	v_pk_fma_f16 v176, v60, v162, v188
	v_pk_fma_f16 v177, v60, v84, v189
	v_pk_fma_f16 v178, v60, v163, v190
	v_pk_fma_f16 v56, v60, v85, v56
	v_pk_fma_f16 v60, v61, v162, v76
	v_pk_fma_f16 v76, v61, v84, v77
	v_pk_fma_f16 v77, v61, v163, v156
	v_pk_fma_f16 v57, v61, v85, v57
	v_pk_fma_f16 v61, v62, v162, v157
	v_pk_fma_f16 v156, v62, v84, v158
	v_pk_fma_f16 v157, v62, v163, v159
	v_and_b32_e32 v158, 0xffff, v86
	v_lshrrev_b32_e32 v86, 16, v86
	v_and_b32_e32 v159, 0xffff, v87
	v_lshrrev_b32_e32 v87, 16, v87
	v_pk_fma_f16 v59, v59, v171, v172
	v_pk_fma_f16 v170, v53, v163, v179
	;; [unrolled: 1-line block ×13, first 2 shown]
	v_mul_u32_u24_e32 v158, 0x10001, v158
	v_mul_u32_u24_e32 v86, 0x10001, v86
	;; [unrolled: 1-line block ×4, first 2 shown]
	v_pk_fma_f16 v62, v63, v162, v160
	v_pk_fma_f16 v160, v63, v163, v164
	;; [unrolled: 1-line block ×32, first 2 shown]
	v_and_b32_e32 v84, 0xffff, v88
	v_lshrrev_b32_e32 v86, 16, v88
	v_and_b32_e32 v88, 0xffff, v89
	v_lshrrev_b32_e32 v89, 16, v89
	v_pk_fma_f16 v62, v71, v158, v62
	v_mul_u32_u24_e32 v84, 0x10001, v84
	v_mul_u32_u24_e32 v86, 0x10001, v86
	v_mul_u32_u24_e32 v88, 0x10001, v88
	v_mul_u32_u24_e32 v89, 0x10001, v89
	v_pk_fma_f16 v156, v71, v159, v160
	v_pk_fma_f16 v60, v81, v84, v60
	v_pk_fma_f16 v68, v81, v86, v68
	v_pk_fma_f16 v76, v81, v88, v76
	v_pk_fma_f16 v57, v81, v89, v57
	v_lshrrev_b32_e32 v81, 16, v90
	v_pk_fma_f16 v59, v71, v87, v59
	v_pk_fma_f16 v63, v72, v84, v63
	;; [unrolled: 1-line block ×20, first 2 shown]
	v_mul_u32_u24_e32 v81, 0x10001, v81
	v_pk_fma_f16 v67, v80, v84, v67
	v_pk_fma_f16 v158, v80, v88, v168
	;; [unrolled: 1-line block ×12, first 2 shown]
	v_lshrrev_b32_e32 v81, 16, v124
	v_pk_fma_f16 v77, v82, v88, v77
	v_pk_fma_f16 v58, v82, v89, v58
	v_and_b32_e32 v80, 0xffff, v90
	v_and_b32_e32 v82, 0xffff, v91
	v_mul_u32_u24_e32 v81, 0x10001, v81
	v_pk_fma_f16 v62, v83, v84, v62
	v_lshrrev_b32_e32 v84, 16, v91
	v_pk_fma_f16 v86, v83, v88, v156
	v_mul_u32_u24_e32 v80, 0x10001, v80
	v_mul_u32_u24_e32 v82, 0x10001, v82
	v_pk_fma_f16 v59, v83, v89, v59
	v_and_b32_e32 v89, 0xffff, v125
	v_pk_fma_f16 v71, v100, v81, v71
	v_pk_fma_f16 v72, v101, v81, v72
	;; [unrolled: 1-line block ×8, first 2 shown]
	v_lshrrev_b32_e32 v81, 16, v126
	v_mul_u32_u24_e32 v84, 0x10001, v84
	v_pk_fma_f16 v63, v92, v80, v63
	v_pk_fma_f16 v83, v92, v82, v85
	;; [unrolled: 1-line block ×15, first 2 shown]
	v_and_b32_e32 v80, 0xffff, v124
	v_lshrrev_b32_e32 v90, 16, v125
	v_pk_fma_f16 v82, v99, v82, v86
	v_mul_u32_u24_e32 v86, 0x10001, v89
	v_mul_u32_u24_e32 v81, 0x10001, v81
	v_pk_fma_f16 v52, v92, v84, v52
	v_pk_fma_f16 v53, v93, v84, v53
	;; [unrolled: 1-line block ×7, first 2 shown]
	v_mul_u32_u24_e32 v80, 0x10001, v80
	v_mul_u32_u24_e32 v89, 0x10001, v90
	v_pk_fma_f16 v59, v99, v84, v59
	v_pk_fma_f16 v84, v101, v86, v85
	v_pk_fma_f16 v85, v102, v86, v87
	v_pk_fma_f16 v87, v104, v86, v88
	v_and_b32_e32 v88, 0xffff, v127
	v_lshrrev_b32_e32 v90, 16, v127
	v_pk_fma_f16 v71, v108, v81, v71
	v_pk_fma_f16 v72, v109, v81, v72
	v_pk_fma_f16 v73, v110, v81, v73
	v_pk_fma_f16 v74, v111, v81, v74
	v_pk_fma_f16 v75, v112, v81, v75
	v_pk_fma_f16 v68, v113, v81, v68
	v_pk_fma_f16 v69, v114, v81, v69
	v_pk_fma_f16 v70, v115, v81, v70
	v_lshrrev_b32_e32 v81, 16, v128
	v_pk_fma_f16 v63, v100, v80, v63
	v_pk_fma_f16 v83, v100, v86, v83
	;; [unrolled: 1-line block ×19, first 2 shown]
	v_and_b32_e32 v80, 0xffff, v126
	v_pk_fma_f16 v82, v107, v86, v82
	v_mul_u32_u24_e32 v86, 0x10001, v88
	v_mul_u32_u24_e32 v88, 0x10001, v90
	v_pk_fma_f16 v59, v107, v89, v59
	v_and_b32_e32 v89, 0xffff, v129
	v_lshrrev_b32_e32 v90, 16, v129
	v_mul_u32_u24_e32 v81, 0x10001, v81
	v_mul_u32_u24_e32 v80, 0x10001, v80
	v_pk_fma_f16 v83, v108, v86, v83
	v_pk_fma_f16 v52, v108, v88, v52
	v_pk_fma_f16 v84, v109, v86, v84
	v_pk_fma_f16 v53, v109, v88, v53
	v_pk_fma_f16 v85, v110, v86, v85
	v_pk_fma_f16 v54, v110, v88, v54
	v_pk_fma_f16 v78, v111, v86, v78
	v_pk_fma_f16 v55, v111, v88, v55
	v_pk_fma_f16 v87, v112, v86, v87
	v_pk_fma_f16 v76, v113, v86, v76
	v_pk_fma_f16 v77, v114, v86, v77
	v_pk_fma_f16 v82, v115, v86, v82
	v_mul_u32_u24_e32 v86, 0x10001, v89
	v_mul_u32_u24_e32 v89, 0x10001, v90
	v_pk_fma_f16 v71, v116, v81, v71
	v_pk_fma_f16 v72, v117, v81, v72
	;; [unrolled: 1-line block ×8, first 2 shown]
	v_lshrrev_b32_e32 v81, 16, v131
	v_pk_fma_f16 v63, v108, v80, v63
	v_pk_fma_f16 v64, v109, v80, v64
	;; [unrolled: 1-line block ×11, first 2 shown]
	v_and_b32_e32 v80, 0xffff, v128
	v_pk_fma_f16 v59, v115, v88, v59
	v_pk_fma_f16 v52, v116, v89, v52
	;; [unrolled: 1-line block ×5, first 2 shown]
	v_and_b32_e32 v55, 0xffff, v130
	v_mul_u32_u24_e32 v81, 0x10001, v81
	v_mul_u32_u24_e32 v80, 0x10001, v80
	v_pk_fma_f16 v83, v116, v86, v83
	v_pk_fma_f16 v84, v117, v86, v84
	;; [unrolled: 1-line block ×8, first 2 shown]
	v_mul_u32_u24_e32 v86, 0x10001, v55
	v_pk_fma_f16 v94, v132, v81, v52
	v_pk_fma_f16 v97, v133, v81, v53
	;; [unrolled: 1-line block ×3, first 2 shown]
	s_wait_loadcnt 0x3
	ds_store_b128 v42, v[140:143]
	s_wait_loadcnt 0x2
	ds_store_b128 v43, v[144:147]
	;; [unrolled: 2-line block ×4, first 2 shown]
	s_wait_dscnt 0x0
	s_barrier_signal -1
	s_barrier_wait -1
	global_inv scope:SCOPE_SE
	ds_load_b128 v[52:55], v41 offset:640
	v_pk_fma_f16 v64, v117, v80, v64
	v_pk_fma_f16 v65, v118, v80, v65
	;; [unrolled: 1-line block ×7, first 2 shown]
	v_lshrrev_b32_e32 v58, 16, v130
	v_pk_fma_f16 v89, v123, v89, v59
	v_pk_fma_f16 v95, v133, v86, v64
	;; [unrolled: 1-line block ×4, first 2 shown]
	v_mul_u32_u24_e32 v91, 0x10001, v58
	v_pk_fma_f16 v103, v136, v86, v67
	v_pk_fma_f16 v105, v136, v81, v56
	;; [unrolled: 1-line block ×3, first 2 shown]
	ds_load_2addr_b64 v[56:59], v14 offset1:32
	ds_load_2addr_b64 v[64:67], v14 offset0:64 offset1:96
	v_pk_fma_f16 v63, v116, v80, v63
	v_pk_fma_f16 v60, v121, v80, v60
	;; [unrolled: 1-line block ×4, first 2 shown]
	v_and_b32_e32 v80, 0xffff, v131
	v_pk_fma_f16 v92, v132, v86, v63
	v_pk_fma_f16 v106, v137, v86, v60
	;; [unrolled: 1-line block ×4, first 2 shown]
	v_mul_u32_u24_e32 v80, 0x10001, v80
	v_pk_fma_f16 v110, v138, v91, v69
	v_pk_fma_f16 v86, v139, v86, v62
	ds_load_b128 v[60:63], v41 offset:656
	s_wait_dscnt 0x3
	v_and_b32_e32 v68, 0xffff, v52
	v_lshrrev_b32_e32 v52, 16, v52
	v_and_b32_e32 v69, 0xffff, v53
	v_lshrrev_b32_e32 v53, 16, v53
	v_pk_fma_f16 v93, v132, v91, v71
	v_pk_fma_f16 v83, v132, v80, v83
	;; [unrolled: 1-line block ×17, first 2 shown]
	v_mul_u32_u24_e32 v82, 0x10001, v68
	v_mul_u32_u24_e32 v52, 0x10001, v52
	;; [unrolled: 1-line block ×4, first 2 shown]
	ds_load_b128 v[68:71], v41 offset:672
	ds_load_b128 v[72:75], v41 offset:688
	s_wait_dscnt 0x4
	v_pk_fma_f16 v92, v56, v82, v92
	v_pk_fma_f16 v93, v56, v52, v93
	;; [unrolled: 1-line block ×16, first 2 shown]
	s_wait_dscnt 0x3
	v_pk_fma_f16 v103, v64, v82, v103
	v_pk_fma_f16 v104, v64, v52, v104
	;; [unrolled: 1-line block ×6, first 2 shown]
	ds_load_2addr_b64 v[56:59], v14 offset0:128 offset1:160
	v_pk_fma_f16 v76, v65, v89, v76
	v_pk_fma_f16 v65, v65, v111, v108
	;; [unrolled: 1-line block ×9, first 2 shown]
	v_and_b32_e32 v89, 0xffff, v54
	v_lshrrev_b32_e32 v90, 16, v54
	v_and_b32_e32 v91, 0xffff, v55
	v_lshrrev_b32_e32 v109, 16, v55
	ds_load_2addr_b64 v[52:55], v14 offset0:192 offset1:224
	v_mul_u32_u24_e32 v89, 0x10001, v89
	v_mul_u32_u24_e32 v90, 0x10001, v90
	;; [unrolled: 1-line block ×4, first 2 shown]
	v_pk_fma_f16 v81, v67, v111, v81
	s_wait_dscnt 0x1
	v_pk_fma_f16 v92, v56, v89, v92
	v_pk_fma_f16 v93, v56, v90, v93
	;; [unrolled: 1-line block ×16, first 2 shown]
	s_wait_dscnt 0x0
	v_pk_fma_f16 v103, v52, v89, v103
	v_pk_fma_f16 v104, v52, v90, v104
	;; [unrolled: 1-line block ×4, first 2 shown]
	ds_load_2addr_b64 v[56:59], v13 offset1:32
	v_pk_fma_f16 v110, v53, v109, v65
	v_pk_fma_f16 v111, v54, v109, v66
	ds_load_2addr_b64 v[64:67], v13 offset0:64 offset1:96
	v_pk_fma_f16 v105, v53, v89, v105
	v_pk_fma_f16 v106, v53, v90, v106
	;; [unrolled: 1-line block ×6, first 2 shown]
	v_and_b32_e32 v53, 0xffff, v60
	v_lshrrev_b32_e32 v54, 16, v60
	v_and_b32_e32 v60, 0xffff, v61
	v_lshrrev_b32_e32 v61, 16, v61
	v_pk_fma_f16 v82, v55, v89, v82
	v_pk_fma_f16 v86, v55, v90, v86
	v_mul_u32_u24_e32 v89, 0x10001, v53
	v_mul_u32_u24_e32 v90, 0x10001, v54
	;; [unrolled: 1-line block ×4, first 2 shown]
	v_pk_fma_f16 v80, v55, v91, v80
	v_pk_fma_f16 v81, v55, v109, v81
	s_wait_dscnt 0x1
	v_pk_fma_f16 v91, v56, v89, v92
	v_pk_fma_f16 v92, v56, v90, v93
	;; [unrolled: 1-line block ×16, first 2 shown]
	s_wait_dscnt 0x0
	v_pk_fma_f16 v102, v64, v89, v103
	v_pk_fma_f16 v103, v64, v90, v104
	;; [unrolled: 1-line block ×4, first 2 shown]
	ds_load_2addr_b64 v[52:55], v13 offset0:128 offset1:160
	ds_load_2addr_b64 v[56:59], v13 offset0:192 offset1:224
	v_pk_fma_f16 v104, v65, v89, v105
	v_pk_fma_f16 v105, v65, v90, v106
	;; [unrolled: 1-line block ×7, first 2 shown]
	v_and_b32_e32 v80, 0xffff, v62
	v_lshrrev_b32_e32 v62, 16, v62
	v_and_b32_e32 v89, 0xffff, v63
	v_lshrrev_b32_e32 v63, 16, v63
	v_pk_fma_f16 v65, v65, v61, v110
	v_pk_fma_f16 v107, v66, v90, v108
	;; [unrolled: 1-line block ×4, first 2 shown]
	v_mul_u32_u24_e32 v80, 0x10001, v80
	v_mul_u32_u24_e32 v62, 0x10001, v62
	;; [unrolled: 1-line block ×4, first 2 shown]
	v_pk_fma_f16 v67, v67, v61, v81
	s_wait_dscnt 0x1
	v_pk_fma_f16 v81, v52, v80, v91
	v_pk_fma_f16 v91, v52, v62, v92
	v_pk_fma_f16 v83, v52, v89, v83
	v_pk_fma_f16 v92, v52, v90, v93
	v_pk_fma_f16 v93, v53, v80, v94
	v_pk_fma_f16 v94, v53, v62, v95
	v_pk_fma_f16 v84, v53, v89, v84
	v_pk_fma_f16 v95, v53, v90, v96
	v_pk_fma_f16 v96, v54, v80, v97
	v_pk_fma_f16 v97, v54, v62, v98
	v_pk_fma_f16 v85, v54, v89, v85
	v_pk_fma_f16 v98, v54, v90, v99
	v_pk_fma_f16 v99, v55, v80, v100
	v_pk_fma_f16 v100, v55, v62, v101
	v_pk_fma_f16 v78, v55, v89, v78
	v_pk_fma_f16 v88, v55, v90, v88
	s_wait_dscnt 0x0
	v_pk_fma_f16 v101, v56, v80, v102
	v_pk_fma_f16 v102, v56, v62, v103
	;; [unrolled: 1-line block ×6, first 2 shown]
	ds_load_2addr_b64 v[52:55], v50 offset1:32
	v_pk_fma_f16 v76, v57, v89, v76
	v_pk_fma_f16 v57, v57, v90, v65
	;; [unrolled: 1-line block ×9, first 2 shown]
	ds_load_2addr_b64 v[60:63], v50 offset0:64 offset1:96
	v_and_b32_e32 v86, 0xffff, v68
	v_lshrrev_b32_e32 v68, 16, v68
	v_and_b32_e32 v89, 0xffff, v69
	v_lshrrev_b32_e32 v69, 16, v69
	v_pk_fma_f16 v67, v59, v90, v67
	v_mul_u32_u24_e32 v86, 0x10001, v86
	v_mul_u32_u24_e32 v68, 0x10001, v68
	;; [unrolled: 1-line block ×4, first 2 shown]
	s_or_b32 s26, s4, 0x60
	s_wait_dscnt 0x1
	v_pk_fma_f16 v81, v52, v86, v81
	v_pk_fma_f16 v90, v52, v68, v91
	;; [unrolled: 1-line block ×16, first 2 shown]
	s_wait_dscnt 0x0
	v_pk_fma_f16 v100, v60, v86, v101
	v_pk_fma_f16 v101, v60, v68, v102
	;; [unrolled: 1-line block ×6, first 2 shown]
	ds_load_2addr_b64 v[52:55], v50 offset0:128 offset1:160
	v_pk_fma_f16 v76, v61, v89, v76
	v_pk_fma_f16 v61, v61, v69, v57
	;; [unrolled: 1-line block ×6, first 2 shown]
	ds_load_2addr_b64 v[56:59], v50 offset0:192 offset1:224
	v_pk_fma_f16 v66, v63, v86, v66
	v_pk_fma_f16 v68, v63, v68, v80
	;; [unrolled: 1-line block ×3, first 2 shown]
	v_and_b32_e32 v82, 0xffff, v70
	v_lshrrev_b32_e32 v70, 16, v70
	v_and_b32_e32 v86, 0xffff, v71
	v_lshrrev_b32_e32 v71, 16, v71
	v_pk_fma_f16 v67, v63, v69, v67
	v_mul_u32_u24_e32 v82, 0x10001, v82
	v_mul_u32_u24_e32 v70, 0x10001, v70
	;; [unrolled: 1-line block ×4, first 2 shown]
	s_wait_alu 0xfffe
	s_ashr_i32 s27, s26, 31
	s_wait_dscnt 0x1
	v_pk_fma_f16 v69, v52, v82, v81
	v_pk_fma_f16 v81, v52, v70, v90
	;; [unrolled: 1-line block ×16, first 2 shown]
	s_wait_dscnt 0x0
	v_pk_fma_f16 v98, v56, v82, v100
	v_pk_fma_f16 v99, v56, v70, v101
	;; [unrolled: 1-line block ×6, first 2 shown]
	ds_load_2addr_b64 v[52:55], v51 offset1:32
	v_pk_fma_f16 v76, v57, v86, v76
	v_pk_fma_f16 v57, v57, v71, v61
	;; [unrolled: 1-line block ×6, first 2 shown]
	ds_load_2addr_b64 v[60:63], v51 offset0:64 offset1:96
	v_pk_fma_f16 v66, v59, v82, v66
	v_pk_fma_f16 v68, v59, v70, v68
	v_pk_fma_f16 v70, v59, v86, v80
	v_and_b32_e32 v80, 0xffff, v72
	v_lshrrev_b32_e32 v72, 16, v72
	v_and_b32_e32 v82, 0xffff, v73
	v_lshrrev_b32_e32 v73, 16, v73
	v_pk_fma_f16 v67, v59, v71, v67
	v_mul_u32_u24_e32 v80, 0x10001, v80
	v_mul_u32_u24_e32 v72, 0x10001, v72
	;; [unrolled: 1-line block ×4, first 2 shown]
	s_wait_alu 0xfffe
	s_mul_u64 s[26:27], s[26:27], s[14:15]
	s_wait_dscnt 0x1
	v_pk_fma_f16 v69, v52, v80, v69
	v_pk_fma_f16 v71, v52, v72, v81
	;; [unrolled: 1-line block ×16, first 2 shown]
	s_wait_dscnt 0x0
	v_pk_fma_f16 v156, v60, v73, v56
	ds_load_2addr_b64 v[52:55], v51 offset0:128 offset1:160
	v_pk_fma_f16 v160, v61, v73, v57
	v_pk_fma_f16 v164, v62, v73, v58
	ds_load_2addr_b64 v[56:59], v51 offset0:192 offset1:224
	s_wait_alu 0xfffe
	s_lshl_b64 s[26:27], s[26:27], 2
	v_pk_fma_f16 v159, v61, v82, v76
	s_wait_alu 0xfffe
	s_add_nc_u64 s[26:27], s[8:9], s[26:27]
	v_pk_fma_f16 v96, v60, v80, v98
	s_wait_alu 0xfffe
	v_add_co_u32 v76, vcc_lo, s26, v27
	v_pk_fma_f16 v97, v60, v72, v99
	v_pk_fma_f16 v87, v60, v82, v87
	;; [unrolled: 1-line block ×7, first 2 shown]
	v_and_b32_e32 v60, 0xffff, v74
	v_lshrrev_b32_e32 v61, 16, v74
	v_and_b32_e32 v62, 0xffff, v75
	v_lshrrev_b32_e32 v64, 16, v75
	s_wait_alu 0xfffd
	v_add_co_ci_u32_e64 v77, null, s27, v28, vcc_lo
	v_add_co_u32 v140, vcc_lo, s26, v29
	s_wait_alu 0xfffd
	v_add_co_ci_u32_e64 v141, null, s27, v30, vcc_lo
	v_add_co_u32 v76, vcc_lo, v76, v79
	v_mul_u32_u24_e32 v168, 0x10001, v60
	v_mul_u32_u24_e32 v169, 0x10001, v61
	;; [unrolled: 1-line block ×4, first 2 shown]
	s_wait_alu 0xfffd
	v_add_co_ci_u32_e64 v77, null, 0, v77, vcc_lo
	v_add_co_u32 v152, vcc_lo, v140, v79
	s_wait_alu 0xfffd
	v_add_co_ci_u32_e64 v153, null, 0, v141, vcc_lo
	v_pk_fma_f16 v165, v63, v80, v66
	v_pk_fma_f16 v166, v63, v72, v68
	;; [unrolled: 1-line block ×4, first 2 shown]
	s_wait_dscnt 0x1
	v_pk_fma_f16 v173, v52, v168, v69
	v_pk_fma_f16 v174, v52, v169, v71
	v_pk_fma_f16 v175, v52, v170, v81
	v_pk_fma_f16 v176, v52, v171, v83
	v_pk_fma_f16 v177, v53, v168, v86
	v_pk_fma_f16 v178, v53, v169, v89
	v_pk_fma_f16 v179, v53, v170, v84
	v_pk_fma_f16 v180, v53, v171, v90
	v_pk_fma_f16 v181, v54, v168, v91
	v_pk_fma_f16 v182, v54, v169, v92
	v_pk_fma_f16 v183, v54, v170, v85
	v_pk_fma_f16 v184, v54, v171, v93
	v_pk_fma_f16 v185, v55, v168, v94
	v_pk_fma_f16 v186, v55, v169, v95
	v_pk_fma_f16 v78, v55, v170, v78
	v_pk_fma_f16 v187, v55, v171, v88
	s_wait_dscnt 0x0
	v_pk_fma_f16 v188, v56, v168, v96
	v_pk_fma_f16 v189, v56, v169, v97
	;; [unrolled: 1-line block ×3, first 2 shown]
	ds_load_2addr_b64 v[52:55], v49 offset1:32
	ds_load_2addr_b64 v[60:63], v49 offset0:64 offset1:96
	ds_load_2addr_b64 v[64:67], v49 offset0:128 offset1:160
	;; [unrolled: 1-line block ×3, first 2 shown]
	ds_load_2addr_b64 v[72:75], v48 offset1:32
	ds_load_2addr_b64 v[80:83], v48 offset0:64 offset1:96
	ds_load_b128 v[84:87], v41 offset:704
	ds_load_b128 v[88:91], v41 offset:720
	ds_load_2addr_b64 v[92:95], v48 offset0:128 offset1:160
	ds_load_2addr_b64 v[96:99], v48 offset0:192 offset1:224
	ds_load_2addr_b64 v[100:103], v47 offset1:32
	ds_load_2addr_b64 v[104:107], v47 offset0:64 offset1:96
	ds_load_2addr_b64 v[108:111], v47 offset0:128 offset1:160
	;; [unrolled: 1-line block ×3, first 2 shown]
	ds_load_2addr_b64 v[116:119], v15 offset1:32
	ds_load_2addr_b64 v[120:123], v15 offset0:64 offset1:96
	ds_load_b128 v[124:127], v41 offset:736
	ds_load_b128 v[128:131], v41 offset:752
	ds_load_2addr_b64 v[132:135], v15 offset0:128 offset1:160
	ds_load_2addr_b64 v[136:139], v15 offset0:192 offset1:224
	s_wait_loadcnt_dscnt 0x0
	s_barrier_signal -1
	s_barrier_wait -1
	global_inv scope:SCOPE_SE
	s_clause 0x3
	global_load_b128 v[140:143], v[76:77], off
	global_load_b128 v[144:147], v[76:77], off offset:512
	global_load_b128 v[148:151], v[152:153], off
	global_load_b128 v[152:155], v[152:153], off offset:512
	v_pk_fma_f16 v56, v56, v171, v156
	v_pk_fma_f16 v77, v57, v169, v158
	;; [unrolled: 1-line block ×5, first 2 shown]
	v_and_b32_e32 v162, 0xffff, v84
	v_lshrrev_b32_e32 v84, 16, v84
	v_and_b32_e32 v163, 0xffff, v85
	v_lshrrev_b32_e32 v85, 16, v85
	v_pk_fma_f16 v76, v57, v168, v157
	v_pk_fma_f16 v57, v57, v171, v160
	;; [unrolled: 1-line block ×3, first 2 shown]
	v_mul_u32_u24_e32 v162, 0x10001, v162
	v_mul_u32_u24_e32 v84, 0x10001, v84
	;; [unrolled: 1-line block ×4, first 2 shown]
	v_pk_fma_f16 v58, v58, v171, v164
	v_pk_fma_f16 v160, v59, v168, v165
	;; [unrolled: 1-line block ×21, first 2 shown]
	v_and_b32_e32 v158, 0xffff, v86
	v_lshrrev_b32_e32 v86, 16, v86
	v_and_b32_e32 v159, 0xffff, v87
	v_lshrrev_b32_e32 v87, 16, v87
	v_pk_fma_f16 v59, v59, v171, v172
	v_pk_fma_f16 v170, v53, v163, v179
	;; [unrolled: 1-line block ×13, first 2 shown]
	v_mul_u32_u24_e32 v158, 0x10001, v158
	v_mul_u32_u24_e32 v86, 0x10001, v86
	;; [unrolled: 1-line block ×4, first 2 shown]
	v_pk_fma_f16 v62, v63, v162, v160
	v_pk_fma_f16 v160, v63, v163, v164
	v_pk_fma_f16 v59, v63, v85, v59
	v_pk_fma_f16 v63, v64, v158, v165
	v_pk_fma_f16 v85, v64, v86, v166
	v_pk_fma_f16 v161, v64, v159, v167
	v_pk_fma_f16 v52, v64, v87, v52
	v_pk_fma_f16 v64, v65, v158, v168
	v_pk_fma_f16 v162, v65, v86, v169
	v_pk_fma_f16 v163, v65, v159, v170
	v_pk_fma_f16 v53, v65, v87, v53
	v_pk_fma_f16 v65, v66, v158, v171
	v_pk_fma_f16 v164, v66, v86, v172
	v_pk_fma_f16 v165, v66, v159, v173
	v_pk_fma_f16 v54, v66, v87, v54
	v_pk_fma_f16 v66, v67, v158, v174
	v_pk_fma_f16 v166, v67, v86, v175
	v_pk_fma_f16 v78, v67, v159, v78
	v_pk_fma_f16 v55, v67, v87, v55
	v_pk_fma_f16 v67, v68, v158, v176
	v_pk_fma_f16 v167, v68, v86, v177
	v_pk_fma_f16 v168, v68, v159, v178
	v_pk_fma_f16 v56, v68, v87, v56
	v_pk_fma_f16 v60, v69, v158, v60
	v_pk_fma_f16 v68, v69, v86, v76
	v_pk_fma_f16 v76, v69, v159, v77
	v_pk_fma_f16 v57, v69, v87, v57
	v_pk_fma_f16 v61, v70, v158, v61
	v_pk_fma_f16 v69, v70, v86, v156
	v_pk_fma_f16 v77, v70, v159, v157
	v_pk_fma_f16 v58, v70, v87, v58
	v_pk_fma_f16 v70, v71, v86, v84
	v_and_b32_e32 v84, 0xffff, v88
	v_lshrrev_b32_e32 v86, 16, v88
	v_and_b32_e32 v88, 0xffff, v89
	v_lshrrev_b32_e32 v89, 16, v89
	v_pk_fma_f16 v62, v71, v158, v62
	v_mul_u32_u24_e32 v84, 0x10001, v84
	v_mul_u32_u24_e32 v86, 0x10001, v86
	;; [unrolled: 1-line block ×4, first 2 shown]
	v_pk_fma_f16 v156, v71, v159, v160
	v_pk_fma_f16 v60, v81, v84, v60
	;; [unrolled: 1-line block ×5, first 2 shown]
	v_lshrrev_b32_e32 v81, 16, v90
	v_pk_fma_f16 v59, v71, v87, v59
	v_pk_fma_f16 v63, v72, v84, v63
	;; [unrolled: 1-line block ×20, first 2 shown]
	v_mul_u32_u24_e32 v81, 0x10001, v81
	v_pk_fma_f16 v67, v80, v84, v67
	v_pk_fma_f16 v158, v80, v88, v168
	;; [unrolled: 1-line block ×12, first 2 shown]
	v_lshrrev_b32_e32 v81, 16, v124
	v_pk_fma_f16 v77, v82, v88, v77
	v_pk_fma_f16 v58, v82, v89, v58
	v_and_b32_e32 v80, 0xffff, v90
	v_and_b32_e32 v82, 0xffff, v91
	v_mul_u32_u24_e32 v81, 0x10001, v81
	v_pk_fma_f16 v62, v83, v84, v62
	v_lshrrev_b32_e32 v84, 16, v91
	v_pk_fma_f16 v86, v83, v88, v156
	v_mul_u32_u24_e32 v80, 0x10001, v80
	v_mul_u32_u24_e32 v82, 0x10001, v82
	v_pk_fma_f16 v59, v83, v89, v59
	v_and_b32_e32 v89, 0xffff, v125
	v_pk_fma_f16 v71, v100, v81, v71
	v_pk_fma_f16 v72, v101, v81, v72
	;; [unrolled: 1-line block ×8, first 2 shown]
	v_lshrrev_b32_e32 v81, 16, v126
	v_mul_u32_u24_e32 v84, 0x10001, v84
	v_pk_fma_f16 v63, v92, v80, v63
	v_pk_fma_f16 v83, v92, v82, v85
	;; [unrolled: 1-line block ×15, first 2 shown]
	v_and_b32_e32 v80, 0xffff, v124
	v_lshrrev_b32_e32 v90, 16, v125
	v_pk_fma_f16 v82, v99, v82, v86
	v_mul_u32_u24_e32 v86, 0x10001, v89
	v_mul_u32_u24_e32 v81, 0x10001, v81
	v_pk_fma_f16 v52, v92, v84, v52
	v_pk_fma_f16 v53, v93, v84, v53
	;; [unrolled: 1-line block ×7, first 2 shown]
	v_mul_u32_u24_e32 v80, 0x10001, v80
	v_mul_u32_u24_e32 v89, 0x10001, v90
	v_pk_fma_f16 v59, v99, v84, v59
	v_pk_fma_f16 v84, v101, v86, v85
	;; [unrolled: 1-line block ×4, first 2 shown]
	v_and_b32_e32 v88, 0xffff, v127
	v_lshrrev_b32_e32 v90, 16, v127
	v_pk_fma_f16 v71, v108, v81, v71
	v_pk_fma_f16 v72, v109, v81, v72
	;; [unrolled: 1-line block ×8, first 2 shown]
	v_lshrrev_b32_e32 v81, 16, v128
	v_pk_fma_f16 v63, v100, v80, v63
	v_pk_fma_f16 v83, v100, v86, v83
	;; [unrolled: 1-line block ×19, first 2 shown]
	v_and_b32_e32 v80, 0xffff, v126
	v_pk_fma_f16 v82, v107, v86, v82
	v_mul_u32_u24_e32 v86, 0x10001, v88
	v_mul_u32_u24_e32 v88, 0x10001, v90
	v_pk_fma_f16 v59, v107, v89, v59
	v_and_b32_e32 v89, 0xffff, v129
	v_lshrrev_b32_e32 v90, 16, v129
	v_mul_u32_u24_e32 v81, 0x10001, v81
	v_mul_u32_u24_e32 v80, 0x10001, v80
	v_pk_fma_f16 v83, v108, v86, v83
	v_pk_fma_f16 v52, v108, v88, v52
	;; [unrolled: 1-line block ×12, first 2 shown]
	v_mul_u32_u24_e32 v86, 0x10001, v89
	v_mul_u32_u24_e32 v89, 0x10001, v90
	v_pk_fma_f16 v71, v116, v81, v71
	v_pk_fma_f16 v72, v117, v81, v72
	;; [unrolled: 1-line block ×8, first 2 shown]
	v_lshrrev_b32_e32 v81, 16, v131
	v_pk_fma_f16 v63, v108, v80, v63
	v_pk_fma_f16 v64, v109, v80, v64
	;; [unrolled: 1-line block ×11, first 2 shown]
	v_and_b32_e32 v80, 0xffff, v128
	v_pk_fma_f16 v59, v115, v88, v59
	v_pk_fma_f16 v52, v116, v89, v52
	;; [unrolled: 1-line block ×5, first 2 shown]
	v_and_b32_e32 v55, 0xffff, v130
	v_mul_u32_u24_e32 v81, 0x10001, v81
	v_mul_u32_u24_e32 v80, 0x10001, v80
	v_pk_fma_f16 v83, v116, v86, v83
	v_pk_fma_f16 v84, v117, v86, v84
	;; [unrolled: 1-line block ×8, first 2 shown]
	v_mul_u32_u24_e32 v86, 0x10001, v55
	v_pk_fma_f16 v94, v132, v81, v52
	v_pk_fma_f16 v97, v133, v81, v53
	;; [unrolled: 1-line block ×3, first 2 shown]
	s_wait_loadcnt 0x3
	ds_store_b128 v42, v[140:143]
	s_wait_loadcnt 0x2
	ds_store_b128 v43, v[144:147]
	;; [unrolled: 2-line block ×4, first 2 shown]
	s_wait_dscnt 0x0
	s_barrier_signal -1
	s_barrier_wait -1
	global_inv scope:SCOPE_SE
	ds_load_b128 v[52:55], v41 offset:768
	v_pk_fma_f16 v64, v117, v80, v64
	v_pk_fma_f16 v65, v118, v80, v65
	;; [unrolled: 1-line block ×7, first 2 shown]
	v_lshrrev_b32_e32 v58, 16, v130
	v_pk_fma_f16 v89, v123, v89, v59
	v_pk_fma_f16 v95, v133, v86, v64
	;; [unrolled: 1-line block ×4, first 2 shown]
	v_mul_u32_u24_e32 v91, 0x10001, v58
	v_pk_fma_f16 v103, v136, v86, v67
	v_pk_fma_f16 v105, v136, v81, v56
	;; [unrolled: 1-line block ×3, first 2 shown]
	ds_load_2addr_b64 v[56:59], v14 offset1:32
	ds_load_2addr_b64 v[64:67], v14 offset0:64 offset1:96
	v_pk_fma_f16 v63, v116, v80, v63
	v_pk_fma_f16 v60, v121, v80, v60
	;; [unrolled: 1-line block ×4, first 2 shown]
	v_and_b32_e32 v80, 0xffff, v131
	v_pk_fma_f16 v92, v132, v86, v63
	v_pk_fma_f16 v106, v137, v86, v60
	;; [unrolled: 1-line block ×4, first 2 shown]
	v_mul_u32_u24_e32 v80, 0x10001, v80
	v_pk_fma_f16 v110, v138, v91, v69
	v_pk_fma_f16 v86, v139, v86, v62
	ds_load_b128 v[60:63], v41 offset:784
	s_wait_dscnt 0x3
	v_and_b32_e32 v68, 0xffff, v52
	v_lshrrev_b32_e32 v52, 16, v52
	v_and_b32_e32 v69, 0xffff, v53
	v_lshrrev_b32_e32 v53, 16, v53
	v_pk_fma_f16 v93, v132, v91, v71
	v_pk_fma_f16 v83, v132, v80, v83
	;; [unrolled: 1-line block ×17, first 2 shown]
	v_mul_u32_u24_e32 v82, 0x10001, v68
	v_mul_u32_u24_e32 v52, 0x10001, v52
	;; [unrolled: 1-line block ×4, first 2 shown]
	ds_load_b128 v[68:71], v41 offset:800
	ds_load_b128 v[72:75], v41 offset:816
	s_wait_dscnt 0x4
	v_pk_fma_f16 v92, v56, v82, v92
	v_pk_fma_f16 v93, v56, v52, v93
	;; [unrolled: 1-line block ×16, first 2 shown]
	s_wait_dscnt 0x3
	v_pk_fma_f16 v103, v64, v82, v103
	v_pk_fma_f16 v104, v64, v52, v104
	;; [unrolled: 1-line block ×6, first 2 shown]
	ds_load_2addr_b64 v[56:59], v14 offset0:128 offset1:160
	v_pk_fma_f16 v76, v65, v89, v76
	v_pk_fma_f16 v65, v65, v111, v108
	;; [unrolled: 1-line block ×9, first 2 shown]
	v_and_b32_e32 v89, 0xffff, v54
	v_lshrrev_b32_e32 v90, 16, v54
	v_and_b32_e32 v91, 0xffff, v55
	v_lshrrev_b32_e32 v109, 16, v55
	ds_load_2addr_b64 v[52:55], v14 offset0:192 offset1:224
	v_mul_u32_u24_e32 v89, 0x10001, v89
	v_mul_u32_u24_e32 v90, 0x10001, v90
	;; [unrolled: 1-line block ×4, first 2 shown]
	v_pk_fma_f16 v81, v67, v111, v81
	s_wait_dscnt 0x1
	v_pk_fma_f16 v92, v56, v89, v92
	v_pk_fma_f16 v93, v56, v90, v93
	;; [unrolled: 1-line block ×16, first 2 shown]
	s_wait_dscnt 0x0
	v_pk_fma_f16 v103, v52, v89, v103
	v_pk_fma_f16 v104, v52, v90, v104
	;; [unrolled: 1-line block ×4, first 2 shown]
	ds_load_2addr_b64 v[56:59], v13 offset1:32
	v_pk_fma_f16 v110, v53, v109, v65
	v_pk_fma_f16 v111, v54, v109, v66
	ds_load_2addr_b64 v[64:67], v13 offset0:64 offset1:96
	v_pk_fma_f16 v105, v53, v89, v105
	v_pk_fma_f16 v106, v53, v90, v106
	;; [unrolled: 1-line block ×6, first 2 shown]
	v_and_b32_e32 v53, 0xffff, v60
	v_lshrrev_b32_e32 v54, 16, v60
	v_and_b32_e32 v60, 0xffff, v61
	v_lshrrev_b32_e32 v61, 16, v61
	v_pk_fma_f16 v82, v55, v89, v82
	v_pk_fma_f16 v86, v55, v90, v86
	v_mul_u32_u24_e32 v89, 0x10001, v53
	v_mul_u32_u24_e32 v90, 0x10001, v54
	;; [unrolled: 1-line block ×4, first 2 shown]
	v_pk_fma_f16 v80, v55, v91, v80
	v_pk_fma_f16 v81, v55, v109, v81
	s_wait_dscnt 0x1
	v_pk_fma_f16 v91, v56, v89, v92
	v_pk_fma_f16 v92, v56, v90, v93
	v_pk_fma_f16 v93, v56, v61, v94
	v_pk_fma_f16 v94, v57, v89, v95
	v_pk_fma_f16 v95, v57, v90, v96
	v_pk_fma_f16 v96, v57, v61, v97
	v_pk_fma_f16 v97, v58, v89, v98
	v_pk_fma_f16 v98, v58, v90, v99
	v_pk_fma_f16 v99, v58, v61, v100
	v_pk_fma_f16 v100, v59, v89, v101
	v_pk_fma_f16 v101, v59, v90, v102
	s_wait_dscnt 0x0
	v_pk_fma_f16 v102, v64, v89, v103
	v_pk_fma_f16 v103, v64, v90, v104
	;; [unrolled: 1-line block ×4, first 2 shown]
	ds_load_2addr_b64 v[52:55], v13 offset0:128 offset1:160
	v_pk_fma_f16 v83, v56, v60, v83
	v_pk_fma_f16 v84, v57, v60, v84
	;; [unrolled: 1-line block ×12, first 2 shown]
	v_and_b32_e32 v80, 0xffff, v62
	v_lshrrev_b32_e32 v62, 16, v62
	v_and_b32_e32 v89, 0xffff, v63
	v_lshrrev_b32_e32 v63, 16, v63
	ds_load_2addr_b64 v[56:59], v13 offset0:192 offset1:224
	v_pk_fma_f16 v107, v66, v90, v108
	v_pk_fma_f16 v86, v67, v90, v86
	v_mul_u32_u24_e32 v80, 0x10001, v80
	v_mul_u32_u24_e32 v62, 0x10001, v62
	;; [unrolled: 1-line block ×4, first 2 shown]
	v_pk_fma_f16 v67, v67, v61, v81
	s_wait_dscnt 0x1
	v_pk_fma_f16 v81, v52, v80, v91
	v_pk_fma_f16 v91, v52, v62, v92
	;; [unrolled: 1-line block ×16, first 2 shown]
	ds_load_2addr_b64 v[52:55], v50 offset1:32
	v_pk_fma_f16 v65, v65, v61, v110
	v_pk_fma_f16 v66, v66, v61, v111
	s_wait_dscnt 0x1
	v_pk_fma_f16 v101, v56, v80, v102
	v_pk_fma_f16 v102, v56, v62, v103
	;; [unrolled: 1-line block ×15, first 2 shown]
	v_and_b32_e32 v86, 0xffff, v68
	v_lshrrev_b32_e32 v68, 16, v68
	v_and_b32_e32 v89, 0xffff, v69
	v_lshrrev_b32_e32 v69, 16, v69
	ds_load_2addr_b64 v[60:63], v50 offset0:64 offset1:96
	v_mul_u32_u24_e32 v86, 0x10001, v86
	v_mul_u32_u24_e32 v68, 0x10001, v68
	;; [unrolled: 1-line block ×4, first 2 shown]
	v_pk_fma_f16 v67, v59, v90, v67
	s_wait_dscnt 0x1
	v_pk_fma_f16 v81, v52, v86, v81
	v_pk_fma_f16 v90, v52, v68, v91
	;; [unrolled: 1-line block ×16, first 2 shown]
	ds_load_2addr_b64 v[52:55], v50 offset0:128 offset1:160
	s_wait_dscnt 0x1
	v_pk_fma_f16 v100, v60, v86, v101
	v_pk_fma_f16 v101, v60, v68, v102
	;; [unrolled: 1-line block ×15, first 2 shown]
	v_and_b32_e32 v82, 0xffff, v70
	v_lshrrev_b32_e32 v70, 16, v70
	v_and_b32_e32 v86, 0xffff, v71
	v_lshrrev_b32_e32 v71, 16, v71
	ds_load_2addr_b64 v[56:59], v50 offset0:192 offset1:224
	v_mul_u32_u24_e32 v82, 0x10001, v82
	v_mul_u32_u24_e32 v70, 0x10001, v70
	;; [unrolled: 1-line block ×4, first 2 shown]
	v_pk_fma_f16 v67, v63, v69, v67
	s_wait_dscnt 0x1
	v_pk_fma_f16 v69, v52, v82, v81
	v_pk_fma_f16 v81, v52, v70, v90
	;; [unrolled: 1-line block ×16, first 2 shown]
	ds_load_2addr_b64 v[52:55], v51 offset1:32
	s_wait_dscnt 0x1
	v_pk_fma_f16 v98, v56, v82, v100
	v_pk_fma_f16 v99, v56, v70, v101
	;; [unrolled: 1-line block ×15, first 2 shown]
	v_and_b32_e32 v80, 0xffff, v72
	v_lshrrev_b32_e32 v72, 16, v72
	v_and_b32_e32 v82, 0xffff, v73
	v_lshrrev_b32_e32 v73, 16, v73
	ds_load_2addr_b64 v[60:63], v51 offset0:64 offset1:96
	v_mul_u32_u24_e32 v80, 0x10001, v80
	v_mul_u32_u24_e32 v72, 0x10001, v72
	;; [unrolled: 1-line block ×4, first 2 shown]
	v_pk_fma_f16 v67, v59, v71, v67
	s_wait_dscnt 0x1
	v_pk_fma_f16 v69, v52, v80, v69
	v_pk_fma_f16 v71, v52, v72, v81
	;; [unrolled: 1-line block ×16, first 2 shown]
	ds_load_2addr_b64 v[52:55], v51 offset0:128 offset1:160
	s_or_b32 s26, s4, 0x70
	s_wait_dscnt 0x1
	v_pk_fma_f16 v152, v60, v73, v56
	v_pk_fma_f16 v156, v61, v73, v57
	;; [unrolled: 1-line block ×6, first 2 shown]
	v_and_b32_e32 v62, 0xffff, v75
	ds_load_2addr_b64 v[56:59], v51 offset0:192 offset1:224
	s_wait_alu 0xfffe
	s_ashr_i32 s27, s26, 31
	v_pk_fma_f16 v155, v61, v82, v76
	s_wait_alu 0xfffe
	s_mul_u64 s[26:27], s[26:27], s[14:15]
	v_mul_u32_u24_e32 v166, 0x10001, v62
	s_wait_alu 0xfffe
	s_lshl_b64 s[26:27], s[26:27], 2
	v_pk_fma_f16 v96, v60, v80, v98
	s_wait_alu 0xfffe
	s_add_nc_u64 s[26:27], s[8:9], s[26:27]
	v_pk_fma_f16 v97, v60, v72, v99
	s_wait_alu 0xfffe
	v_add_co_u32 v76, vcc_lo, s26, v27
	v_pk_fma_f16 v87, v60, v82, v87
	v_pk_fma_f16 v153, v61, v80, v64
	;; [unrolled: 1-line block ×3, first 2 shown]
	v_and_b32_e32 v60, 0xffff, v74
	v_lshrrev_b32_e32 v61, 16, v74
	v_lshrrev_b32_e32 v64, 16, v75
	s_wait_dscnt 0x1
	v_pk_fma_f16 v183, v55, v166, v78
	s_wait_alu 0xfffd
	v_add_co_ci_u32_e64 v77, null, s27, v28, vcc_lo
	v_add_co_u32 v78, vcc_lo, s26, v29
	s_wait_alu 0xfffd
	v_add_co_ci_u32_e64 v142, null, s27, v30, vcc_lo
	v_add_co_u32 v140, vcc_lo, v76, v79
	v_mul_u32_u24_e32 v164, 0x10001, v60
	v_mul_u32_u24_e32 v165, 0x10001, v61
	;; [unrolled: 1-line block ×3, first 2 shown]
	s_wait_alu 0xfffd
	v_add_co_ci_u32_e64 v141, null, 0, v77, vcc_lo
	v_add_co_u32 v148, vcc_lo, v78, v79
	s_wait_alu 0xfffd
	v_add_co_ci_u32_e64 v149, null, 0, v142, vcc_lo
	v_pk_fma_f16 v161, v63, v80, v66
	v_pk_fma_f16 v162, v63, v72, v68
	v_pk_fma_f16 v163, v63, v82, v70
	v_pk_fma_f16 v168, v63, v73, v67
	v_pk_fma_f16 v169, v52, v164, v69
	v_pk_fma_f16 v170, v52, v165, v71
	v_pk_fma_f16 v171, v52, v166, v81
	v_pk_fma_f16 v172, v52, v167, v83
	v_pk_fma_f16 v173, v53, v164, v86
	v_pk_fma_f16 v174, v53, v165, v89
	v_pk_fma_f16 v175, v53, v166, v84
	v_pk_fma_f16 v176, v53, v167, v90
	v_pk_fma_f16 v177, v54, v164, v91
	v_pk_fma_f16 v178, v54, v165, v92
	v_pk_fma_f16 v179, v54, v166, v85
	v_pk_fma_f16 v180, v54, v167, v93
	v_pk_fma_f16 v181, v55, v164, v94
	v_pk_fma_f16 v182, v55, v165, v95
	v_pk_fma_f16 v184, v55, v167, v88
	s_wait_dscnt 0x0
	v_pk_fma_f16 v185, v56, v164, v96
	v_pk_fma_f16 v186, v56, v165, v97
	;; [unrolled: 1-line block ×3, first 2 shown]
	ds_load_2addr_b64 v[52:55], v49 offset1:32
	ds_load_2addr_b64 v[60:63], v49 offset0:64 offset1:96
	ds_load_2addr_b64 v[64:67], v49 offset0:128 offset1:160
	;; [unrolled: 1-line block ×3, first 2 shown]
	ds_load_2addr_b64 v[72:75], v48 offset1:32
	ds_load_2addr_b64 v[80:83], v48 offset0:64 offset1:96
	ds_load_b128 v[84:87], v41 offset:832
	ds_load_b128 v[88:91], v41 offset:848
	ds_load_2addr_b64 v[92:95], v48 offset0:128 offset1:160
	ds_load_2addr_b64 v[96:99], v48 offset0:192 offset1:224
	ds_load_2addr_b64 v[100:103], v47 offset1:32
	ds_load_2addr_b64 v[104:107], v47 offset0:64 offset1:96
	ds_load_2addr_b64 v[108:111], v47 offset0:128 offset1:160
	;; [unrolled: 1-line block ×3, first 2 shown]
	ds_load_2addr_b64 v[116:119], v15 offset1:32
	ds_load_2addr_b64 v[120:123], v15 offset0:64 offset1:96
	ds_load_b128 v[124:127], v41 offset:864
	ds_load_b128 v[128:131], v41 offset:880
	ds_load_2addr_b64 v[132:135], v15 offset0:128 offset1:160
	ds_load_2addr_b64 v[136:139], v15 offset0:192 offset1:224
	s_wait_loadcnt_dscnt 0x0
	s_barrier_signal -1
	s_barrier_wait -1
	global_inv scope:SCOPE_SE
	s_clause 0x3
	global_load_b128 v[76:79], v[140:141], off
	global_load_b128 v[140:143], v[140:141], off offset:512
	global_load_b128 v[144:147], v[148:149], off
	global_load_b128 v[148:151], v[148:149], off offset:512
	v_pk_fma_f16 v56, v56, v167, v152
	v_pk_fma_f16 v152, v57, v164, v153
	;; [unrolled: 1-line block ×10, first 2 shown]
	v_and_b32_e32 v160, 0xffff, v84
	v_lshrrev_b32_e32 v84, 16, v84
	v_and_b32_e32 v161, 0xffff, v85
	v_lshrrev_b32_e32 v85, 16, v85
	v_pk_fma_f16 v159, v59, v165, v162
	v_mul_u32_u24_e32 v160, 0x10001, v160
	v_mul_u32_u24_e32 v84, 0x10001, v84
	;; [unrolled: 1-line block ×4, first 2 shown]
	v_pk_fma_f16 v162, v59, v166, v163
	v_pk_fma_f16 v59, v59, v167, v168
	;; [unrolled: 1-line block ×19, first 2 shown]
	v_and_b32_e32 v156, 0xffff, v86
	v_lshrrev_b32_e32 v86, 16, v86
	v_and_b32_e32 v157, 0xffff, v87
	v_lshrrev_b32_e32 v87, 16, v87
	v_pk_fma_f16 v164, v52, v84, v170
	v_pk_fma_f16 v165, v52, v161, v171
	;; [unrolled: 1-line block ×12, first 2 shown]
	v_mul_u32_u24_e32 v156, 0x10001, v156
	v_mul_u32_u24_e32 v86, 0x10001, v86
	;; [unrolled: 1-line block ×4, first 2 shown]
	v_pk_fma_f16 v62, v63, v160, v158
	v_pk_fma_f16 v158, v63, v161, v162
	;; [unrolled: 1-line block ×32, first 2 shown]
	v_and_b32_e32 v84, 0xffff, v88
	v_pk_fma_f16 v62, v71, v156, v62
	v_lshrrev_b32_e32 v86, 16, v88
	v_and_b32_e32 v88, 0xffff, v89
	v_lshrrev_b32_e32 v89, 16, v89
	v_mul_u32_u24_e32 v84, 0x10001, v84
	v_pk_fma_f16 v154, v71, v157, v158
	v_mul_u32_u24_e32 v86, 0x10001, v86
	v_mul_u32_u24_e32 v88, 0x10001, v88
	v_mul_u32_u24_e32 v89, 0x10001, v89
	v_pk_fma_f16 v63, v72, v84, v63
	v_pk_fma_f16 v64, v73, v84, v64
	;; [unrolled: 1-line block ×8, first 2 shown]
	v_lshrrev_b32_e32 v84, 16, v90
	v_pk_fma_f16 v59, v71, v87, v59
	v_pk_fma_f16 v71, v72, v86, v85
	;; [unrolled: 1-line block ×17, first 2 shown]
	v_mul_u32_u24_e32 v84, 0x10001, v84
	v_pk_fma_f16 v157, v80, v88, v167
	v_pk_fma_f16 v56, v80, v89, v56
	;; [unrolled: 1-line block ×6, first 2 shown]
	v_and_b32_e32 v82, 0xffff, v90
	v_and_b32_e32 v86, 0xffff, v91
	v_lshrrev_b32_e32 v90, 16, v91
	v_pk_fma_f16 v71, v92, v84, v71
	v_pk_fma_f16 v72, v93, v84, v72
	;; [unrolled: 1-line block ×8, first 2 shown]
	v_lshrrev_b32_e32 v84, 16, v124
	v_mul_u32_u24_e32 v82, 0x10001, v82
	v_mul_u32_u24_e32 v86, 0x10001, v86
	;; [unrolled: 1-line block ×3, first 2 shown]
	v_pk_fma_f16 v88, v83, v88, v154
	v_mul_u32_u24_e32 v84, 0x10001, v84
	v_pk_fma_f16 v59, v83, v89, v59
	v_pk_fma_f16 v63, v92, v82, v63
	;; [unrolled: 1-line block ×11, first 2 shown]
	v_and_b32_e32 v82, 0xffff, v124
	v_and_b32_e32 v92, 0xffff, v125
	v_pk_fma_f16 v71, v100, v84, v71
	v_pk_fma_f16 v72, v101, v84, v72
	;; [unrolled: 1-line block ×8, first 2 shown]
	v_lshrrev_b32_e32 v84, 16, v126
	v_pk_fma_f16 v85, v93, v86, v87
	v_pk_fma_f16 v53, v93, v90, v53
	;; [unrolled: 1-line block ×7, first 2 shown]
	v_lshrrev_b32_e32 v93, 16, v125
	v_pk_fma_f16 v86, v99, v86, v88
	v_mul_u32_u24_e32 v82, 0x10001, v82
	v_mul_u32_u24_e32 v88, 0x10001, v92
	;; [unrolled: 1-line block ×3, first 2 shown]
	v_pk_fma_f16 v54, v94, v90, v54
	v_pk_fma_f16 v55, v95, v90, v55
	;; [unrolled: 1-line block ×5, first 2 shown]
	v_mul_u32_u24_e32 v92, 0x10001, v93
	v_pk_fma_f16 v59, v99, v90, v59
	v_pk_fma_f16 v63, v100, v82, v63
	;; [unrolled: 1-line block ×10, first 2 shown]
	v_and_b32_e32 v82, 0xffff, v126
	v_and_b32_e32 v91, 0xffff, v127
	v_lshrrev_b32_e32 v93, 16, v127
	v_pk_fma_f16 v71, v108, v84, v71
	v_pk_fma_f16 v72, v109, v84, v72
	;; [unrolled: 1-line block ×8, first 2 shown]
	v_lshrrev_b32_e32 v84, 16, v128
	v_pk_fma_f16 v83, v100, v88, v83
	v_pk_fma_f16 v52, v100, v92, v52
	;; [unrolled: 1-line block ×14, first 2 shown]
	v_mul_u32_u24_e32 v82, 0x10001, v82
	v_mul_u32_u24_e32 v88, 0x10001, v91
	;; [unrolled: 1-line block ×3, first 2 shown]
	v_pk_fma_f16 v59, v107, v92, v59
	v_and_b32_e32 v92, 0xffff, v129
	v_lshrrev_b32_e32 v93, 16, v129
	v_mul_u32_u24_e32 v84, 0x10001, v84
	v_pk_fma_f16 v63, v108, v82, v63
	v_pk_fma_f16 v83, v108, v88, v83
	;; [unrolled: 1-line block ×19, first 2 shown]
	v_and_b32_e32 v82, 0xffff, v128
	v_pk_fma_f16 v86, v115, v88, v86
	v_mul_u32_u24_e32 v88, 0x10001, v92
	v_mul_u32_u24_e32 v92, 0x10001, v93
	v_pk_fma_f16 v71, v116, v84, v71
	v_pk_fma_f16 v72, v117, v84, v72
	;; [unrolled: 1-line block ×8, first 2 shown]
	v_lshrrev_b32_e32 v84, 16, v131
	v_pk_fma_f16 v56, v112, v91, v56
	v_pk_fma_f16 v57, v113, v91, v57
	v_pk_fma_f16 v58, v114, v91, v58
	v_mul_u32_u24_e32 v82, 0x10001, v82
	v_pk_fma_f16 v59, v115, v91, v59
	v_pk_fma_f16 v52, v116, v92, v52
	;; [unrolled: 1-line block ×5, first 2 shown]
	v_and_b32_e32 v55, 0xffff, v130
	v_mul_u32_u24_e32 v84, 0x10001, v84
	v_pk_fma_f16 v63, v116, v82, v63
	v_pk_fma_f16 v83, v116, v88, v83
	;; [unrolled: 1-line block ×15, first 2 shown]
	v_and_b32_e32 v82, 0xffff, v131
	v_pk_fma_f16 v86, v123, v88, v86
	v_mul_u32_u24_e32 v88, 0x10001, v55
	v_pk_fma_f16 v97, v132, v84, v52
	v_pk_fma_f16 v100, v133, v84, v53
	;; [unrolled: 1-line block ×3, first 2 shown]
	s_wait_loadcnt 0x3
	ds_store_b128 v42, v[76:79]
	s_wait_loadcnt 0x2
	ds_store_b128 v43, v[140:143]
	;; [unrolled: 2-line block ×4, first 2 shown]
	s_wait_dscnt 0x0
	s_barrier_signal -1
	s_barrier_wait -1
	global_inv scope:SCOPE_SE
	ds_load_b128 v[52:55], v41 offset:896
	v_pk_fma_f16 v56, v120, v92, v56
	v_pk_fma_f16 v57, v121, v92, v57
	v_pk_fma_f16 v93, v122, v92, v58
	v_lshrrev_b32_e32 v58, 16, v130
	v_mul_u32_u24_e32 v82, 0x10001, v82
	v_pk_fma_f16 v92, v123, v92, v59
	v_pk_fma_f16 v98, v133, v88, v64
	v_pk_fma_f16 v101, v134, v88, v65
	v_mul_u32_u24_e32 v94, 0x10001, v58
	v_pk_fma_f16 v104, v135, v88, v66
	v_pk_fma_f16 v77, v136, v88, v67
	;; [unrolled: 1-line block ×5, first 2 shown]
	ds_load_2addr_b64 v[56:59], v14 offset1:32
	ds_load_2addr_b64 v[64:67], v14 offset0:64 offset1:96
	v_pk_fma_f16 v95, v132, v88, v63
	v_pk_fma_f16 v76, v135, v84, v91
	;; [unrolled: 1-line block ×7, first 2 shown]
	ds_load_b128 v[60:63], v41 offset:912
	s_wait_dscnt 0x3
	v_and_b32_e32 v68, 0xffff, v52
	v_lshrrev_b32_e32 v52, 16, v52
	v_and_b32_e32 v69, 0xffff, v53
	v_lshrrev_b32_e32 v53, 16, v53
	v_pk_fma_f16 v96, v132, v94, v71
	v_pk_fma_f16 v83, v132, v82, v83
	;; [unrolled: 1-line block ×15, first 2 shown]
	v_mul_u32_u24_e32 v86, 0x10001, v68
	v_mul_u32_u24_e32 v52, 0x10001, v52
	;; [unrolled: 1-line block ×4, first 2 shown]
	ds_load_b128 v[68:71], v41 offset:928
	ds_load_b128 v[72:75], v41 offset:944
	s_wait_dscnt 0x4
	v_pk_fma_f16 v95, v56, v86, v95
	v_pk_fma_f16 v96, v56, v52, v96
	v_pk_fma_f16 v83, v56, v92, v83
	v_pk_fma_f16 v98, v57, v86, v98
	v_pk_fma_f16 v99, v57, v52, v99
	v_pk_fma_f16 v85, v57, v92, v85
	v_pk_fma_f16 v101, v58, v86, v101
	v_pk_fma_f16 v102, v58, v52, v102
	v_pk_fma_f16 v87, v58, v92, v87
	v_pk_fma_f16 v104, v59, v86, v104
	v_pk_fma_f16 v105, v59, v52, v105
	v_pk_fma_f16 v89, v59, v92, v89
	s_wait_dscnt 0x3
	v_pk_fma_f16 v77, v64, v86, v77
	v_pk_fma_f16 v78, v64, v52, v78
	;; [unrolled: 1-line block ×15, first 2 shown]
	v_and_b32_e32 v92, 0xffff, v54
	v_lshrrev_b32_e32 v93, 16, v54
	v_and_b32_e32 v94, 0xffff, v55
	v_lshrrev_b32_e32 v108, 16, v55
	ds_load_2addr_b64 v[52:55], v14 offset0:192 offset1:224
	v_pk_fma_f16 v97, v56, v110, v97
	v_pk_fma_f16 v100, v57, v110, v100
	v_pk_fma_f16 v103, v58, v110, v103
	v_pk_fma_f16 v76, v59, v110, v76
	ds_load_2addr_b64 v[56:59], v14 offset0:128 offset1:160
	v_mul_u32_u24_e32 v14, 0x10001, v92
	v_mul_u32_u24_e32 v92, 0x10001, v93
	;; [unrolled: 1-line block ×4, first 2 shown]
	v_pk_fma_f16 v84, v67, v110, v84
	s_wait_dscnt 0x1
	v_pk_fma_f16 v77, v52, v14, v77
	v_pk_fma_f16 v78, v52, v92, v78
	;; [unrolled: 1-line block ×6, first 2 shown]
	ds_load_2addr_b64 v[64:67], v13 offset0:64 offset1:96
	s_wait_dscnt 0x1
	v_pk_fma_f16 v95, v56, v14, v95
	v_pk_fma_f16 v96, v56, v92, v96
	;; [unrolled: 1-line block ×18, first 2 shown]
	ds_load_2addr_b64 v[56:59], v13 offset1:32
	v_pk_fma_f16 v80, v53, v93, v80
	v_pk_fma_f16 v106, v54, v14, v106
	;; [unrolled: 1-line block ×4, first 2 shown]
	v_and_b32_e32 v53, 0xffff, v60
	v_lshrrev_b32_e32 v54, 16, v60
	v_and_b32_e32 v60, 0xffff, v61
	v_lshrrev_b32_e32 v61, 16, v61
	v_pk_fma_f16 v14, v55, v14, v86
	v_pk_fma_f16 v86, v55, v92, v88
	v_mul_u32_u24_e32 v88, 0x10001, v53
	v_mul_u32_u24_e32 v92, 0x10001, v54
	;; [unrolled: 1-line block ×4, first 2 shown]
	v_pk_fma_f16 v82, v55, v93, v82
	v_pk_fma_f16 v84, v55, v94, v84
	s_wait_dscnt 0x1
	v_pk_fma_f16 v77, v64, v88, v77
	v_pk_fma_f16 v78, v64, v92, v78
	;; [unrolled: 1-line block ×4, first 2 shown]
	ds_load_2addr_b64 v[52:55], v13 offset0:128 offset1:160
	s_wait_dscnt 0x1
	v_pk_fma_f16 v93, v56, v88, v95
	v_pk_fma_f16 v94, v56, v92, v96
	;; [unrolled: 1-line block ×22, first 2 shown]
	v_and_b32_e32 v82, 0xffff, v62
	v_lshrrev_b32_e32 v62, 16, v62
	v_and_b32_e32 v88, 0xffff, v63
	v_lshrrev_b32_e32 v63, 16, v63
	ds_load_2addr_b64 v[56:59], v13 offset0:192 offset1:224
	v_mul_u32_u24_e32 v13, 0x10001, v82
	v_mul_u32_u24_e32 v62, 0x10001, v62
	;; [unrolled: 1-line block ×4, first 2 shown]
	v_pk_fma_f16 v91, v65, v92, v91
	v_pk_fma_f16 v105, v66, v92, v107
	;; [unrolled: 1-line block ×4, first 2 shown]
	s_wait_dscnt 0x1
	v_pk_fma_f16 v84, v52, v13, v93
	v_pk_fma_f16 v92, v52, v62, v94
	;; [unrolled: 1-line block ×16, first 2 shown]
	ds_load_2addr_b64 v[52:55], v50 offset1:32
	v_pk_fma_f16 v65, v65, v61, v108
	v_pk_fma_f16 v66, v66, v61, v109
	s_wait_dscnt 0x1
	v_pk_fma_f16 v77, v56, v13, v77
	v_pk_fma_f16 v78, v56, v62, v78
	;; [unrolled: 1-line block ×15, first 2 shown]
	v_and_b32_e32 v82, 0xffff, v68
	v_lshrrev_b32_e32 v68, 16, v68
	v_and_b32_e32 v86, 0xffff, v69
	v_lshrrev_b32_e32 v69, 16, v69
	ds_load_2addr_b64 v[60:63], v50 offset0:64 offset1:96
	v_mul_u32_u24_e32 v82, 0x10001, v82
	v_mul_u32_u24_e32 v68, 0x10001, v68
	;; [unrolled: 1-line block ×4, first 2 shown]
	v_pk_fma_f16 v67, v59, v88, v67
	s_wait_dscnt 0x1
	v_pk_fma_f16 v84, v52, v82, v84
	v_pk_fma_f16 v88, v52, v68, v92
	;; [unrolled: 1-line block ×16, first 2 shown]
	ds_load_2addr_b64 v[52:55], v50 offset0:128 offset1:160
	s_wait_dscnt 0x1
	v_pk_fma_f16 v77, v60, v82, v77
	v_pk_fma_f16 v78, v60, v68, v78
	;; [unrolled: 1-line block ×14, first 2 shown]
	v_and_b32_e32 v68, 0xffff, v70
	v_lshrrev_b32_e32 v70, 16, v70
	v_and_b32_e32 v82, 0xffff, v71
	v_lshrrev_b32_e32 v71, 16, v71
	ds_load_2addr_b64 v[56:59], v50 offset0:192 offset1:224
	v_mul_u32_u24_e32 v50, 0x10001, v68
	v_mul_u32_u24_e32 v68, 0x10001, v70
	;; [unrolled: 1-line block ×4, first 2 shown]
	v_pk_fma_f16 v66, v63, v86, v66
	v_pk_fma_f16 v67, v63, v69, v67
	s_wait_dscnt 0x1
	v_pk_fma_f16 v69, v52, v50, v84
	v_pk_fma_f16 v82, v52, v68, v88
	;; [unrolled: 1-line block ×16, first 2 shown]
	ds_load_2addr_b64 v[52:55], v51 offset1:32
	s_wait_dscnt 0x1
	v_pk_fma_f16 v77, v56, v50, v77
	v_pk_fma_f16 v78, v56, v68, v78
	;; [unrolled: 1-line block ×15, first 2 shown]
	v_and_b32_e32 v66, 0xffff, v72
	v_lshrrev_b32_e32 v68, 16, v72
	v_and_b32_e32 v70, 0xffff, v73
	v_lshrrev_b32_e32 v72, 16, v73
	ds_load_2addr_b64 v[60:63], v51 offset0:64 offset1:96
	v_mul_u32_u24_e32 v66, 0x10001, v66
	v_mul_u32_u24_e32 v68, 0x10001, v68
	;; [unrolled: 1-line block ×4, first 2 shown]
	v_pk_fma_f16 v67, v59, v71, v67
	s_wait_dscnt 0x1
	v_pk_fma_f16 v69, v52, v66, v69
	v_pk_fma_f16 v71, v52, v68, v82
	;; [unrolled: 1-line block ×16, first 2 shown]
	ds_load_2addr_b64 v[52:55], v51 offset0:128 offset1:160
	s_wait_dscnt 0x1
	v_pk_fma_f16 v77, v60, v66, v77
	v_pk_fma_f16 v78, v60, v68, v78
	;; [unrolled: 1-line block ×15, first 2 shown]
	v_and_b32_e32 v50, 0xffff, v74
	v_lshrrev_b32_e32 v61, 16, v74
	v_and_b32_e32 v62, 0xffff, v75
	v_lshrrev_b32_e32 v68, 16, v75
	ds_load_2addr_b64 v[56:59], v51 offset0:192 offset1:224
	v_mul_u32_u24_e32 v70, 0x10001, v50
	v_mul_u32_u24_e32 v74, 0x10001, v61
	;; [unrolled: 1-line block ×4, first 2 shown]
	v_pk_fma_f16 v72, v63, v72, v67
	s_wait_dscnt 0x1
	v_pk_fma_f16 v69, v52, v70, v69
	v_pk_fma_f16 v71, v52, v74, v71
	;; [unrolled: 1-line block ×8, first 2 shown]
	ds_load_b128 v[50:53], v41 offset:960
	v_pk_fma_f16 v88, v54, v70, v88
	v_pk_fma_f16 v94, v55, v70, v94
	;; [unrolled: 1-line block ×5, first 2 shown]
	s_wait_dscnt 0x1
	v_pk_fma_f16 v77, v56, v70, v77
	v_pk_fma_f16 v98, v56, v68, v60
	;; [unrolled: 1-line block ×3, first 2 shown]
	ds_load_2addr_b64 v[60:63], v49 offset1:32
	v_pk_fma_f16 v100, v58, v70, v65
	v_pk_fma_f16 v13, v59, v70, v13
	;; [unrolled: 1-line block ×3, first 2 shown]
	ds_load_2addr_b64 v[64:67], v49 offset0:64 offset1:96
	v_pk_fma_f16 v95, v55, v74, v95
	v_pk_fma_f16 v89, v55, v75, v89
	;; [unrolled: 1-line block ×12, first 2 shown]
	ds_load_b128 v[54:57], v41 offset:976
	s_wait_dscnt 0x3
	v_and_b32_e32 v58, 0xffff, v50
	v_lshrrev_b32_e32 v50, 16, v50
	v_and_b32_e32 v74, 0xffff, v51
	v_lshrrev_b32_e32 v51, 16, v51
	v_pk_fma_f16 v68, v59, v68, v72
	v_mul_u32_u24_e32 v75, 0x10001, v58
	v_mul_u32_u24_e32 v50, 0x10001, v50
	;; [unrolled: 1-line block ×4, first 2 shown]
	s_wait_dscnt 0x2
	v_pk_fma_f16 v69, v60, v75, v69
	v_pk_fma_f16 v71, v60, v50, v71
	;; [unrolled: 1-line block ×16, first 2 shown]
	s_wait_dscnt 0x1
	v_pk_fma_f16 v76, v64, v75, v77
	v_pk_fma_f16 v77, v64, v50, v78
	;; [unrolled: 1-line block ×5, first 2 shown]
	ds_load_2addr_b64 v[58:61], v49 offset0:128 offset1:160
	v_pk_fma_f16 v80, v65, v74, v80
	v_pk_fma_f16 v94, v66, v75, v100
	;; [unrolled: 1-line block ×7, first 2 shown]
	v_and_b32_e32 v74, 0xffff, v52
	v_lshrrev_b32_e32 v75, 16, v52
	ds_load_2addr_b64 v[49:52], v49 offset0:192 offset1:224
	v_and_b32_e32 v95, 0xffff, v53
	v_lshrrev_b32_e32 v53, 16, v53
	v_pk_fma_f16 v64, v64, v101, v98
	v_pk_fma_f16 v65, v65, v101, v96
	v_mul_u32_u24_e32 v74, 0x10001, v74
	v_mul_u32_u24_e32 v75, 0x10001, v75
	;; [unrolled: 1-line block ×4, first 2 shown]
	v_pk_fma_f16 v66, v66, v101, v97
	v_pk_fma_f16 v67, v67, v101, v68
	s_wait_dscnt 0x1
	v_pk_fma_f16 v68, v58, v74, v69
	v_pk_fma_f16 v69, v58, v75, v71
	;; [unrolled: 1-line block ×12, first 2 shown]
	s_wait_dscnt 0x0
	v_pk_fma_f16 v76, v49, v74, v76
	v_pk_fma_f16 v77, v49, v75, v77
	;; [unrolled: 1-line block ×5, first 2 shown]
	ds_load_2addr_b64 v[62:65], v48 offset0:64 offset1:96
	v_pk_fma_f16 v87, v60, v95, v87
	v_pk_fma_f16 v92, v61, v74, v92
	v_pk_fma_f16 v93, v61, v75, v93
	v_pk_fma_f16 v89, v61, v95, v89
	v_pk_fma_f16 v79, v50, v74, v79
	v_pk_fma_f16 v90, v50, v75, v90
	ds_load_2addr_b64 v[58:61], v48 offset1:32
	v_pk_fma_f16 v80, v50, v95, v80
	v_pk_fma_f16 v94, v51, v74, v94
	;; [unrolled: 1-line block ×5, first 2 shown]
	v_and_b32_e32 v50, 0xffff, v54
	v_lshrrev_b32_e32 v51, 16, v54
	v_and_b32_e32 v54, 0xffff, v55
	v_lshrrev_b32_e32 v55, 16, v55
	v_pk_fma_f16 v13, v52, v74, v13
	v_pk_fma_f16 v14, v52, v75, v14
	;; [unrolled: 1-line block ×3, first 2 shown]
	v_mul_u32_u24_e32 v74, 0x10001, v50
	v_mul_u32_u24_e32 v75, 0x10001, v51
	;; [unrolled: 1-line block ×4, first 2 shown]
	v_pk_fma_f16 v67, v52, v53, v67
	s_wait_dscnt 0x1
	v_pk_fma_f16 v76, v62, v74, v76
	v_pk_fma_f16 v77, v62, v75, v77
	;; [unrolled: 1-line block ×4, first 2 shown]
	ds_load_2addr_b64 v[49:52], v48 offset0:128 offset1:160
	s_wait_dscnt 0x1
	v_pk_fma_f16 v68, v58, v74, v68
	v_pk_fma_f16 v69, v58, v75, v69
	;; [unrolled: 1-line block ×25, first 2 shown]
	v_and_b32_e32 v70, 0xffff, v56
	v_lshrrev_b32_e32 v74, 16, v56
	v_and_b32_e32 v75, 0xffff, v57
	v_lshrrev_b32_e32 v57, 16, v57
	ds_load_2addr_b64 v[53:56], v48 offset0:192 offset1:224
	v_mul_u32_u24_e32 v70, 0x10001, v70
	v_mul_u32_u24_e32 v74, 0x10001, v74
	;; [unrolled: 1-line block ×4, first 2 shown]
	v_pk_fma_f16 v65, v65, v95, v67
	s_wait_dscnt 0x1
	v_pk_fma_f16 v67, v49, v70, v68
	v_pk_fma_f16 v68, v49, v74, v69
	;; [unrolled: 1-line block ×12, first 2 shown]
	ds_load_b128 v[48:51], v41 offset:992
	v_pk_fma_f16 v61, v61, v95, v96
	v_pk_fma_f16 v63, v63, v95, v97
	s_wait_dscnt 0x1
	v_pk_fma_f16 v96, v53, v92, v62
	ds_load_2addr_b64 v[57:60], v47 offset1:32
	v_pk_fma_f16 v98, v55, v92, v64
	v_pk_fma_f16 v95, v52, v92, v61
	;; [unrolled: 1-line block ×3, first 2 shown]
	ds_load_2addr_b64 v[61:64], v47 offset0:64 offset1:96
	v_pk_fma_f16 v86, v52, v70, v86
	v_pk_fma_f16 v87, v52, v74, v87
	;; [unrolled: 1-line block ×14, first 2 shown]
	ds_load_b128 v[52:55], v41 offset:1008
	s_wait_dscnt 0x3
	v_and_b32_e32 v70, 0xffff, v48
	v_lshrrev_b32_e32 v48, 16, v48
	v_and_b32_e32 v74, 0xffff, v49
	v_lshrrev_b32_e32 v49, 16, v49
	v_pk_fma_f16 v66, v56, v75, v66
	v_mul_u32_u24_e32 v70, 0x10001, v70
	v_mul_u32_u24_e32 v48, 0x10001, v48
	;; [unrolled: 1-line block ×4, first 2 shown]
	v_pk_fma_f16 v65, v56, v92, v65
	s_wait_dscnt 0x2
	v_pk_fma_f16 v67, v57, v70, v67
	v_pk_fma_f16 v68, v57, v48, v68
	;; [unrolled: 1-line block ×15, first 2 shown]
	s_wait_dscnt 0x1
	v_pk_fma_f16 v76, v61, v70, v76
	v_pk_fma_f16 v77, v61, v48, v77
	;; [unrolled: 1-line block ×5, first 2 shown]
	ds_load_2addr_b64 v[56:59], v47 offset0:128 offset1:160
	v_pk_fma_f16 v80, v62, v74, v80
	v_pk_fma_f16 v90, v63, v70, v90
	;; [unrolled: 1-line block ×7, first 2 shown]
	v_and_b32_e32 v70, 0xffff, v50
	v_lshrrev_b32_e32 v74, 16, v50
	ds_load_2addr_b64 v[47:50], v47 offset0:192 offset1:224
	v_and_b32_e32 v94, 0xffff, v51
	v_lshrrev_b32_e32 v51, 16, v51
	v_pk_fma_f16 v60, v60, v75, v95
	v_pk_fma_f16 v61, v61, v75, v96
	;; [unrolled: 1-line block ×4, first 2 shown]
	v_mul_u32_u24_e32 v70, 0x10001, v70
	v_mul_u32_u24_e32 v74, 0x10001, v74
	;; [unrolled: 1-line block ×4, first 2 shown]
	v_pk_fma_f16 v64, v64, v75, v65
	s_wait_dscnt 0x1
	v_pk_fma_f16 v65, v56, v70, v67
	v_pk_fma_f16 v67, v56, v74, v68
	;; [unrolled: 1-line block ×16, first 2 shown]
	s_wait_dscnt 0x0
	v_pk_fma_f16 v76, v47, v70, v76
	v_pk_fma_f16 v77, v47, v74, v77
	;; [unrolled: 1-line block ×4, first 2 shown]
	ds_load_2addr_b64 v[56:59], v15 offset1:32
	v_pk_fma_f16 v93, v48, v51, v62
	v_pk_fma_f16 v95, v49, v51, v63
	ds_load_2addr_b64 v[60:63], v15 offset0:64 offset1:96
	v_pk_fma_f16 v79, v48, v70, v79
	v_pk_fma_f16 v89, v48, v74, v89
	;; [unrolled: 1-line block ×6, first 2 shown]
	v_and_b32_e32 v48, 0xffff, v52
	v_lshrrev_b32_e32 v49, 16, v52
	v_and_b32_e32 v52, 0xffff, v53
	v_lshrrev_b32_e32 v53, 16, v53
	v_pk_fma_f16 v13, v50, v70, v13
	v_pk_fma_f16 v14, v50, v74, v14
	v_mul_u32_u24_e32 v70, 0x10001, v48
	v_mul_u32_u24_e32 v74, 0x10001, v49
	v_mul_u32_u24_e32 v52, 0x10001, v52
	v_mul_u32_u24_e32 v53, 0x10001, v53
	v_pk_fma_f16 v66, v50, v94, v66
	v_pk_fma_f16 v64, v50, v51, v64
	s_wait_dscnt 0x1
	v_pk_fma_f16 v65, v56, v70, v65
	v_pk_fma_f16 v67, v56, v74, v67
	;; [unrolled: 1-line block ×16, first 2 shown]
	s_wait_dscnt 0x0
	v_pk_fma_f16 v76, v60, v70, v76
	v_pk_fma_f16 v92, v60, v74, v77
	;; [unrolled: 1-line block ×5, first 2 shown]
	ds_load_2addr_b64 v[48:51], v15 offset0:128 offset1:160
	v_pk_fma_f16 v96, v61, v52, v80
	v_pk_fma_f16 v97, v62, v52, v81
	ds_load_2addr_b64 v[79:82], v15 offset0:192 offset1:224
	s_wait_loadcnt_dscnt 0x0
	s_barrier_signal -1
	s_barrier_wait -1
	global_inv scope:SCOPE_SE
	s_load_b32 s3, s[24:25], 0x4
	v_pk_fma_f16 v98, v63, v52, v66
	v_and_b32_e32 v52, 0xffff, v54
	v_lshrrev_b32_e32 v54, 16, v54
	v_and_b32_e32 v59, 0xffff, v55
	v_lshrrev_b32_e32 v55, 16, v55
	v_pk_fma_f16 v89, v61, v74, v89
	v_pk_fma_f16 v93, v61, v53, v93
	;; [unrolled: 1-line block ×8, first 2 shown]
	v_mul_u32_u24_e32 v100, 0x10001, v52
	v_mul_u32_u24_e32 v101, 0x10001, v54
	;; [unrolled: 1-line block ×4, first 2 shown]
	s_delay_alu instid0(VALU_DEP_4)
	v_pk_fma_f16 v71, v48, v100, v65
	s_wait_kmcnt 0x0
	s_lshl_b32 s3, s3, 7
	v_pk_fma_f16 v63, v48, v101, v67
	v_pk_fma_f16 v55, v48, v102, v68
	;; [unrolled: 1-line block ×31, first 2 shown]
	s_wait_alu 0xfffe
	s_add_co_i32 s4, s3, s4
	s_wait_alu 0xfffe
	s_cmp_ge_i32 s4, s30
	s_cbranch_scc1 .LBB0_23
; %bb.22:                               ;   in Loop: Header=BB0_17 Depth=1
	v_dual_mov_b32 v84, v0 :: v_dual_mov_b32 v87, v1
	v_dual_mov_b32 v86, v2 :: v_dual_mov_b32 v85, v3
	;; [unrolled: 1-line block ×4, first 2 shown]
	s_branch .LBB0_17
.LBB0_23:
	v_dual_mov_b32 v13, 32 :: v_dual_mov_b32 v14, v35
.LBB0_24:
	s_delay_alu instid0(VALU_DEP_1)
	v_cmp_lt_i32_e32 vcc_lo, v4, v13
	s_cmp_lg_u64 s[12:13], 0
	s_cselect_b32 s3, -1, 0
	s_cmp_eq_u32 s2, 0
	s_wait_alu 0xfffd
	v_cndmask_b32_e32 v4, v14, v4, vcc_lo
	v_cmp_lt_i32_e32 vcc_lo, v5, v13
	s_cselect_b32 s4, -1, 0
	s_wait_alu 0xfffe
	s_and_b32 s3, s4, s3
	s_wait_alu 0xfffd
	v_cndmask_b32_e32 v5, v14, v5, vcc_lo
	v_cmp_lt_i32_e32 vcc_lo, v6, v13
	s_delay_alu instid0(VALU_DEP_2)
	v_lshlrev_b32_e32 v5, 2, v5
	v_lshlrev_b32_e32 v4, 2, v4
	s_wait_alu 0xfffd
	v_cndmask_b32_e32 v6, v14, v6, vcc_lo
	v_cmp_lt_i32_e32 vcc_lo, v7, v13
	ds_bpermute_b32 v18, v4, v11
	s_wait_alu 0xfffd
	v_cndmask_b32_e32 v7, v14, v7, vcc_lo
	v_cmp_lt_i32_e32 vcc_lo, v8, v13
	s_delay_alu instid0(VALU_DEP_2)
	v_lshlrev_b32_e32 v7, 2, v7
	s_wait_dscnt 0x0
	v_add_f32_e32 v11, v11, v18
	ds_bpermute_b32 v15, v4, v12
	ds_bpermute_b32 v19, v4, v10
	;; [unrolled: 1-line block ×3, first 2 shown]
	s_wait_dscnt 0x2
	v_add_f32_e32 v12, v12, v15
	ds_bpermute_b32 v15, v5, v11
	s_wait_dscnt 0x1
	v_add_f32_e32 v4, v9, v4
	ds_bpermute_b32 v9, v5, v12
	v_add_f32_e32 v10, v10, v19
	s_wait_dscnt 0x1
	v_add_f32_e32 v11, v11, v15
	s_wait_dscnt 0x0
	v_add_f32_e32 v9, v12, v9
	ds_bpermute_b32 v18, v5, v10
	ds_bpermute_b32 v5, v5, v4
	v_lshlrev_b32_e32 v6, 2, v6
	s_wait_dscnt 0x0
	v_add_f32_e32 v4, v4, v5
	ds_bpermute_b32 v5, v6, v9
	s_wait_dscnt 0x0
	v_add_f32_e32 v5, v9, v5
	ds_bpermute_b32 v12, v6, v11
	s_wait_dscnt 0x0
	v_dual_add_f32 v10, v10, v18 :: v_dual_add_f32 v9, v11, v12
	ds_bpermute_b32 v15, v6, v10
	ds_bpermute_b32 v6, v6, v4
	;; [unrolled: 1-line block ×3, first 2 shown]
	s_wait_dscnt 0x1
	v_add_f32_e32 v4, v4, v6
	ds_bpermute_b32 v6, v7, v5
	s_wait_dscnt 0x0
	v_dual_add_f32 v10, v10, v15 :: v_dual_add_f32 v5, v5, v6
	ds_bpermute_b32 v12, v7, v10
	s_wait_dscnt 0x0
	v_dual_add_f32 v6, v9, v11 :: v_dual_add_f32 v9, v10, v12
	ds_bpermute_b32 v7, v7, v4
	s_wait_alu 0xfffd
	v_cndmask_b32_e32 v8, v14, v8, vcc_lo
	s_wait_alu 0xfffe
	s_and_b32 vcc_lo, exec_lo, s3
	s_wait_dscnt 0x0
	s_delay_alu instid0(VALU_DEP_1)
	v_dual_add_f32 v7, v4, v7 :: v_dual_lshlrev_b32 v8, 2, v8
	ds_bpermute_b32 v4, v8, v5
	ds_bpermute_b32 v10, v8, v6
	s_wait_dscnt 0x0
	v_dual_add_f32 v4, v5, v4 :: v_dual_add_f32 v5, v6, v10
	ds_bpermute_b32 v11, v8, v9
	ds_bpermute_b32 v8, v8, v7
	s_wait_dscnt 0x0
	v_dual_add_f32 v6, v9, v11 :: v_dual_add_f32 v7, v7, v8
	s_wait_alu 0xfffe
	s_cbranch_vccz .LBB0_27
; %bb.25:
	v_dual_max_num_f32 v13, v1, v1 :: v_dual_add_nc_u32 v8, s33, v31
	s_delay_alu instid0(VALU_DEP_1) | instskip(NEXT) | instid1(VALU_DEP_1)
	v_ashrrev_i32_e32 v9, 31, v8
	v_lshlrev_b64_e32 v[8:9], 2, v[8:9]
	s_delay_alu instid0(VALU_DEP_1) | instskip(SKIP_1) | instid1(VALU_DEP_2)
	v_add_co_u32 v8, vcc_lo, s12, v8
	s_wait_alu 0xfffd
	v_add_co_ci_u32_e64 v9, null, s13, v9, vcc_lo
	global_load_b128 v[8:11], v[8:9], off
	v_max_num_f32_e32 v12, v0, v0
	s_wait_loadcnt 0x0
	v_dual_max_num_f32 v14, v2, v2 :: v_dual_max_num_f32 v15, v8, v8
	v_dual_max_num_f32 v19, v9, v9 :: v_dual_max_num_f32 v20, v10, v10
	v_max_num_f32_e32 v21, v11, v11
	s_delay_alu instid0(VALU_DEP_2) | instskip(NEXT) | instid1(VALU_DEP_1)
	v_dual_max_num_f32 v13, v13, v19 :: v_dual_max_num_f32 v14, v14, v20
	v_dual_max_num_f32 v18, v3, v3 :: v_dual_sub_f32 v19, v1, v13
	s_delay_alu instid0(VALU_DEP_1) | instskip(NEXT) | instid1(VALU_DEP_3)
	v_dual_max_num_f32 v12, v12, v15 :: v_dual_max_num_f32 v15, v18, v21
	v_sub_f32_e32 v10, v10, v14
	v_dual_sub_f32 v20, v2, v14 :: v_dual_sub_f32 v9, v9, v13
	s_delay_alu instid0(VALU_DEP_3) | instskip(NEXT) | instid1(VALU_DEP_4)
	v_sub_f32_e32 v18, v0, v12
	v_dual_sub_f32 v8, v8, v12 :: v_dual_sub_f32 v21, v3, v15
	v_dual_mov_b32 v0, v12 :: v_dual_mov_b32 v3, v15
	v_dual_mov_b32 v1, v13 :: v_dual_mov_b32 v2, v14
	s_delay_alu instid0(VALU_DEP_3) | instskip(SKIP_3) | instid1(VALU_DEP_4)
	v_dual_mul_f32 v13, 0x3fb8aa3b, v8 :: v_dual_mul_f32 v12, 0x3fb8aa3b, v18
	v_dual_mul_f32 v14, 0x3fb8aa3b, v19 :: v_dual_mul_f32 v23, 0x3fb8aa3b, v10
	v_sub_f32_e32 v11, v11, v15
	v_mul_f32_e32 v15, 0x3fb8aa3b, v9
	v_fma_f32 v26, 0x3fb8aa3b, v18, -v12
	v_rndne_f32_e32 v27, v12
	v_fma_f32 v28, 0x3fb8aa3b, v8, -v13
	v_rndne_f32_e32 v29, v13
	v_rndne_f32_e32 v39, v23
	v_fma_f32 v38, 0x3fb8aa3b, v10, -v23
	v_fmac_f32_e32 v26, 0x32a5705f, v18
	s_delay_alu instid0(VALU_DEP_4) | instskip(NEXT) | instid1(VALU_DEP_4)
	v_dual_fmac_f32 v28, 0x32a5705f, v8 :: v_dual_sub_f32 v13, v13, v29
	v_sub_f32_e32 v23, v23, v39
	v_sub_f32_e32 v12, v12, v27
	v_cvt_i32_f32_e32 v27, v27
	v_cvt_i32_f32_e32 v29, v29
	v_add_f32_e32 v13, v13, v28
	v_cmp_ngt_f32_e32 vcc_lo, 0xc2ce8ed0, v18
	v_add_f32_e32 v12, v12, v26
	v_dual_mul_f32 v22, 0x3fb8aa3b, v20 :: v_dual_mul_f32 v25, 0x3fb8aa3b, v11
	s_delay_alu instid0(VALU_DEP_4) | instskip(SKIP_1) | instid1(VALU_DEP_3)
	v_exp_f32_e32 v13, v13
	v_fma_f32 v30, 0x3fb8aa3b, v19, -v14
	v_exp_f32_e32 v12, v12
	v_rndne_f32_e32 v33, v14
	v_fma_f32 v34, 0x3fb8aa3b, v9, -v15
	v_rndne_f32_e32 v35, v15
	v_mul_f32_e32 v24, 0x3fb8aa3b, v21
	v_rndne_f32_e32 v43, v25
	v_sub_f32_e32 v14, v14, v33
	v_fma_f32 v42, 0x3fb8aa3b, v11, -v25
	v_ldexp_f32 v13, v13, v29
	v_sub_f32_e32 v15, v15, v35
	v_ldexp_f32 v12, v12, v27
	v_sub_f32_e32 v25, v25, v43
	v_cvt_i32_f32_e32 v33, v33
	v_fma_f32 v36, 0x3fb8aa3b, v20, -v22
	v_rndne_f32_e32 v37, v22
	s_wait_alu 0xfffd
	v_cndmask_b32_e32 v12, 0, v12, vcc_lo
	v_cmp_ngt_f32_e32 vcc_lo, 0xc2ce8ed0, v8
	v_fmac_f32_e32 v38, 0x32a5705f, v10
	v_cvt_i32_f32_e32 v35, v35
	v_fmac_f32_e32 v42, 0x32a5705f, v11
	s_wait_alu 0xfffd
	v_dual_fmac_f32 v36, 0x32a5705f, v20 :: v_dual_cndmask_b32 v13, 0, v13
	v_dual_fmac_f32 v34, 0x32a5705f, v9 :: v_dual_add_f32 v23, v23, v38
	v_fmac_f32_e32 v30, 0x32a5705f, v19
	v_cmp_ngt_f32_e32 vcc_lo, 0xc2ce8ed0, v19
	v_add_f32_e32 v25, v25, v42
	s_delay_alu instid0(VALU_DEP_4)
	v_add_f32_e32 v15, v15, v34
	v_exp_f32_e32 v23, v23
	v_add_f32_e32 v14, v14, v30
	v_fma_f32 v40, 0x3fb8aa3b, v21, -v24
	v_rndne_f32_e32 v41, v24
	v_exp_f32_e32 v15, v15
	v_cvt_i32_f32_e32 v39, v39
	v_exp_f32_e32 v14, v14
	v_exp_f32_e32 v25, v25
	v_cvt_i32_f32_e32 v26, v41
	v_cvt_i32_f32_e32 v28, v43
	v_ldexp_f32 v23, v23, v39
	s_delay_alu instid0(TRANS32_DEP_3) | instskip(NEXT) | instid1(TRANS32_DEP_2)
	v_ldexp_f32 v15, v15, v35
	v_ldexp_f32 v14, v14, v33
	s_delay_alu instid0(TRANS32_DEP_1) | instid1(VALU_DEP_4)
	v_ldexp_f32 v25, v25, v28
	s_wait_alu 0xfffd
	s_delay_alu instid0(VALU_DEP_2)
	v_cndmask_b32_e32 v14, 0, v14, vcc_lo
	v_cmp_ngt_f32_e32 vcc_lo, 0xc2ce8ed0, v9
	v_sub_f32_e32 v22, v22, v37
	v_cvt_i32_f32_e32 v37, v37
	s_wait_alu 0xfffd
	v_dual_sub_f32 v24, v24, v41 :: v_dual_cndmask_b32 v15, 0, v15
	s_delay_alu instid0(VALU_DEP_3) | instskip(SKIP_1) | instid1(VALU_DEP_2)
	v_add_f32_e32 v22, v22, v36
	v_cmp_ngt_f32_e32 vcc_lo, 0xc2ce8ed0, v20
	v_exp_f32_e32 v22, v22
	s_delay_alu instid0(TRANS32_DEP_1) | instskip(SKIP_1) | instid1(VALU_DEP_1)
	v_ldexp_f32 v22, v22, v37
	s_wait_alu 0xfffd
	v_cndmask_b32_e32 v22, 0, v22, vcc_lo
	v_cmp_ngt_f32_e32 vcc_lo, 0xc2ce8ed0, v10
	s_wait_alu 0xfffd
	v_dual_fmac_f32 v40, 0x32a5705f, v21 :: v_dual_cndmask_b32 v23, 0, v23
	s_delay_alu instid0(VALU_DEP_1) | instskip(SKIP_1) | instid1(VALU_DEP_2)
	v_add_f32_e32 v24, v24, v40
	v_cmp_ngt_f32_e32 vcc_lo, 0xc2ce8ed0, v21
	v_exp_f32_e32 v24, v24
	s_delay_alu instid0(TRANS32_DEP_1) | instskip(SKIP_1) | instid1(VALU_DEP_1)
	v_ldexp_f32 v24, v24, v26
	s_wait_alu 0xfffd
	v_cndmask_b32_e32 v24, 0, v24, vcc_lo
	v_cmp_ngt_f32_e32 vcc_lo, 0xc2ce8ed0, v11
	s_wait_alu 0xfffd
	v_cndmask_b32_e32 v25, 0, v25, vcc_lo
	v_cmp_nlt_f32_e32 vcc_lo, 0x42b17218, v18
	s_wait_alu 0xfffd
	v_cndmask_b32_e32 v12, 0x7f800000, v12, vcc_lo
	v_cmp_nlt_f32_e32 vcc_lo, 0x42b17218, v8
	;; [unrolled: 3-line block ×3, first 2 shown]
	s_wait_alu 0xfffd
	s_delay_alu instid0(VALU_DEP_2)
	v_dual_fmac_f32 v8, v4, v12 :: v_dual_cndmask_b32 v13, 0x7f800000, v14
	v_cmp_nlt_f32_e32 vcc_lo, 0x42b17218, v9
	v_cvt_f16_f32_e32 v4, v12
	s_wait_alu 0xfffd
	v_cndmask_b32_e32 v9, 0x7f800000, v15, vcc_lo
	v_cmp_nlt_f32_e32 vcc_lo, 0x42b17218, v20
	s_delay_alu instid0(VALU_DEP_2) | instskip(SKIP_1) | instid1(VALU_DEP_1)
	v_fmac_f32_e32 v9, v5, v13
	v_cvt_f16_f32_e32 v5, v13
	v_and_b32_e32 v13, 0xffff, v5
	s_wait_alu 0xfffd
	v_cndmask_b32_e32 v14, 0x7f800000, v22, vcc_lo
	v_cmp_nlt_f32_e32 vcc_lo, 0x42b17218, v10
	v_mov_b32_e32 v5, v9
	v_mul_u32_u24_e32 v13, 0x10001, v13
	s_wait_alu 0xfffd
	v_cndmask_b32_e32 v10, 0x7f800000, v23, vcc_lo
	v_cmp_nlt_f32_e32 vcc_lo, 0x42b17218, v21
	s_delay_alu instid0(VALU_DEP_3)
	v_pk_mul_f16 v63, v63, v13
	v_pk_mul_f16 v70, v70, v13
	s_wait_alu 0xfffd
	v_dual_fmac_f32 v10, v6, v14 :: v_dual_cndmask_b32 v15, 0x7f800000, v24
	v_cmp_nlt_f32_e32 vcc_lo, 0x42b17218, v11
	v_cvt_f16_f32_e32 v6, v14
	v_pk_mul_f16 v67, v67, v13
	v_pk_mul_f16 v69, v69, v13
	v_cvt_f16_f32_e32 v12, v15
	s_wait_alu 0xfffd
	v_cndmask_b32_e32 v11, 0x7f800000, v25, vcc_lo
	v_and_b32_e32 v14, 0xffff, v6
	v_mov_b32_e32 v6, v10
	v_pk_mul_f16 v66, v66, v13
	s_delay_alu instid0(VALU_DEP_4) | instskip(SKIP_3) | instid1(VALU_DEP_4)
	v_dual_fmac_f32 v11, v7, v15 :: v_dual_and_b32 v12, 0xffff, v12
	v_and_b32_e32 v7, 0xffff, v4
	v_mul_u32_u24_e32 v14, 0x10001, v14
	v_mov_b32_e32 v4, v8
	v_mul_u32_u24_e32 v12, 0x10001, v12
	v_pk_mul_f16 v68, v68, v13
	v_mul_u32_u24_e32 v7, 0x10001, v7
	v_pk_mul_f16 v64, v64, v13
	v_pk_mul_f16 v65, v65, v13
	;; [unrolled: 1-line block ×26, first 2 shown]
	v_mov_b32_e32 v7, v11
	s_mov_b32 s3, exec_lo
	v_cmpx_gt_i32_e64 s22, v16
	s_cbranch_execnz .LBB0_28
.LBB0_26:
	s_nop 0
	s_sendmsg sendmsg(MSG_DEALLOC_VGPRS)
	s_endpgm
.LBB0_27:
	s_delay_alu instid0(VALU_DEP_1)
	v_dual_mov_b32 v11, v7 :: v_dual_mov_b32 v10, v6
	v_dual_mov_b32 v9, v5 :: v_dual_mov_b32 v8, v4
	s_mov_b32 s3, exec_lo
	v_cmpx_gt_i32_e64 s22, v16
	s_cbranch_execz .LBB0_26
.LBB0_28:
	s_load_b32 s1, s[0:1], 0xd4
	v_mov_b32_e32 v14, 1.0
	s_wait_kmcnt 0x0
	s_cmp_lg_u32 s1, 1
	s_cselect_b32 s4, -1, 0
	s_cmp_eq_u32 s1, 1
	s_cselect_b32 s3, -1, 0
	s_wait_alu 0xfffe
	s_and_b32 vcc_lo, exec_lo, s4
	s_wait_alu 0xfffe
	s_cbranch_vccnz .LBB0_30
; %bb.29:
	v_div_scale_f32 v12, null, v4, v4, 1.0
	s_delay_alu instid0(VALU_DEP_1) | instskip(NEXT) | instid1(TRANS32_DEP_1)
	v_rcp_f32_e32 v13, v12
	v_fma_f32 v14, -v12, v13, 1.0
	s_delay_alu instid0(VALU_DEP_1) | instskip(SKIP_1) | instid1(VALU_DEP_1)
	v_fmac_f32_e32 v13, v14, v13
	v_div_scale_f32 v14, vcc_lo, 1.0, v4, 1.0
	v_mul_f32_e32 v15, v14, v13
	s_delay_alu instid0(VALU_DEP_1) | instskip(NEXT) | instid1(VALU_DEP_1)
	v_fma_f32 v18, -v12, v15, v14
	v_fmac_f32_e32 v15, v18, v13
	s_delay_alu instid0(VALU_DEP_1) | instskip(SKIP_1) | instid1(VALU_DEP_1)
	v_fma_f32 v12, -v12, v15, v14
	s_wait_alu 0xfffd
	v_div_fmas_f32 v12, v12, v13, v15
	s_delay_alu instid0(VALU_DEP_1)
	v_div_fixup_f32 v14, v12, v4, 1.0
.LBB0_30:
	v_mad_co_u64_u32 v[12:13], null, s28, s22, v[16:17]
	v_lshrrev_b32_e32 v4, 16, v77
	v_cvt_f32_f16_e32 v15, v77
	v_cvt_f32_f16_e32 v18, v71
	v_mov_b32_e32 v28, 0
	v_lshrrev_b32_e32 v19, 16, v78
	v_cvt_f32_f16_e32 v23, v75
	v_mul_lo_u32 v12, v12, s23
	v_cvt_f32_f16_e32 v4, v4
	v_lshrrev_b32_e32 v16, 16, v71
	v_lshrrev_b32_e32 v25, 16, v76
	v_cmp_eq_u32_e32 vcc_lo, 0, v17
	v_mul_f32_e32 v17, v14, v15
	v_dual_mul_f32 v15, v14, v18 :: v_dual_mov_b32 v24, v28
	v_add3_u32 v12, s33, v31, v12
	v_cvt_f32_f16_e32 v29, v19
	v_mul_f32_e32 v19, v14, v23
	v_cvt_f32_f16_e32 v20, v78
	v_lshrrev_b32_e32 v22, 16, v75
	v_mad_co_u64_u32 v[12:13], null, s1, v12, s[2:3]
	v_cvt_f32_f16_e32 v13, v16
	v_lshrrev_b32_e32 v37, 16, v74
	v_cvt_f32_f16_e32 v38, v25
	v_dual_mul_f32 v21, v14, v20 :: v_dual_mov_b32 v30, v28
	v_cvt_f32_f16_e32 v20, v22
	v_lshl_add_u32 v27, v12, 9, v32
	v_mul_f32_e32 v18, v14, v4
	v_mul_f32_e32 v16, v14, v13
	v_cvt_f32_f16_e32 v13, v74
	s_delay_alu instid0(VALU_DEP_4)
	v_dual_mul_f32 v22, v14, v29 :: v_dual_add_nc_u32 v23, 0x80, v27
	v_lshlrev_b64_e32 v[25:26], 2, v[27:28]
	v_add_nc_u32_e32 v29, 0x100, v27
	v_cvt_f32_f16_e32 v4, v37
	v_add_nc_u32_e32 v27, 0x180, v27
	v_lshlrev_b64_e32 v[23:24], 2, v[23:24]
	v_cvt_f32_f16_e32 v31, v76
	v_add_co_u32 v33, s0, s16, v25
	s_wait_alu 0xf1ff
	v_add_co_ci_u32_e64 v34, null, s17, v26, s0
	s_delay_alu instid0(VALU_DEP_4)
	v_add_co_u32 v35, s0, s16, v23
	v_mul_f32_e32 v23, v14, v13
	v_lshrrev_b32_e32 v13, 16, v72
	v_lshlrev_b64_e32 v[29:30], 2, v[29:30]
	s_wait_alu 0xf1ff
	v_add_co_ci_u32_e64 v36, null, s17, v24, s0
	v_mul_f32_e32 v24, v14, v4
	v_lshrrev_b32_e32 v4, 16, v73
	v_lshlrev_b64_e32 v[39:40], 2, v[27:28]
	v_cvt_f32_f16_e32 v13, v13
	v_mul_f32_e32 v25, v14, v31
	v_add_co_u32 v37, s0, s16, v29
	v_cvt_f32_f16_e32 v4, v4
	v_cvt_f32_f16_e32 v29, v73
	;; [unrolled: 1-line block ×3, first 2 shown]
	v_mul_f32_e32 v20, v14, v20
	v_mul_f32_e32 v26, v14, v38
	s_wait_alu 0xf1ff
	v_add_co_ci_u32_e64 v38, null, s17, v30, s0
	v_mul_f32_e32 v28, v14, v13
	v_add_co_u32 v13, s0, s16, v39
	v_mul_f32_e32 v30, v14, v4
	v_mul_f32_e32 v29, v14, v29
	;; [unrolled: 1-line block ×3, first 2 shown]
	s_wait_alu 0xf1ff
	v_add_co_ci_u32_e64 v14, null, s17, v40, s0
	s_and_b32 s0, vcc_lo, s4
	s_clause 0x3
	global_store_b128 v[33:34], v[15:18], off
	global_store_b128 v[35:36], v[19:22], off
	;; [unrolled: 1-line block ×4, first 2 shown]
	s_wait_alu 0xfffe
	s_and_saveexec_b32 s2, s0
	s_cbranch_execz .LBB0_32
; %bb.31:
	v_ashrrev_i32_e32 v13, 31, v12
	v_dual_mov_b32 v15, v0 :: v_dual_mov_b32 v16, v8
	s_delay_alu instid0(VALU_DEP_2) | instskip(NEXT) | instid1(VALU_DEP_1)
	v_lshlrev_b64_e32 v[13:14], 3, v[12:13]
	v_add_co_u32 v13, vcc_lo, s18, v13
	s_wait_alu 0xfffd
	s_delay_alu instid0(VALU_DEP_2)
	v_add_co_ci_u32_e64 v14, null, s19, v14, vcc_lo
	global_store_b64 v[13:14], v[15:16], off
.LBB0_32:
	s_wait_alu 0xfffe
	s_or_b32 exec_lo, exec_lo, s2
	v_cndmask_b32_e64 v13, 0, 1, s3
	v_mov_b32_e32 v0, 1.0
	s_and_not1_b32 vcc_lo, exec_lo, s3
	s_wait_alu 0xfffe
	s_cbranch_vccnz .LBB0_34
; %bb.33:
	v_div_scale_f32 v0, null, v5, v5, 1.0
	s_delay_alu instid0(VALU_DEP_1) | instskip(NEXT) | instid1(TRANS32_DEP_1)
	v_rcp_f32_e32 v4, v0
	v_fma_f32 v8, -v0, v4, 1.0
	s_delay_alu instid0(VALU_DEP_1) | instskip(SKIP_1) | instid1(VALU_DEP_1)
	v_fmac_f32_e32 v4, v8, v4
	v_div_scale_f32 v8, vcc_lo, 1.0, v5, 1.0
	v_mul_f32_e32 v14, v8, v4
	s_delay_alu instid0(VALU_DEP_1) | instskip(NEXT) | instid1(VALU_DEP_1)
	v_fma_f32 v15, -v0, v14, v8
	v_fmac_f32_e32 v14, v15, v4
	s_delay_alu instid0(VALU_DEP_1) | instskip(SKIP_1) | instid1(VALU_DEP_1)
	v_fma_f32 v0, -v0, v14, v8
	s_wait_alu 0xfffd
	v_div_fmas_f32 v0, v0, v4, v14
	s_delay_alu instid0(VALU_DEP_1)
	v_div_fixup_f32 v0, v0, v5, 1.0
.LBB0_34:
	v_dual_mov_b32 v27, 0 :: v_dual_add_nc_u32 v4, s1, v12
	v_lshrrev_b32_e32 v5, 16, v70
	v_cvt_f32_f16_e32 v8, v70
	v_lshrrev_b32_e32 v20, 16, v69
	s_delay_alu instid0(VALU_DEP_4)
	v_lshl_add_u32 v26, v4, 9, v32
	v_lshrrev_b32_e32 v12, 16, v63
	v_cvt_f32_f16_e32 v5, v5
	v_mul_f32_e32 v16, v0, v8
	v_cvt_f32_f16_e32 v8, v20
	v_lshlrev_b64_e32 v[18:19], 2, v[26:27]
	v_cvt_f32_f16_e32 v14, v63
	v_mul_f32_e32 v17, v0, v5
	v_lshrrev_b32_e32 v5, 16, v67
	v_cvt_f32_f16_e32 v12, v12
	v_mul_f32_e32 v21, v0, v8
	v_add_co_u32 v30, vcc_lo, s16, v18
	s_wait_alu 0xfffd
	v_add_co_ci_u32_e64 v31, null, s17, v19, vcc_lo
	v_dual_mov_b32 v19, v27 :: v_dual_add_nc_u32 v18, 0x80, v26
	v_cvt_f32_f16_e32 v5, v5
	v_lshrrev_b32_e32 v8, 16, v66
	v_mul_f32_e32 v14, v0, v14
	v_mul_f32_e32 v15, v0, v12
	v_lshlrev_b64_e32 v[22:23], 2, v[18:19]
	v_mul_f32_e32 v19, v0, v5
	v_lshrrev_b32_e32 v5, 16, v68
	v_cvt_f32_f16_e32 v12, v69
	v_cvt_f32_f16_e32 v8, v8
	;; [unrolled: 1-line block ×3, first 2 shown]
	v_add_co_u32 v33, vcc_lo, s16, v22
	s_wait_alu 0xfffd
	v_add_co_ci_u32_e64 v34, null, s17, v23, vcc_lo
	v_cvt_f32_f16_e32 v5, v5
	v_dual_mov_b32 v23, v27 :: v_dual_add_nc_u32 v22, 0x100, v26
	v_add_nc_u32_e32 v26, 0x180, v26
	v_mul_f32_e32 v20, v0, v12
	v_cvt_f32_f16_e32 v12, v68
	v_mul_f32_e32 v25, v0, v5
	v_lshlrev_b64_e32 v[28:29], 2, v[22:23]
	v_mul_f32_e32 v23, v0, v8
	v_lshrrev_b32_e32 v5, 16, v65
	v_lshrrev_b32_e32 v8, 16, v64
	v_cvt_f32_f16_e32 v35, v66
	v_lshlrev_b64_e32 v[37:38], 2, v[26:27]
	v_mul_f32_e32 v18, v0, v24
	v_mul_f32_e32 v24, v0, v12
	v_cvt_f32_f16_e32 v5, v5
	v_cvt_f32_f16_e32 v12, v65
	;; [unrolled: 1-line block ×4, first 2 shown]
	v_mul_f32_e32 v22, v0, v35
	v_add_co_u32 v35, vcc_lo, s16, v28
	s_wait_alu 0xfffd
	v_add_co_ci_u32_e64 v36, null, s17, v29, vcc_lo
	v_add_co_u32 v37, vcc_lo, s16, v37
	v_mul_f32_e32 v29, v0, v5
	v_mul_f32_e32 v28, v0, v12
	;; [unrolled: 1-line block ×4, first 2 shown]
	s_wait_alu 0xfffd
	v_add_co_ci_u32_e64 v38, null, s17, v38, vcc_lo
	s_clause 0x3
	global_store_b128 v[30:31], v[14:17], off
	global_store_b128 v[33:34], v[18:21], off
	;; [unrolled: 1-line block ×4, first 2 shown]
	s_and_saveexec_b32 s2, s0
	s_cbranch_execz .LBB0_36
; %bb.35:
	v_ashrrev_i32_e32 v5, 31, v4
	v_mov_b32_e32 v8, v1
	s_delay_alu instid0(VALU_DEP_2) | instskip(NEXT) | instid1(VALU_DEP_1)
	v_lshlrev_b64_e32 v[14:15], 3, v[4:5]
	v_add_co_u32 v14, vcc_lo, s18, v14
	s_wait_alu 0xfffd
	s_delay_alu instid0(VALU_DEP_2)
	v_add_co_ci_u32_e64 v15, null, s19, v15, vcc_lo
	global_store_b64 v[14:15], v[8:9], off
.LBB0_36:
	s_wait_alu 0xfffe
	s_or_b32 exec_lo, exec_lo, s2
	v_cmp_ne_u32_e32 vcc_lo, 1, v13
	v_mov_b32_e32 v1, 1.0
	s_cbranch_vccnz .LBB0_38
; %bb.37:
	v_div_scale_f32 v0, null, v6, v6, 1.0
	s_delay_alu instid0(VALU_DEP_1) | instskip(NEXT) | instid1(TRANS32_DEP_1)
	v_rcp_f32_e32 v1, v0
	v_fma_f32 v5, -v0, v1, 1.0
	s_delay_alu instid0(VALU_DEP_1) | instskip(SKIP_1) | instid1(VALU_DEP_1)
	v_fmac_f32_e32 v1, v5, v1
	v_div_scale_f32 v5, vcc_lo, 1.0, v6, 1.0
	v_mul_f32_e32 v8, v5, v1
	s_delay_alu instid0(VALU_DEP_1) | instskip(NEXT) | instid1(VALU_DEP_1)
	v_fma_f32 v9, -v0, v8, v5
	v_fmac_f32_e32 v8, v9, v1
	s_delay_alu instid0(VALU_DEP_1) | instskip(SKIP_1) | instid1(VALU_DEP_1)
	v_fma_f32 v0, -v0, v8, v5
	s_wait_alu 0xfffd
	v_div_fmas_f32 v0, v0, v1, v8
	s_delay_alu instid0(VALU_DEP_1)
	v_div_fixup_f32 v1, v0, v6, 1.0
.LBB0_38:
	v_lshrrev_b32_e32 v6, 16, v62
	v_dual_mov_b32 v5, 0 :: v_dual_add_nc_u32 v0, s1, v4
	v_cvt_f32_f16_e32 v12, v62
	v_lshrrev_b32_e32 v18, 16, v61
	s_delay_alu instid0(VALU_DEP_4) | instskip(NEXT) | instid1(VALU_DEP_4)
	v_cvt_f32_f16_e32 v6, v6
	v_lshl_add_u32 v4, v0, 9, v32
	v_lshrrev_b32_e32 v8, 16, v55
	v_mul_f32_e32 v16, v1, v12
	v_cvt_f32_f16_e32 v12, v18
	s_delay_alu instid0(VALU_DEP_4)
	v_dual_mul_f32 v17, v1, v6 :: v_dual_add_nc_u32 v18, 0x80, v4
	v_lshrrev_b32_e32 v6, 16, v59
	v_mov_b32_e32 v19, v5
	v_cvt_f32_f16_e32 v15, v8
	v_lshlrev_b64_e32 v[8:9], 2, v[4:5]
	v_mul_f32_e32 v21, v1, v12
	v_cvt_f32_f16_e32 v6, v6
	v_lshlrev_b64_e32 v[22:23], 2, v[18:19]
	v_lshrrev_b32_e32 v12, 16, v58
	v_mul_f32_e32 v15, v1, v15
	v_add_co_u32 v8, vcc_lo, s16, v8
	v_mul_f32_e32 v19, v1, v6
	v_lshrrev_b32_e32 v6, 16, v60
	s_wait_alu 0xfffd
	v_add_co_ci_u32_e64 v9, null, s17, v9, vcc_lo
	v_add_co_u32 v30, vcc_lo, s16, v22
	s_wait_alu 0xfffd
	v_add_co_ci_u32_e64 v31, null, s17, v23, vcc_lo
	v_dual_mov_b32 v23, v5 :: v_dual_add_nc_u32 v22, 0x100, v4
	v_cvt_f32_f16_e32 v6, v6
	v_cvt_f32_f16_e32 v12, v12
	v_add_nc_u32_e32 v4, 0x180, v4
	v_cvt_f32_f16_e32 v24, v59
	v_lshlrev_b64_e32 v[26:27], 2, v[22:23]
	v_mul_f32_e32 v25, v1, v6
	v_mul_f32_e32 v23, v1, v12
	v_lshrrev_b32_e32 v6, 16, v57
	v_lshrrev_b32_e32 v12, 16, v56
	v_cvt_f32_f16_e32 v14, v55
	v_lshlrev_b64_e32 v[4:5], 2, v[4:5]
	v_cvt_f32_f16_e32 v20, v61
	v_mul_f32_e32 v18, v1, v24
	v_cvt_f32_f16_e32 v24, v60
	v_cvt_f32_f16_e32 v28, v58
	v_add_co_u32 v33, vcc_lo, s16, v26
	v_cvt_f32_f16_e32 v6, v6
	v_cvt_f32_f16_e32 v26, v57
	;; [unrolled: 1-line block ×4, first 2 shown]
	v_mul_f32_e32 v14, v1, v14
	v_mul_f32_e32 v20, v1, v20
	s_wait_alu 0xfffd
	v_add_co_ci_u32_e64 v34, null, s17, v27, vcc_lo
	v_add_co_u32 v4, vcc_lo, s16, v4
	v_mul_f32_e32 v24, v1, v24
	v_mul_f32_e32 v22, v1, v28
	;; [unrolled: 1-line block ×6, first 2 shown]
	s_wait_alu 0xfffd
	v_add_co_ci_u32_e64 v5, null, s17, v5, vcc_lo
	s_clause 0x3
	global_store_b128 v[8:9], v[14:17], off
	global_store_b128 v[30:31], v[18:21], off
	;; [unrolled: 1-line block ×4, first 2 shown]
	s_and_saveexec_b32 s2, s0
	s_cbranch_execz .LBB0_40
; %bb.39:
	v_ashrrev_i32_e32 v1, 31, v0
	v_mov_b32_e32 v9, v2
	s_delay_alu instid0(VALU_DEP_2) | instskip(NEXT) | instid1(VALU_DEP_1)
	v_lshlrev_b64_e32 v[4:5], 3, v[0:1]
	v_add_co_u32 v4, vcc_lo, s18, v4
	s_wait_alu 0xfffd
	s_delay_alu instid0(VALU_DEP_2)
	v_add_co_ci_u32_e64 v5, null, s19, v5, vcc_lo
	global_store_b64 v[4:5], v[9:10], off
.LBB0_40:
	s_wait_alu 0xfffe
	s_or_b32 exec_lo, exec_lo, s2
	v_cmp_ne_u32_e32 vcc_lo, 1, v13
	v_mov_b32_e32 v1, 1.0
	s_cbranch_vccnz .LBB0_42
; %bb.41:
	v_div_scale_f32 v1, null, v7, v7, 1.0
	s_delay_alu instid0(VALU_DEP_1) | instskip(NEXT) | instid1(TRANS32_DEP_1)
	v_rcp_f32_e32 v2, v1
	v_fma_f32 v4, -v1, v2, 1.0
	s_delay_alu instid0(VALU_DEP_1) | instskip(SKIP_1) | instid1(VALU_DEP_1)
	v_fmac_f32_e32 v2, v4, v2
	v_div_scale_f32 v4, vcc_lo, 1.0, v7, 1.0
	v_mul_f32_e32 v5, v4, v2
	s_delay_alu instid0(VALU_DEP_1) | instskip(NEXT) | instid1(VALU_DEP_1)
	v_fma_f32 v6, -v1, v5, v4
	v_fmac_f32_e32 v5, v6, v2
	s_delay_alu instid0(VALU_DEP_1) | instskip(SKIP_1) | instid1(VALU_DEP_1)
	v_fma_f32 v1, -v1, v5, v4
	s_wait_alu 0xfffd
	v_div_fmas_f32 v1, v1, v2, v5
	s_delay_alu instid0(VALU_DEP_1)
	v_div_fixup_f32 v1, v1, v7, 1.0
.LBB0_42:
	v_dual_mov_b32 v9, 0 :: v_dual_add_nc_u32 v0, s1, v0
	v_lshrrev_b32_e32 v2, 16, v54
	v_cvt_f32_f16_e32 v4, v54
	v_cvt_f32_f16_e32 v7, v53
	s_delay_alu instid0(VALU_DEP_4)
	v_lshl_add_u32 v8, v0, 9, v32
	v_lshrrev_b32_e32 v10, 16, v52
	v_cvt_f32_f16_e32 v2, v2
	v_mul_f32_e32 v6, v1, v4
	v_mul_f32_e32 v4, v1, v7
	v_lshlrev_b64_e32 v[12:13], 2, v[8:9]
	v_lshrrev_b32_e32 v5, 16, v53
	v_mul_f32_e32 v7, v1, v2
	v_lshrrev_b32_e32 v2, 16, v50
	v_cvt_f32_f16_e32 v10, v10
	v_cvt_f32_f16_e32 v18, v50
	v_add_co_u32 v24, vcc_lo, s16, v12
	s_wait_alu 0xfffd
	v_add_co_ci_u32_e64 v25, null, s17, v13, vcc_lo
	v_dual_mov_b32 v13, v9 :: v_dual_add_nc_u32 v12, 0x80, v8
	v_cvt_f32_f16_e32 v2, v2
	v_cvt_f32_f16_e32 v5, v5
	v_mul_f32_e32 v15, v1, v10
	v_lshrrev_b32_e32 v10, 16, v49
	v_lshlrev_b64_e32 v[16:17], 2, v[12:13]
	v_mul_f32_e32 v13, v1, v2
	v_lshrrev_b32_e32 v2, 16, v51
	v_mul_f32_e32 v5, v1, v5
	v_cvt_f32_f16_e32 v10, v10
	v_cvt_f32_f16_e32 v14, v52
	v_add_co_u32 v26, vcc_lo, s16, v16
	s_wait_alu 0xfffd
	v_add_co_ci_u32_e64 v27, null, s17, v17, vcc_lo
	v_dual_mov_b32 v17, v9 :: v_dual_add_nc_u32 v16, 0x100, v8
	v_cvt_f32_f16_e32 v2, v2
	v_add_nc_u32_e32 v8, 0x180, v8
	v_mul_f32_e32 v12, v1, v18
	v_cvt_f32_f16_e32 v18, v51
	v_lshlrev_b64_e32 v[20:21], 2, v[16:17]
	v_mul_f32_e32 v19, v1, v2
	v_mul_f32_e32 v17, v1, v10
	v_lshrrev_b32_e32 v2, 16, v47
	v_lshrrev_b32_e32 v10, 16, v48
	v_lshlrev_b64_e32 v[8:9], 2, v[8:9]
	v_cvt_f32_f16_e32 v22, v49
	v_add_co_u32 v28, vcc_lo, s16, v20
	v_cvt_f32_f16_e32 v2, v2
	v_cvt_f32_f16_e32 v20, v47
	;; [unrolled: 1-line block ×4, first 2 shown]
	v_mul_f32_e32 v14, v1, v14
	v_mul_f32_e32 v18, v1, v18
	;; [unrolled: 1-line block ×3, first 2 shown]
	s_wait_alu 0xfffd
	v_add_co_ci_u32_e64 v29, null, s17, v21, vcc_lo
	v_mul_f32_e32 v23, v1, v2
	v_mul_f32_e32 v22, v1, v20
	;; [unrolled: 1-line block ×4, first 2 shown]
	v_add_co_u32 v1, vcc_lo, s16, v8
	s_wait_alu 0xfffd
	v_add_co_ci_u32_e64 v2, null, s17, v9, vcc_lo
	s_clause 0x3
	global_store_b128 v[24:25], v[4:7], off
	global_store_b128 v[26:27], v[12:15], off
	;; [unrolled: 1-line block ×4, first 2 shown]
	s_and_b32 exec_lo, exec_lo, s0
	s_cbranch_execz .LBB0_26
; %bb.43:
	v_ashrrev_i32_e32 v1, 31, v0
	v_mov_b32_e32 v10, v3
	s_delay_alu instid0(VALU_DEP_2) | instskip(NEXT) | instid1(VALU_DEP_1)
	v_lshlrev_b64_e32 v[0:1], 3, v[0:1]
	v_add_co_u32 v0, vcc_lo, s18, v0
	s_wait_alu 0xfffd
	s_delay_alu instid0(VALU_DEP_2)
	v_add_co_ci_u32_e64 v1, null, s19, v1, vcc_lo
	global_store_b64 v[0:1], v[10:11], off
	s_nop 0
	s_sendmsg sendmsg(MSG_DEALLOC_VGPRS)
	s_endpgm
	.section	.rodata,"a",@progbits
	.p2align	6, 0x0
	.amdhsa_kernel _ZL15flash_attn_tileILi576ELi512ELi2ELi16ELb0EEvPKcS1_S1_S1_S1_PKiPfP15HIP_vector_typeIfLj2EEffffjfiS5_IjLj3EEiiiiiiiiiiiliiliiiiil
		.amdhsa_group_segment_fixed_size 63488
		.amdhsa_private_segment_fixed_size 0
		.amdhsa_kernarg_size 464
		.amdhsa_user_sgpr_count 2
		.amdhsa_user_sgpr_dispatch_ptr 0
		.amdhsa_user_sgpr_queue_ptr 0
		.amdhsa_user_sgpr_kernarg_segment_ptr 1
		.amdhsa_user_sgpr_dispatch_id 0
		.amdhsa_user_sgpr_private_segment_size 0
		.amdhsa_wavefront_size32 1
		.amdhsa_uses_dynamic_stack 0
		.amdhsa_enable_private_segment 0
		.amdhsa_system_sgpr_workgroup_id_x 1
		.amdhsa_system_sgpr_workgroup_id_y 1
		.amdhsa_system_sgpr_workgroup_id_z 1
		.amdhsa_system_sgpr_workgroup_info 0
		.amdhsa_system_vgpr_workitem_id 1
		.amdhsa_next_free_vgpr 241
		.amdhsa_next_free_sgpr 43
		.amdhsa_reserve_vcc 1
		.amdhsa_float_round_mode_32 0
		.amdhsa_float_round_mode_16_64 0
		.amdhsa_float_denorm_mode_32 3
		.amdhsa_float_denorm_mode_16_64 3
		.amdhsa_fp16_overflow 0
		.amdhsa_workgroup_processor_mode 1
		.amdhsa_memory_ordered 1
		.amdhsa_forward_progress 1
		.amdhsa_inst_pref_size 255
		.amdhsa_round_robin_scheduling 0
		.amdhsa_exception_fp_ieee_invalid_op 0
		.amdhsa_exception_fp_denorm_src 0
		.amdhsa_exception_fp_ieee_div_zero 0
		.amdhsa_exception_fp_ieee_overflow 0
		.amdhsa_exception_fp_ieee_underflow 0
		.amdhsa_exception_fp_ieee_inexact 0
		.amdhsa_exception_int_div_zero 0
	.end_amdhsa_kernel
	.section	.text._ZL15flash_attn_tileILi576ELi512ELi2ELi16ELb0EEvPKcS1_S1_S1_S1_PKiPfP15HIP_vector_typeIfLj2EEffffjfiS5_IjLj3EEiiiiiiiiiiiliiliiiiil,"axG",@progbits,_ZL15flash_attn_tileILi576ELi512ELi2ELi16ELb0EEvPKcS1_S1_S1_S1_PKiPfP15HIP_vector_typeIfLj2EEffffjfiS5_IjLj3EEiiiiiiiiiiiliiliiiiil,comdat
.Lfunc_end0:
	.size	_ZL15flash_attn_tileILi576ELi512ELi2ELi16ELb0EEvPKcS1_S1_S1_S1_PKiPfP15HIP_vector_typeIfLj2EEffffjfiS5_IjLj3EEiiiiiiiiiiiliiliiiiil, .Lfunc_end0-_ZL15flash_attn_tileILi576ELi512ELi2ELi16ELb0EEvPKcS1_S1_S1_S1_PKiPfP15HIP_vector_typeIfLj2EEffffjfiS5_IjLj3EEiiiiiiiiiiiliiliiiiil
                                        ; -- End function
	.set _ZL15flash_attn_tileILi576ELi512ELi2ELi16ELb0EEvPKcS1_S1_S1_S1_PKiPfP15HIP_vector_typeIfLj2EEffffjfiS5_IjLj3EEiiiiiiiiiiiliiliiiiil.num_vgpr, 191
	.set _ZL15flash_attn_tileILi576ELi512ELi2ELi16ELb0EEvPKcS1_S1_S1_S1_PKiPfP15HIP_vector_typeIfLj2EEffffjfiS5_IjLj3EEiiiiiiiiiiiliiliiiiil.num_agpr, 0
	.set _ZL15flash_attn_tileILi576ELi512ELi2ELi16ELb0EEvPKcS1_S1_S1_S1_PKiPfP15HIP_vector_typeIfLj2EEffffjfiS5_IjLj3EEiiiiiiiiiiiliiliiiiil.numbered_sgpr, 43
	.set _ZL15flash_attn_tileILi576ELi512ELi2ELi16ELb0EEvPKcS1_S1_S1_S1_PKiPfP15HIP_vector_typeIfLj2EEffffjfiS5_IjLj3EEiiiiiiiiiiiliiliiiiil.num_named_barrier, 0
	.set _ZL15flash_attn_tileILi576ELi512ELi2ELi16ELb0EEvPKcS1_S1_S1_S1_PKiPfP15HIP_vector_typeIfLj2EEffffjfiS5_IjLj3EEiiiiiiiiiiiliiliiiiil.private_seg_size, 0
	.set _ZL15flash_attn_tileILi576ELi512ELi2ELi16ELb0EEvPKcS1_S1_S1_S1_PKiPfP15HIP_vector_typeIfLj2EEffffjfiS5_IjLj3EEiiiiiiiiiiiliiliiiiil.uses_vcc, 1
	.set _ZL15flash_attn_tileILi576ELi512ELi2ELi16ELb0EEvPKcS1_S1_S1_S1_PKiPfP15HIP_vector_typeIfLj2EEffffjfiS5_IjLj3EEiiiiiiiiiiiliiliiiiil.uses_flat_scratch, 0
	.set _ZL15flash_attn_tileILi576ELi512ELi2ELi16ELb0EEvPKcS1_S1_S1_S1_PKiPfP15HIP_vector_typeIfLj2EEffffjfiS5_IjLj3EEiiiiiiiiiiiliiliiiiil.has_dyn_sized_stack, 0
	.set _ZL15flash_attn_tileILi576ELi512ELi2ELi16ELb0EEvPKcS1_S1_S1_S1_PKiPfP15HIP_vector_typeIfLj2EEffffjfiS5_IjLj3EEiiiiiiiiiiiliiliiiiil.has_recursion, 0
	.set _ZL15flash_attn_tileILi576ELi512ELi2ELi16ELb0EEvPKcS1_S1_S1_S1_PKiPfP15HIP_vector_typeIfLj2EEffffjfiS5_IjLj3EEiiiiiiiiiiiliiliiiiil.has_indirect_call, 0
	.section	.AMDGPU.csdata,"",@progbits
; Kernel info:
; codeLenInByte = 60464
; TotalNumSgprs: 45
; NumVgprs: 191
; ScratchSize: 0
; MemoryBound: 0
; FloatMode: 240
; IeeeMode: 1
; LDSByteSize: 63488 bytes/workgroup (compile time only)
; SGPRBlocks: 0
; VGPRBlocks: 30
; NumSGPRsForWavesPerEU: 45
; NumVGPRsForWavesPerEU: 241
; Occupancy: 4
; WaveLimiterHint : 1
; COMPUTE_PGM_RSRC2:SCRATCH_EN: 0
; COMPUTE_PGM_RSRC2:USER_SGPR: 2
; COMPUTE_PGM_RSRC2:TRAP_HANDLER: 0
; COMPUTE_PGM_RSRC2:TGID_X_EN: 1
; COMPUTE_PGM_RSRC2:TGID_Y_EN: 1
; COMPUTE_PGM_RSRC2:TGID_Z_EN: 1
; COMPUTE_PGM_RSRC2:TIDIG_COMP_CNT: 1
	.section	.text._ZL25flash_attn_mask_to_KV_maxILi2EEvPK7__half2Piiii,"axG",@progbits,_ZL25flash_attn_mask_to_KV_maxILi2EEvPK7__half2Piiii,comdat
	.globl	_ZL25flash_attn_mask_to_KV_maxILi2EEvPK7__half2Piiii ; -- Begin function _ZL25flash_attn_mask_to_KV_maxILi2EEvPK7__half2Piiii
	.p2align	8
	.type	_ZL25flash_attn_mask_to_KV_maxILi2EEvPK7__half2Piiii,@function
_ZL25flash_attn_mask_to_KV_maxILi2EEvPK7__half2Piiii: ; @_ZL25flash_attn_mask_to_KV_maxILi2EEvPK7__half2Piiii
; %bb.0:
	s_load_b64 s[8:9], s[0:1], 0x0
	s_mov_b32 s2, exec_lo
	v_cmpx_gt_u32_e32 32, v0
; %bb.1:
	v_dual_mov_b32 v2, 1 :: v_dual_lshlrev_b32 v1, 2, v0
	ds_store_b32 v1, v2
; %bb.2:
	s_or_b32 exec_lo, exec_lo, s2
	s_clause 0x2
	s_load_b96 s[4:6], s[0:1], 0x10
	s_load_b64 s[2:3], s[0:1], 0x8
	s_load_b32 s1, s[0:1], 0x20
	v_dual_mov_b32 v2, 0 :: v_dual_and_b32 v1, 31, v0
	v_lshrrev_b32_e32 v3, 3, v0
	s_wait_dscnt 0x0
	s_barrier_signal -1
	s_delay_alu instid0(VALU_DEP_2)
	v_lshlrev_b32_e32 v4, 2, v1
	s_barrier_wait -1
	global_inv scope:SCOPE_SE
	s_wait_kmcnt 0x0
	s_mul_i32 s0, ttmp9, s5
	s_mul_i32 s6, s6, ttmp7
	s_lshl_b32 s0, s0, 1
	s_delay_alu instid0(SALU_CYCLE_1) | instskip(SKIP_2) | instid1(SALU_CYCLE_1)
	s_add_co_i32 s6, s6, s0
	v_cmp_eq_u32_e64 s0, 0, v1
	s_ashr_i32 s7, s6, 31
	s_lshl_b64 s[6:7], s[6:7], 2
	s_delay_alu instid0(SALU_CYCLE_1)
	s_add_nc_u64 s[6:7], s[8:9], s[6:7]
	s_lshl_b32 s8, s4, 8
	s_branch .LBB1_4
.LBB1_3:                                ;   in Loop: Header=BB1_4 Depth=1
	s_wait_alu 0xfffe
	s_or_b32 exec_lo, exec_lo, s9
	s_wait_dscnt 0x0
	s_barrier_signal -1
	s_barrier_wait -1
	global_inv scope:SCOPE_SE
	ds_load_b32 v1, v4
	s_wait_loadcnt_dscnt 0x0
	s_barrier_signal -1
	s_barrier_wait -1
	global_inv scope:SCOPE_SE
	v_cmp_ne_u32_e32 vcc_lo, 0, v1
	s_cmp_lg_u32 vcc_lo, exec_lo
	s_cselect_b32 s9, -1, 0
	s_wait_alu 0xfffe
	s_and_b32 vcc_lo, exec_lo, s9
	s_wait_alu 0xfffe
	s_cbranch_vccnz .LBB1_12
.LBB1_4:                                ; =>This Inner Loop Header: Depth=1
	s_mov_b32 s4, s8
	s_addk_co_i32 s8, 0xff00
	s_wait_alu 0xfffe
	s_cmp_lt_i32 s8, 0
	s_cbranch_scc1 .LBB1_11
; %bb.5:                                ;   in Loop: Header=BB1_4 Depth=1
	s_lshr_b32 s9, s8, 1
	s_wait_alu 0xfffe
	v_add_nc_u32_e32 v1, s9, v0
	s_delay_alu instid0(VALU_DEP_1) | instskip(NEXT) | instid1(VALU_DEP_1)
	v_lshlrev_b64_e32 v[5:6], 2, v[1:2]
	v_add_co_u32 v5, vcc_lo, s6, v5
	s_wait_alu 0xfffd
	s_delay_alu instid0(VALU_DEP_2) | instskip(SKIP_4) | instid1(VALU_DEP_2)
	v_add_co_ci_u32_e64 v6, null, s7, v6, vcc_lo
	global_load_b32 v5, v[5:6], off
	s_wait_loadcnt 0x0
	v_lshrrev_b32_e32 v6, 16, v5
	v_cmp_class_f16_e64 s9, v5, 0x204
	v_cmp_class_f16_e64 s10, v6, 0x204
	s_and_b32 s11, s9, s10
	s_mov_b32 s10, 0
	s_wait_alu 0xfffe
	s_and_saveexec_b32 s9, s11
	s_cbranch_execz .LBB1_9
; %bb.6:                                ;   in Loop: Header=BB1_4 Depth=1
	v_add_nc_u32_e32 v5, s5, v1
	s_delay_alu instid0(VALU_DEP_1) | instskip(NEXT) | instid1(VALU_DEP_1)
	v_ashrrev_i32_e32 v6, 31, v5
	v_lshlrev_b64_e32 v[5:6], 2, v[5:6]
	s_delay_alu instid0(VALU_DEP_1) | instskip(SKIP_1) | instid1(VALU_DEP_2)
	v_add_co_u32 v5, vcc_lo, s6, v5
	s_wait_alu 0xfffd
	v_add_co_ci_u32_e64 v6, null, s7, v6, vcc_lo
	global_load_b32 v1, v[5:6], off
	s_wait_loadcnt 0x0
	v_cmp_class_f16_e64 s12, v1, 0x204
	s_and_saveexec_b32 s11, s12
; %bb.7:                                ;   in Loop: Header=BB1_4 Depth=1
	v_lshrrev_b32_e32 v1, 16, v1
	s_delay_alu instid0(VALU_DEP_1)
	v_cmp_class_f16_e64 s10, v1, 0x204
	s_and_b32 s10, s10, exec_lo
; %bb.8:                                ;   in Loop: Header=BB1_4 Depth=1
	s_wait_alu 0xfffe
	s_or_b32 exec_lo, exec_lo, s11
	s_delay_alu instid0(SALU_CYCLE_1)
	s_and_b32 s10, s10, exec_lo
.LBB1_9:                                ;   in Loop: Header=BB1_4 Depth=1
	s_wait_alu 0xfffe
	s_or_b32 exec_lo, exec_lo, s9
	v_cndmask_b32_e64 v1, 0, 1, s10
	s_mov_b32 s11, exec_lo
	s_delay_alu instid0(VALU_DEP_1)
	v_cmp_ne_u32_e32 vcc_lo, 0, v1
	s_and_saveexec_b32 s9, s0
	s_cbranch_execz .LBB1_3
; %bb.10:                               ;   in Loop: Header=BB1_4 Depth=1
	s_wait_alu 0xfffe
	s_cmp_eq_u32 vcc_lo, s11
	s_cselect_b32 s10, -1, 0
	s_wait_alu 0xfffe
	v_cndmask_b32_e64 v1, 0, 1, s10
	ds_store_b32 v3, v1
	s_branch .LBB1_3
.LBB1_11:                               ;   in Loop: Header=BB1_4 Depth=1
	s_cbranch_execz .LBB1_4
.LBB1_12:
	s_mov_b32 s0, exec_lo
	v_cmpx_eq_u32_e32 0, v0
	s_cbranch_execz .LBB1_14
; %bb.13:
	s_mul_i32 s0, s1, ttmp7
	v_dual_mov_b32 v0, 0 :: v_dual_mov_b32 v1, s4
	s_add_co_i32 s0, s0, ttmp9
	s_delay_alu instid0(SALU_CYCLE_1) | instskip(NEXT) | instid1(SALU_CYCLE_1)
	s_ashr_i32 s1, s0, 31
	s_lshl_b64 s[0:1], s[0:1], 2
	s_delay_alu instid0(SALU_CYCLE_1)
	s_add_nc_u64 s[0:1], s[2:3], s[0:1]
	global_store_b32 v0, v1, s[0:1]
.LBB1_14:
	s_endpgm
	.section	.rodata,"a",@progbits
	.p2align	6, 0x0
	.amdhsa_kernel _ZL25flash_attn_mask_to_KV_maxILi2EEvPK7__half2Piiii
		.amdhsa_group_segment_fixed_size 128
		.amdhsa_private_segment_fixed_size 0
		.amdhsa_kernarg_size 288
		.amdhsa_user_sgpr_count 2
		.amdhsa_user_sgpr_dispatch_ptr 0
		.amdhsa_user_sgpr_queue_ptr 0
		.amdhsa_user_sgpr_kernarg_segment_ptr 1
		.amdhsa_user_sgpr_dispatch_id 0
		.amdhsa_user_sgpr_private_segment_size 0
		.amdhsa_wavefront_size32 1
		.amdhsa_uses_dynamic_stack 0
		.amdhsa_enable_private_segment 0
		.amdhsa_system_sgpr_workgroup_id_x 1
		.amdhsa_system_sgpr_workgroup_id_y 1
		.amdhsa_system_sgpr_workgroup_id_z 0
		.amdhsa_system_sgpr_workgroup_info 0
		.amdhsa_system_vgpr_workitem_id 0
		.amdhsa_next_free_vgpr 7
		.amdhsa_next_free_sgpr 13
		.amdhsa_reserve_vcc 1
		.amdhsa_float_round_mode_32 0
		.amdhsa_float_round_mode_16_64 0
		.amdhsa_float_denorm_mode_32 3
		.amdhsa_float_denorm_mode_16_64 3
		.amdhsa_fp16_overflow 0
		.amdhsa_workgroup_processor_mode 1
		.amdhsa_memory_ordered 1
		.amdhsa_forward_progress 1
		.amdhsa_inst_pref_size 5
		.amdhsa_round_robin_scheduling 0
		.amdhsa_exception_fp_ieee_invalid_op 0
		.amdhsa_exception_fp_denorm_src 0
		.amdhsa_exception_fp_ieee_div_zero 0
		.amdhsa_exception_fp_ieee_overflow 0
		.amdhsa_exception_fp_ieee_underflow 0
		.amdhsa_exception_fp_ieee_inexact 0
		.amdhsa_exception_int_div_zero 0
	.end_amdhsa_kernel
	.section	.text._ZL25flash_attn_mask_to_KV_maxILi2EEvPK7__half2Piiii,"axG",@progbits,_ZL25flash_attn_mask_to_KV_maxILi2EEvPK7__half2Piiii,comdat
.Lfunc_end1:
	.size	_ZL25flash_attn_mask_to_KV_maxILi2EEvPK7__half2Piiii, .Lfunc_end1-_ZL25flash_attn_mask_to_KV_maxILi2EEvPK7__half2Piiii
                                        ; -- End function
	.set _ZL25flash_attn_mask_to_KV_maxILi2EEvPK7__half2Piiii.num_vgpr, 7
	.set _ZL25flash_attn_mask_to_KV_maxILi2EEvPK7__half2Piiii.num_agpr, 0
	.set _ZL25flash_attn_mask_to_KV_maxILi2EEvPK7__half2Piiii.numbered_sgpr, 13
	.set _ZL25flash_attn_mask_to_KV_maxILi2EEvPK7__half2Piiii.num_named_barrier, 0
	.set _ZL25flash_attn_mask_to_KV_maxILi2EEvPK7__half2Piiii.private_seg_size, 0
	.set _ZL25flash_attn_mask_to_KV_maxILi2EEvPK7__half2Piiii.uses_vcc, 1
	.set _ZL25flash_attn_mask_to_KV_maxILi2EEvPK7__half2Piiii.uses_flat_scratch, 0
	.set _ZL25flash_attn_mask_to_KV_maxILi2EEvPK7__half2Piiii.has_dyn_sized_stack, 0
	.set _ZL25flash_attn_mask_to_KV_maxILi2EEvPK7__half2Piiii.has_recursion, 0
	.set _ZL25flash_attn_mask_to_KV_maxILi2EEvPK7__half2Piiii.has_indirect_call, 0
	.section	.AMDGPU.csdata,"",@progbits
; Kernel info:
; codeLenInByte = 636
; TotalNumSgprs: 15
; NumVgprs: 7
; ScratchSize: 0
; MemoryBound: 0
; FloatMode: 240
; IeeeMode: 1
; LDSByteSize: 128 bytes/workgroup (compile time only)
; SGPRBlocks: 0
; VGPRBlocks: 0
; NumSGPRsForWavesPerEU: 15
; NumVGPRsForWavesPerEU: 7
; Occupancy: 16
; WaveLimiterHint : 0
; COMPUTE_PGM_RSRC2:SCRATCH_EN: 0
; COMPUTE_PGM_RSRC2:USER_SGPR: 2
; COMPUTE_PGM_RSRC2:TRAP_HANDLER: 0
; COMPUTE_PGM_RSRC2:TGID_X_EN: 1
; COMPUTE_PGM_RSRC2:TGID_Y_EN: 1
; COMPUTE_PGM_RSRC2:TGID_Z_EN: 0
; COMPUTE_PGM_RSRC2:TIDIG_COMP_CNT: 0
	.section	.text._ZL33flash_attn_stream_k_fixup_uniformILi512ELi2ELi16EEvPfPK15HIP_vector_typeIfLj2EEiiiiiiS1_IjLj3EES5_S5_,"axG",@progbits,_ZL33flash_attn_stream_k_fixup_uniformILi512ELi2ELi16EEvPfPK15HIP_vector_typeIfLj2EEiiiiiiS1_IjLj3EES5_S5_,comdat
	.globl	_ZL33flash_attn_stream_k_fixup_uniformILi512ELi2ELi16EEvPfPK15HIP_vector_typeIfLj2EEiiiiiiS1_IjLj3EES5_S5_ ; -- Begin function _ZL33flash_attn_stream_k_fixup_uniformILi512ELi2ELi16EEvPfPK15HIP_vector_typeIfLj2EEiiiiiiS1_IjLj3EES5_S5_
	.p2align	8
	.type	_ZL33flash_attn_stream_k_fixup_uniformILi512ELi2ELi16EEvPfPK15HIP_vector_typeIfLj2EEiiiiiiS1_IjLj3EES5_S5_,@function
_ZL33flash_attn_stream_k_fixup_uniformILi512ELi2ELi16EEvPfPK15HIP_vector_typeIfLj2EEiiiiiiS1_IjLj3EES5_S5_: ; @_ZL33flash_attn_stream_k_fixup_uniformILi512ELi2ELi16EEvPfPK15HIP_vector_typeIfLj2EEiiiiiiS1_IjLj3EES5_S5_
; %bb.0:
	s_clause 0x1
	s_load_b256 s[4:11], s[0:1], 0x1c
	s_load_b128 s[12:15], s[0:1], 0x3c
	s_wait_kmcnt 0x0
	s_mul_hi_u32 s2, s7, ttmp9
	s_delay_alu instid0(SALU_CYCLE_1) | instskip(NEXT) | instid1(SALU_CYCLE_1)
	s_add_co_i32 s2, ttmp9, s2
	s_lshr_b32 s2, s2, s8
	s_delay_alu instid0(SALU_CYCLE_1) | instskip(SKIP_2) | instid1(SALU_CYCLE_1)
	s_mul_i32 s3, s2, s9
	s_load_b64 s[8:9], s[0:1], 0x10
	s_sub_co_i32 s7, ttmp9, s3
	s_mul_hi_u32 s3, s7, s10
	s_delay_alu instid0(SALU_CYCLE_1) | instskip(NEXT) | instid1(SALU_CYCLE_1)
	s_add_co_i32 s3, s7, s3
	s_lshr_b32 s3, s3, s11
	s_delay_alu instid0(SALU_CYCLE_1) | instskip(NEXT) | instid1(SALU_CYCLE_1)
	s_mul_i32 s10, s3, s12
	s_sub_co_i32 s7, s7, s10
	s_delay_alu instid0(SALU_CYCLE_1) | instskip(NEXT) | instid1(SALU_CYCLE_1)
	s_mul_hi_u32 s10, s7, s13
	s_add_co_i32 s10, s7, s10
	s_delay_alu instid0(SALU_CYCLE_1) | instskip(NEXT) | instid1(SALU_CYCLE_1)
	s_lshr_b32 s12, s10, s14
	s_mul_i32 s10, s12, s15
	s_lshl_b32 s12, s12, 4
	s_sub_co_i32 s11, s7, s10
	s_and_b32 s7, ttmp7, 0xffff
	s_lshl_b32 s13, s11, 1
	s_lshr_b32 s10, ttmp7, 16
	s_add_co_i32 s13, s13, s7
	s_wait_kmcnt 0x0
	s_cmp_lt_i32 s13, s8
	s_cselect_b32 s13, -1, 0
	s_add_co_i32 s14, s12, s10
	s_delay_alu instid0(SALU_CYCLE_1) | instskip(SKIP_1) | instid1(SALU_CYCLE_1)
	s_cmp_lt_i32 s14, s5
	s_cselect_b32 s14, -1, 0
	s_and_b32 s13, s13, s14
	s_delay_alu instid0(SALU_CYCLE_1)
	s_and_not1_b32 vcc_lo, exec_lo, s13
	s_cbranch_vccnz .LBB2_6
; %bb.1:
	s_mul_i32 s2, s2, s8
	s_mul_i32 s5, s3, s5
	s_add_co_i32 s2, s2, s7
	s_delay_alu instid0(SALU_CYCLE_1) | instskip(NEXT) | instid1(SALU_CYCLE_1)
	s_mul_i32 s2, s2, s9
	s_add_co_i32 s8, s2, s10
	s_load_b128 s[0:3], s[0:1], 0x0
	s_add_co_i32 s5, s8, s5
	s_mul_i32 s8, s9, s11
	s_add_co_i32 s5, s5, s12
	s_lshl_b32 s8, s8, 10
	s_lshl_b32 s5, s5, 9
	s_delay_alu instid0(SALU_CYCLE_1)
	s_add_co_i32 s8, s8, s5
	s_lshl_b32 s5, s7, 4
	v_or_b32_e32 v1, s8, v0
	s_mul_i32 s8, s6, ttmp9
	s_wait_alu 0xfffe
	s_add_co_i32 s9, s8, s6
	s_wait_alu 0xfffe
	s_add_co_i32 s12, s9, -2
	v_ashrrev_i32_e32 v2, 31, v1
	s_delay_alu instid0(VALU_DEP_1) | instskip(SKIP_1) | instid1(VALU_DEP_1)
	v_lshlrev_b64_e32 v[1:2], 2, v[1:2]
	s_wait_kmcnt 0x0
	v_add_co_u32 v1, vcc_lo, s0, v1
	s_delay_alu instid0(VALU_DEP_1)
	v_add_co_ci_u32_e64 v2, null, s1, v2, vcc_lo
	s_add_co_i32 s0, s5, s10
	s_lshl_b32 s1, s9, 5
	global_load_b32 v5, v[1:2], off
	s_wait_alu 0xfffe
	s_add_co_i32 s0, s0, s1
	s_wait_alu 0xfffe
	s_sub_co_i32 s0, s0, 32
	s_wait_alu 0xfffe
	s_ashr_i32 s1, s0, 31
	s_wait_alu 0xfffe
	s_lshl_b64 s[0:1], s[0:1], 3
	s_cmp_lt_i32 s12, s8
	s_wait_alu 0xfffe
	s_add_nc_u64 s[0:1], s[2:3], s[0:1]
	s_load_b32 s11, s[0:1], 0x4
	s_cbranch_scc1 .LBB2_4
; %bb.2:
	s_load_b32 s0, s[0:1], 0x0
	s_add_co_i32 s13, ttmp9, 1
	s_lshl_b32 s12, s4, 7
	s_mul_i32 s1, s6, s13
	s_lshl_b32 s6, s7, 13
	s_lshl_b32 s7, s10, 9
	s_wait_alu 0xfffe
	s_lshl_b32 s14, s1, 14
	s_add_co_i32 s6, s7, s6
	s_lshl_b32 s1, s1, 5
	s_add_co_i32 s14, s6, s14
	s_wait_alu 0xfffe
	s_add_co_i32 s1, s10, s1
	v_or_b32_e32 v0, s14, v0
	s_lshl_b32 s4, s4, 5
	s_ashr_i32 s13, s12, 31
	s_wait_alu 0xfffe
	s_add_co_i32 s1, s1, s4
	s_wait_kmcnt 0x0
	v_dual_mov_b32 v6, s11 :: v_dual_add_nc_u32 v3, 0xffff8000, v0
	s_lshl_b64 s[6:7], s[12:13], 2
	s_wait_alu 0xfffe
	s_add_co_i32 s4, s1, s5
	s_add_nc_u64 s[6:7], s[2:3], s[6:7]
	s_add_co_i32 s1, s9, -1
	s_sub_co_i32 s4, s4, 64
.LBB2_3:                                ; =>This Inner Loop Header: Depth=1
	v_ashrrev_i32_e32 v4, 31, v3
	s_ashr_i32 s5, s4, 31
	v_mov_b32_e32 v10, v6
	s_lshl_b64 s[10:11], s[4:5], 3
	s_wait_loadcnt 0x0
	v_mov_b32_e32 v9, v5
	v_lshlrev_b64_e32 v[7:8], 2, v[3:4]
	s_wait_alu 0xfffe
	s_add_nc_u64 s[10:11], s[2:3], s[10:11]
	v_max_num_f32_e64 v4, s0, s0
	s_load_b64 s[10:11], s[10:11], 0x0
	v_add_nc_u32_e32 v3, 0xffffc000, v3
	v_add_co_u32 v7, vcc_lo, s6, v7
	s_wait_alu 0xfffd
	v_add_co_ci_u32_e64 v8, null, s7, v8, vcc_lo
	v_readfirstlane_b32 s5, v4
	global_load_b32 v0, v[7:8], off
	s_wait_kmcnt 0x0
	v_max_num_f32_e64 v4, s10, s10
	s_delay_alu instid0(VALU_DEP_1) | instskip(SKIP_1) | instid1(SALU_CYCLE_3)
	v_readfirstlane_b32 s9, v4
	s_max_num_f32 s5, s5, s9
	s_sub_f32 s0, s0, s5
	s_sub_f32 s9, s10, s5
	s_wait_alu 0xfffe
	s_delay_alu instid0(SALU_CYCLE_1) | instskip(NEXT) | instid1(SALU_CYCLE_1)
	s_mul_f32 s10, s0, 0x3fb8aa3b
	s_mul_f32 s12, s9, 0x3fb8aa3b
	s_wait_alu 0xfffe
	s_delay_alu instid0(SALU_CYCLE_1)
	s_xor_b32 s13, s10, 0x80000000
	s_rndne_f32 s14, s10
	s_fmamk_f32 s13, s0, 0x3fb8aa3b, s13
	s_cmp_nlt_f32 s0, 0xc2ce8ed0
	s_rndne_f32 s15, s12
	s_wait_alu 0xfffe
	s_sub_f32 s10, s10, s14
	s_fmamk_f32 s13, s0, 0x32a5705f, s13
	s_cvt_i32_f32 s14, s14
	s_cselect_b32 vcc_lo, -1, 0
	s_cmp_ngt_f32 s0, 0x42b17218
	s_wait_alu 0xfffe
	s_add_f32 s10, s10, s13
	s_sub_f32 s13, s12, s15
	s_wait_alu 0xfffe
	s_delay_alu instid0(SALU_CYCLE_1) | instskip(SKIP_1) | instid1(TRANS32_DEP_1)
	v_s_exp_f32 s10, s10
	s_wait_alu 0xf1ff
	v_ldexp_f32 v4, s10, s14
	s_cvt_i32_f32 s10, s15
	s_delay_alu instid0(VALU_DEP_1) | instskip(SKIP_3) | instid1(VALU_DEP_1)
	v_cndmask_b32_e32 v4, 0, v4, vcc_lo
	s_cselect_b32 vcc_lo, -1, 0
	s_cmp_ge_f32 s0, 0xc1a00000
	s_wait_alu 0xfffe
	v_cndmask_b32_e32 v4, 0x7f800000, v4, vcc_lo
	s_cselect_b32 vcc_lo, -1, 0
	s_xor_b32 s0, s12, 0x80000000
	s_cmp_nlt_f32 s9, 0xc2ce8ed0
	s_wait_alu 0xfffe
	s_fmamk_f32 s0, s9, 0x3fb8aa3b, s0
	s_wait_alu 0xfffe
	s_delay_alu instid0(SALU_CYCLE_2) | instskip(SKIP_1) | instid1(SALU_CYCLE_2)
	s_fmamk_f32 s0, s9, 0x32a5705f, s0
	s_wait_alu 0xfffe
	s_add_f32 s0, s13, s0
	s_wait_alu 0xfffe
	s_delay_alu instid0(SALU_CYCLE_2) | instskip(SKIP_1) | instid1(TRANS32_DEP_1)
	v_s_exp_f32 s0, s0
	s_wait_alu 0xf1ff
	v_ldexp_f32 v7, s0, s10
	s_cselect_b32 s0, -1, 0
	s_cmp_ngt_f32 s9, 0x42b17218
	s_wait_alu 0xfffe
	s_delay_alu instid0(VALU_DEP_1) | instskip(SKIP_3) | instid1(VALU_DEP_1)
	v_cndmask_b32_e64 v7, 0, v7, s0
	s_cselect_b32 s0, -1, 0
	s_cmp_ge_f32 s9, 0xc1a00000
	s_wait_alu 0xfffe
	v_cndmask_b32_e64 v7, 0x7f800000, v7, s0
	s_cselect_b32 s0, -1, 0
	s_add_co_i32 s1, s1, -1
	s_sub_co_i32 s4, s4, 32
	s_wait_alu 0xfffe
	s_cmp_le_i32 s1, s8
	v_cndmask_b32_e64 v7, 0, v7, s0
	s_mov_b32 s0, s5
	s_wait_loadcnt 0x0
	s_delay_alu instid0(VALU_DEP_1) | instskip(NEXT) | instid1(VALU_DEP_1)
	v_dual_mul_f32 v5, v0, v7 :: v_dual_cndmask_b32 v4, 0, v4
	v_dual_mul_f32 v8, s11, v7 :: v_dual_fmac_f32 v5, v9, v4
	s_delay_alu instid0(VALU_DEP_1) | instskip(NEXT) | instid1(VALU_DEP_1)
	v_mov_b32_e32 v6, v8
	v_fmac_f32_e32 v6, v10, v4
	s_cbranch_scc0 .LBB2_3
	s_branch .LBB2_5
.LBB2_4:
	s_wait_kmcnt 0x0
	v_mov_b32_e32 v6, s11
.LBB2_5:
	s_wait_loadcnt 0x0
	s_delay_alu instid0(VALU_DEP_1) | instskip(NEXT) | instid1(VALU_DEP_1)
	v_div_scale_f32 v0, null, v6, v6, v5
	v_rcp_f32_e32 v3, v0
	s_delay_alu instid0(TRANS32_DEP_1) | instskip(NEXT) | instid1(VALU_DEP_1)
	v_fma_f32 v4, -v0, v3, 1.0
	v_fmac_f32_e32 v3, v4, v3
	v_div_scale_f32 v4, vcc_lo, v5, v6, v5
	s_delay_alu instid0(VALU_DEP_1) | instskip(NEXT) | instid1(VALU_DEP_1)
	v_mul_f32_e32 v7, v4, v3
	v_fma_f32 v8, -v0, v7, v4
	s_delay_alu instid0(VALU_DEP_1) | instskip(NEXT) | instid1(VALU_DEP_1)
	v_fmac_f32_e32 v7, v8, v3
	v_fma_f32 v0, -v0, v7, v4
	s_wait_alu 0xfffd
	s_delay_alu instid0(VALU_DEP_1) | instskip(NEXT) | instid1(VALU_DEP_1)
	v_div_fmas_f32 v0, v0, v3, v7
	v_div_fixup_f32 v0, v0, v6, v5
	global_store_b32 v[1:2], v0, off
.LBB2_6:
	s_endpgm
	.section	.rodata,"a",@progbits
	.p2align	6, 0x0
	.amdhsa_kernel _ZL33flash_attn_stream_k_fixup_uniformILi512ELi2ELi16EEvPfPK15HIP_vector_typeIfLj2EEiiiiiiS1_IjLj3EES5_S5_
		.amdhsa_group_segment_fixed_size 0
		.amdhsa_private_segment_fixed_size 0
		.amdhsa_kernarg_size 76
		.amdhsa_user_sgpr_count 2
		.amdhsa_user_sgpr_dispatch_ptr 0
		.amdhsa_user_sgpr_queue_ptr 0
		.amdhsa_user_sgpr_kernarg_segment_ptr 1
		.amdhsa_user_sgpr_dispatch_id 0
		.amdhsa_user_sgpr_private_segment_size 0
		.amdhsa_wavefront_size32 1
		.amdhsa_uses_dynamic_stack 0
		.amdhsa_enable_private_segment 0
		.amdhsa_system_sgpr_workgroup_id_x 1
		.amdhsa_system_sgpr_workgroup_id_y 1
		.amdhsa_system_sgpr_workgroup_id_z 1
		.amdhsa_system_sgpr_workgroup_info 0
		.amdhsa_system_vgpr_workitem_id 0
		.amdhsa_next_free_vgpr 11
		.amdhsa_next_free_sgpr 16
		.amdhsa_reserve_vcc 1
		.amdhsa_float_round_mode_32 0
		.amdhsa_float_round_mode_16_64 0
		.amdhsa_float_denorm_mode_32 3
		.amdhsa_float_denorm_mode_16_64 3
		.amdhsa_fp16_overflow 0
		.amdhsa_workgroup_processor_mode 1
		.amdhsa_memory_ordered 1
		.amdhsa_forward_progress 1
		.amdhsa_inst_pref_size 9
		.amdhsa_round_robin_scheduling 0
		.amdhsa_exception_fp_ieee_invalid_op 0
		.amdhsa_exception_fp_denorm_src 0
		.amdhsa_exception_fp_ieee_div_zero 0
		.amdhsa_exception_fp_ieee_overflow 0
		.amdhsa_exception_fp_ieee_underflow 0
		.amdhsa_exception_fp_ieee_inexact 0
		.amdhsa_exception_int_div_zero 0
	.end_amdhsa_kernel
	.section	.text._ZL33flash_attn_stream_k_fixup_uniformILi512ELi2ELi16EEvPfPK15HIP_vector_typeIfLj2EEiiiiiiS1_IjLj3EES5_S5_,"axG",@progbits,_ZL33flash_attn_stream_k_fixup_uniformILi512ELi2ELi16EEvPfPK15HIP_vector_typeIfLj2EEiiiiiiS1_IjLj3EES5_S5_,comdat
.Lfunc_end2:
	.size	_ZL33flash_attn_stream_k_fixup_uniformILi512ELi2ELi16EEvPfPK15HIP_vector_typeIfLj2EEiiiiiiS1_IjLj3EES5_S5_, .Lfunc_end2-_ZL33flash_attn_stream_k_fixup_uniformILi512ELi2ELi16EEvPfPK15HIP_vector_typeIfLj2EEiiiiiiS1_IjLj3EES5_S5_
                                        ; -- End function
	.set _ZL33flash_attn_stream_k_fixup_uniformILi512ELi2ELi16EEvPfPK15HIP_vector_typeIfLj2EEiiiiiiS1_IjLj3EES5_S5_.num_vgpr, 11
	.set _ZL33flash_attn_stream_k_fixup_uniformILi512ELi2ELi16EEvPfPK15HIP_vector_typeIfLj2EEiiiiiiS1_IjLj3EES5_S5_.num_agpr, 0
	.set _ZL33flash_attn_stream_k_fixup_uniformILi512ELi2ELi16EEvPfPK15HIP_vector_typeIfLj2EEiiiiiiS1_IjLj3EES5_S5_.numbered_sgpr, 16
	.set _ZL33flash_attn_stream_k_fixup_uniformILi512ELi2ELi16EEvPfPK15HIP_vector_typeIfLj2EEiiiiiiS1_IjLj3EES5_S5_.num_named_barrier, 0
	.set _ZL33flash_attn_stream_k_fixup_uniformILi512ELi2ELi16EEvPfPK15HIP_vector_typeIfLj2EEiiiiiiS1_IjLj3EES5_S5_.private_seg_size, 0
	.set _ZL33flash_attn_stream_k_fixup_uniformILi512ELi2ELi16EEvPfPK15HIP_vector_typeIfLj2EEiiiiiiS1_IjLj3EES5_S5_.uses_vcc, 1
	.set _ZL33flash_attn_stream_k_fixup_uniformILi512ELi2ELi16EEvPfPK15HIP_vector_typeIfLj2EEiiiiiiS1_IjLj3EES5_S5_.uses_flat_scratch, 0
	.set _ZL33flash_attn_stream_k_fixup_uniformILi512ELi2ELi16EEvPfPK15HIP_vector_typeIfLj2EEiiiiiiS1_IjLj3EES5_S5_.has_dyn_sized_stack, 0
	.set _ZL33flash_attn_stream_k_fixup_uniformILi512ELi2ELi16EEvPfPK15HIP_vector_typeIfLj2EEiiiiiiS1_IjLj3EES5_S5_.has_recursion, 0
	.set _ZL33flash_attn_stream_k_fixup_uniformILi512ELi2ELi16EEvPfPK15HIP_vector_typeIfLj2EEiiiiiiS1_IjLj3EES5_S5_.has_indirect_call, 0
	.section	.AMDGPU.csdata,"",@progbits
; Kernel info:
; codeLenInByte = 1140
; TotalNumSgprs: 18
; NumVgprs: 11
; ScratchSize: 0
; MemoryBound: 0
; FloatMode: 240
; IeeeMode: 1
; LDSByteSize: 0 bytes/workgroup (compile time only)
; SGPRBlocks: 0
; VGPRBlocks: 1
; NumSGPRsForWavesPerEU: 18
; NumVGPRsForWavesPerEU: 11
; Occupancy: 16
; WaveLimiterHint : 0
; COMPUTE_PGM_RSRC2:SCRATCH_EN: 0
; COMPUTE_PGM_RSRC2:USER_SGPR: 2
; COMPUTE_PGM_RSRC2:TRAP_HANDLER: 0
; COMPUTE_PGM_RSRC2:TGID_X_EN: 1
; COMPUTE_PGM_RSRC2:TGID_Y_EN: 1
; COMPUTE_PGM_RSRC2:TGID_Z_EN: 1
; COMPUTE_PGM_RSRC2:TIDIG_COMP_CNT: 0
	.section	.text._ZL33flash_attn_stream_k_fixup_generalILi512ELi2ELi16EEvPfPK15HIP_vector_typeIfLj2EEiiiiS1_IjLj3EES5_S5_S5_,"axG",@progbits,_ZL33flash_attn_stream_k_fixup_generalILi512ELi2ELi16EEvPfPK15HIP_vector_typeIfLj2EEiiiiS1_IjLj3EES5_S5_S5_,comdat
	.globl	_ZL33flash_attn_stream_k_fixup_generalILi512ELi2ELi16EEvPfPK15HIP_vector_typeIfLj2EEiiiiS1_IjLj3EES5_S5_S5_ ; -- Begin function _ZL33flash_attn_stream_k_fixup_generalILi512ELi2ELi16EEvPfPK15HIP_vector_typeIfLj2EEiiiiS1_IjLj3EES5_S5_S5_
	.p2align	8
	.type	_ZL33flash_attn_stream_k_fixup_generalILi512ELi2ELi16EEvPfPK15HIP_vector_typeIfLj2EEiiiiS1_IjLj3EES5_S5_S5_,@function
_ZL33flash_attn_stream_k_fixup_generalILi512ELi2ELi16EEvPfPK15HIP_vector_typeIfLj2EEiiiiS1_IjLj3EES5_S5_S5_: ; @_ZL33flash_attn_stream_k_fixup_generalILi512ELi2ELi16EEvPfPK15HIP_vector_typeIfLj2EEiiiiS1_IjLj3EES5_S5_S5_
; %bb.0:
	s_clause 0x1
	s_load_b128 s[4:7], s[0:1], 0x10
	s_load_b32 s16, s[0:1], 0x50
	s_mov_b32 s2, ttmp9
	s_ashr_i32 s3, ttmp9, 31
	s_mov_b32 s17, 0
	s_delay_alu instid0(SALU_CYCLE_1) | instskip(SKIP_3) | instid1(SALU_CYCLE_1)
	s_mov_b32 s8, s17
	s_wait_kmcnt 0x0
	s_ashr_i32 s19, s7, 31
	s_mov_b32 s18, s7
	s_mul_u64 s[2:3], s[18:19], s[2:3]
	s_delay_alu instid0(SALU_CYCLE_1) | instskip(NEXT) | instid1(SALU_CYCLE_1)
	s_mov_b32 s9, s3
	s_cmp_lg_u64 s[8:9], 0
	s_cbranch_scc0 .LBB3_21
; %bb.1:
	s_add_nc_u64 s[8:9], s[16:17], 0
	s_mov_b32 s15, s17
	s_xor_b64 s[8:9], s[8:9], 0
	s_mov_b32 s23, s17
	s_cvt_f32_u32 s7, s8
	s_cvt_f32_u32 s10, s9
	s_sub_nc_u64 s[12:13], 0, s[8:9]
	s_delay_alu instid0(SALU_CYCLE_2) | instskip(NEXT) | instid1(SALU_CYCLE_3)
	s_fmamk_f32 s7, s10, 0x4f800000, s7
	v_s_rcp_f32 s7, s7
	s_delay_alu instid0(TRANS32_DEP_1) | instskip(SKIP_1) | instid1(SALU_CYCLE_2)
	s_mul_f32 s7, s7, 0x5f7ffffc
	s_wait_alu 0xfffe
	s_mul_f32 s10, s7, 0x2f800000
	s_delay_alu instid0(SALU_CYCLE_3) | instskip(NEXT) | instid1(SALU_CYCLE_3)
	s_trunc_f32 s10, s10
	s_fmamk_f32 s7, s10, 0xcf800000, s7
	s_cvt_u32_f32 s11, s10
	s_wait_alu 0xfffe
	s_delay_alu instid0(SALU_CYCLE_1) | instskip(NEXT) | instid1(SALU_CYCLE_3)
	s_cvt_u32_f32 s10, s7
	s_mul_u64 s[20:21], s[12:13], s[10:11]
	s_delay_alu instid0(SALU_CYCLE_1)
	s_mul_hi_u32 s25, s10, s21
	s_mul_i32 s24, s10, s21
	s_mul_hi_u32 s14, s10, s20
	s_mul_i32 s22, s11, s20
	s_add_nc_u64 s[14:15], s[14:15], s[24:25]
	s_mul_hi_u32 s7, s11, s20
	s_mul_hi_u32 s26, s11, s21
	s_add_co_u32 s14, s14, s22
	s_wait_alu 0xfffe
	s_add_co_ci_u32 s22, s15, s7
	s_mul_i32 s20, s11, s21
	s_add_co_ci_u32 s21, s26, 0
	s_delay_alu instid0(SALU_CYCLE_1)
	s_add_nc_u64 s[14:15], s[22:23], s[20:21]
	s_mov_b32 s21, s17
	s_add_co_u32 s10, s10, s14
	s_cselect_b32 s7, -1, 0
	s_wait_alu 0xfffe
	s_cmp_lg_u32 s7, 0
	s_add_co_ci_u32 s11, s11, s15
	s_mov_b32 s15, s17
	s_mul_u64 s[12:13], s[12:13], s[10:11]
	s_delay_alu instid0(SALU_CYCLE_1)
	s_mul_hi_u32 s23, s10, s13
	s_mul_i32 s22, s10, s13
	s_mul_hi_u32 s14, s10, s12
	s_mul_i32 s20, s11, s12
	s_add_nc_u64 s[14:15], s[14:15], s[22:23]
	s_mul_hi_u32 s7, s11, s12
	s_mul_hi_u32 s24, s11, s13
	s_mul_i32 s12, s11, s13
	s_add_co_u32 s13, s14, s20
	s_wait_alu 0xfffe
	s_add_co_ci_u32 s20, s15, s7
	s_add_co_ci_u32 s13, s24, 0
	s_mov_b32 s15, s17
	s_add_nc_u64 s[12:13], s[20:21], s[12:13]
	s_delay_alu instid0(SALU_CYCLE_1) | instskip(SKIP_1) | instid1(SALU_CYCLE_1)
	s_add_co_u32 s7, s10, s12
	s_cselect_b32 s10, -1, 0
	s_cmp_lg_u32 s10, 0
	s_add_co_ci_u32 s20, s11, s13
	s_ashr_i32 s10, s3, 31
	s_delay_alu instid0(SALU_CYCLE_1) | instskip(NEXT) | instid1(SALU_CYCLE_1)
	s_mov_b32 s11, s10
	s_add_nc_u64 s[12:13], s[2:3], s[10:11]
	s_delay_alu instid0(SALU_CYCLE_1) | instskip(NEXT) | instid1(SALU_CYCLE_1)
	s_xor_b64 s[12:13], s[12:13], s[10:11]
	s_mul_hi_u32 s23, s12, s20
	s_mul_i32 s22, s12, s20
	s_wait_alu 0xfffe
	s_mul_hi_u32 s14, s12, s7
	s_mul_hi_u32 s24, s13, s7
	s_mul_i32 s7, s13, s7
	s_add_nc_u64 s[14:15], s[14:15], s[22:23]
	s_mul_hi_u32 s3, s13, s20
	s_wait_alu 0xfffe
	s_add_co_u32 s7, s14, s7
	s_mul_i32 s22, s13, s20
	s_add_co_ci_u32 s20, s15, s24
	s_add_co_ci_u32 s23, s3, 0
	s_delay_alu instid0(SALU_CYCLE_1) | instskip(NEXT) | instid1(SALU_CYCLE_1)
	s_add_nc_u64 s[14:15], s[20:21], s[22:23]
	s_mul_u64 s[20:21], s[8:9], s[14:15]
	s_delay_alu instid0(SALU_CYCLE_1)
	s_sub_co_u32 s3, s12, s20
	s_cselect_b32 s7, -1, 0
	s_sub_co_i32 s12, s13, s21
	s_wait_alu 0xfffe
	s_cmp_lg_u32 s7, 0
	s_sub_co_ci_u32 s12, s12, s9
	s_sub_co_u32 s20, s3, s8
	s_cselect_b32 s22, -1, 0
	s_delay_alu instid0(SALU_CYCLE_1) | instskip(SKIP_2) | instid1(SALU_CYCLE_1)
	s_cmp_lg_u32 s22, 0
	s_add_nc_u64 s[22:23], s[14:15], 1
	s_sub_co_ci_u32 s12, s12, 0
	s_cmp_ge_u32 s12, s9
	s_cselect_b32 s24, -1, 0
	s_cmp_ge_u32 s20, s8
	s_cselect_b32 s20, -1, 0
	s_cmp_eq_u32 s12, s9
	s_cselect_b32 s12, s20, s24
	s_add_nc_u64 s[24:25], s[14:15], 2
	s_cmp_lg_u32 s12, 0
	s_cselect_b32 s12, s24, s22
	s_cselect_b32 s20, s25, s23
	s_cmp_lg_u32 s7, 0
	s_sub_co_ci_u32 s7, s13, s21
	s_wait_alu 0xfffe
	s_cmp_ge_u32 s7, s9
	s_cselect_b32 s13, -1, 0
	s_cmp_ge_u32 s3, s8
	s_cselect_b32 s3, -1, 0
	s_cmp_eq_u32 s7, s9
	s_cselect_b32 s3, s3, s13
	s_delay_alu instid0(SALU_CYCLE_1) | instskip(SKIP_4) | instid1(SALU_CYCLE_1)
	s_cmp_lg_u32 s3, 0
	s_mov_b32 s3, s17
	s_cselect_b32 s9, s20, s15
	s_cselect_b32 s8, s12, s14
	s_xor_b64 s[10:11], s[10:11], 0
	s_xor_b64 s[8:9], s[8:9], s[10:11]
	s_delay_alu instid0(SALU_CYCLE_1)
	s_sub_nc_u64 s[20:21], s[8:9], s[10:11]
	s_and_not1_b32 vcc_lo, exec_lo, s3
	s_cbranch_vccnz .LBB3_3
.LBB3_2:
	v_cvt_f32_u32_e32 v1, s16
	s_sub_co_i32 s7, 0, s16
	s_delay_alu instid0(VALU_DEP_1) | instskip(NEXT) | instid1(TRANS32_DEP_1)
	v_rcp_iflag_f32_e32 v1, v1
	v_mul_f32_e32 v1, 0x4f7ffffe, v1
	s_delay_alu instid0(VALU_DEP_1) | instskip(NEXT) | instid1(VALU_DEP_1)
	v_cvt_u32_f32_e32 v1, v1
	v_readfirstlane_b32 s3, v1
	s_wait_alu 0xfffe
	s_mul_i32 s7, s7, s3
	s_wait_alu 0xfffe
	s_mul_hi_u32 s7, s3, s7
	s_wait_alu 0xfffe
	s_add_co_i32 s3, s3, s7
	s_delay_alu instid0(SALU_CYCLE_1) | instskip(NEXT) | instid1(SALU_CYCLE_1)
	s_mul_hi_u32 s3, s2, s3
	s_mul_i32 s7, s3, s16
	s_wait_alu 0xfffe
	s_sub_co_i32 s2, s2, s7
	s_add_co_i32 s7, s3, 1
	s_sub_co_i32 s8, s2, s16
	s_cmp_ge_u32 s2, s16
	s_wait_alu 0xfffe
	s_cselect_b32 s3, s7, s3
	s_cselect_b32 s2, s8, s2
	s_add_co_i32 s7, s3, 1
	s_cmp_ge_u32 s2, s16
	s_wait_alu 0xfffe
	s_cselect_b32 s20, s7, s3
.LBB3_3:
	s_add_co_i32 s2, ttmp9, 1
	s_mov_b32 s8, 0
	s_ashr_i32 s3, s2, 31
	s_delay_alu instid0(SALU_CYCLE_1) | instskip(NEXT) | instid1(SALU_CYCLE_1)
	s_mul_u64 s[2:3], s[18:19], s[2:3]
	s_mov_b32 s9, s3
	s_delay_alu instid0(SALU_CYCLE_1)
	s_cmp_lg_u64 s[8:9], 0
	s_cbranch_scc0 .LBB3_22
; %bb.4:
	s_add_nc_u64 s[10:11], s[16:17], 0
	s_mov_b32 s23, s8
	s_xor_b64 s[10:11], s[10:11], 0
	s_mov_b32 s27, s8
	s_cvt_f32_u32 s7, s10
	s_cvt_f32_u32 s9, s11
	s_sub_nc_u64 s[14:15], 0, s[10:11]
	s_wait_alu 0xfffe
	s_delay_alu instid0(SALU_CYCLE_1) | instskip(SKIP_1) | instid1(SALU_CYCLE_2)
	s_fmamk_f32 s7, s9, 0x4f800000, s7
	s_wait_alu 0xfffe
	v_s_rcp_f32 s7, s7
	s_delay_alu instid0(TRANS32_DEP_1) | instskip(SKIP_1) | instid1(SALU_CYCLE_2)
	s_mul_f32 s7, s7, 0x5f7ffffc
	s_wait_alu 0xfffe
	s_mul_f32 s9, s7, 0x2f800000
	s_delay_alu instid0(SALU_CYCLE_3) | instskip(NEXT) | instid1(SALU_CYCLE_3)
	s_trunc_f32 s9, s9
	s_fmamk_f32 s7, s9, 0xcf800000, s7
	s_cvt_u32_f32 s13, s9
	s_wait_alu 0xfffe
	s_delay_alu instid0(SALU_CYCLE_1) | instskip(NEXT) | instid1(SALU_CYCLE_3)
	s_cvt_u32_f32 s12, s7
	s_mul_u64 s[24:25], s[14:15], s[12:13]
	s_delay_alu instid0(SALU_CYCLE_1)
	s_mul_hi_u32 s29, s12, s25
	s_mul_i32 s28, s12, s25
	s_mul_hi_u32 s22, s12, s24
	s_mul_i32 s9, s13, s24
	s_add_nc_u64 s[22:23], s[22:23], s[28:29]
	s_mul_hi_u32 s7, s13, s24
	s_mul_hi_u32 s21, s13, s25
	s_add_co_u32 s9, s22, s9
	s_wait_alu 0xfffe
	s_add_co_ci_u32 s26, s23, s7
	s_mul_i32 s24, s13, s25
	s_add_co_ci_u32 s25, s21, 0
	s_delay_alu instid0(SALU_CYCLE_1)
	s_add_nc_u64 s[22:23], s[26:27], s[24:25]
	s_mov_b32 s25, s8
	s_add_co_u32 s12, s12, s22
	s_cselect_b32 s7, -1, 0
	s_wait_alu 0xfffe
	s_cmp_lg_u32 s7, 0
	s_add_co_ci_u32 s13, s13, s23
	s_mov_b32 s23, s8
	s_mul_u64 s[14:15], s[14:15], s[12:13]
	s_delay_alu instid0(SALU_CYCLE_1)
	s_mul_hi_u32 s27, s12, s15
	s_mul_i32 s26, s12, s15
	s_mul_hi_u32 s22, s12, s14
	s_mul_i32 s9, s13, s14
	s_add_nc_u64 s[22:23], s[22:23], s[26:27]
	s_mul_hi_u32 s7, s13, s14
	s_mul_hi_u32 s21, s13, s15
	s_add_co_u32 s9, s22, s9
	s_wait_alu 0xfffe
	s_add_co_ci_u32 s24, s23, s7
	s_mul_i32 s14, s13, s15
	s_add_co_ci_u32 s15, s21, 0
	s_mov_b32 s23, s8
	s_add_nc_u64 s[14:15], s[24:25], s[14:15]
	s_delay_alu instid0(SALU_CYCLE_1) | instskip(SKIP_1) | instid1(SALU_CYCLE_1)
	s_add_co_u32 s7, s12, s14
	s_cselect_b32 s9, -1, 0
	s_cmp_lg_u32 s9, 0
	s_add_co_ci_u32 s9, s13, s15
	s_ashr_i32 s12, s3, 31
	s_delay_alu instid0(SALU_CYCLE_1) | instskip(NEXT) | instid1(SALU_CYCLE_1)
	s_mov_b32 s13, s12
	s_add_nc_u64 s[14:15], s[2:3], s[12:13]
	s_delay_alu instid0(SALU_CYCLE_1) | instskip(NEXT) | instid1(SALU_CYCLE_1)
	s_xor_b64 s[14:15], s[14:15], s[12:13]
	s_mul_hi_u32 s27, s14, s9
	s_mul_i32 s26, s14, s9
	s_wait_alu 0xfffe
	s_mul_hi_u32 s22, s14, s7
	s_mul_hi_u32 s21, s15, s7
	s_mul_i32 s7, s15, s7
	s_add_nc_u64 s[22:23], s[22:23], s[26:27]
	s_mul_hi_u32 s3, s15, s9
	s_wait_alu 0xfffe
	s_add_co_u32 s7, s22, s7
	s_add_co_ci_u32 s24, s23, s21
	s_mul_i32 s26, s15, s9
	s_add_co_ci_u32 s27, s3, 0
	s_delay_alu instid0(SALU_CYCLE_1) | instskip(NEXT) | instid1(SALU_CYCLE_1)
	s_add_nc_u64 s[22:23], s[24:25], s[26:27]
	s_mul_u64 s[24:25], s[10:11], s[22:23]
	s_add_nc_u64 s[26:27], s[22:23], 1
	s_sub_co_u32 s3, s14, s24
	s_cselect_b32 s7, -1, 0
	s_sub_co_i32 s9, s15, s25
	s_wait_alu 0xfffe
	s_cmp_lg_u32 s7, 0
	s_add_nc_u64 s[28:29], s[22:23], 2
	s_sub_co_ci_u32 s9, s9, s11
	s_sub_co_u32 s14, s3, s10
	s_cselect_b32 s21, -1, 0
	s_delay_alu instid0(SALU_CYCLE_1) | instskip(SKIP_1) | instid1(SALU_CYCLE_1)
	s_cmp_lg_u32 s21, 0
	s_sub_co_ci_u32 s9, s9, 0
	s_cmp_ge_u32 s9, s11
	s_cselect_b32 s21, -1, 0
	s_cmp_ge_u32 s14, s10
	s_cselect_b32 s14, -1, 0
	s_cmp_eq_u32 s9, s11
	s_cselect_b32 s9, s14, s21
	s_delay_alu instid0(SALU_CYCLE_1)
	s_cmp_lg_u32 s9, 0
	s_cselect_b32 s9, s28, s26
	s_cselect_b32 s14, s29, s27
	s_cmp_lg_u32 s7, 0
	s_sub_co_ci_u32 s7, s15, s25
	s_wait_alu 0xfffe
	s_cmp_ge_u32 s7, s11
	s_cselect_b32 s15, -1, 0
	s_cmp_ge_u32 s3, s10
	s_cselect_b32 s3, -1, 0
	s_cmp_eq_u32 s7, s11
	s_cselect_b32 s3, s3, s15
	s_delay_alu instid0(SALU_CYCLE_1) | instskip(SKIP_3) | instid1(SALU_CYCLE_1)
	s_cmp_lg_u32 s3, 0
	s_cselect_b32 s11, s14, s23
	s_cselect_b32 s10, s9, s22
	s_xor_b64 s[12:13], s[12:13], 0
	s_xor_b64 s[10:11], s[10:11], s[12:13]
	s_delay_alu instid0(SALU_CYCLE_1)
	s_sub_nc_u64 s[10:11], s[10:11], s[12:13]
	s_load_b96 s[12:14], s[0:1], 0x44
	s_and_not1_b32 vcc_lo, exec_lo, s8
	s_cbranch_vccnz .LBB3_6
.LBB3_5:
	v_cvt_f32_u32_e32 v1, s16
	s_sub_co_i32 s7, 0, s16
	s_delay_alu instid0(VALU_DEP_1) | instskip(NEXT) | instid1(TRANS32_DEP_1)
	v_rcp_iflag_f32_e32 v1, v1
	v_mul_f32_e32 v1, 0x4f7ffffe, v1
	s_delay_alu instid0(VALU_DEP_1) | instskip(NEXT) | instid1(VALU_DEP_1)
	v_cvt_u32_f32_e32 v1, v1
	v_readfirstlane_b32 s3, v1
	s_wait_alu 0xfffe
	s_mul_i32 s7, s7, s3
	s_wait_alu 0xfffe
	s_mul_hi_u32 s7, s3, s7
	s_wait_alu 0xfffe
	s_add_co_i32 s3, s3, s7
	s_delay_alu instid0(SALU_CYCLE_1) | instskip(NEXT) | instid1(SALU_CYCLE_1)
	s_mul_hi_u32 s3, s2, s3
	s_mul_i32 s7, s3, s16
	s_wait_alu 0xfffe
	s_sub_co_i32 s2, s2, s7
	s_add_co_i32 s7, s3, 1
	s_sub_co_i32 s8, s2, s16
	s_cmp_ge_u32 s2, s16
	s_wait_alu 0xfffe
	s_cselect_b32 s3, s7, s3
	s_cselect_b32 s2, s8, s2
	s_add_co_i32 s7, s3, 1
	s_cmp_ge_u32 s2, s16
	s_wait_alu 0xfffe
	s_cselect_b32 s10, s7, s3
.LBB3_6:
	s_mov_b32 s21, 0
	s_wait_kmcnt 0x0
	s_mov_b32 s22, s12
	s_mov_b32 s23, s21
	s_cmp_eq_u32 s20, s10
	s_mul_u64 s[2:3], s[20:21], s[22:23]
	s_cselect_b32 s7, -1, 0
	s_add_co_i32 s2, s3, s20
	s_mov_b32 s11, s21
	s_lshr_b32 s12, s2, s13
	s_mul_u64 s[2:3], s[10:11], s[22:23]
	s_mul_i32 s2, s12, s14
	s_delay_alu instid0(SALU_CYCLE_1) | instskip(SKIP_2) | instid1(SALU_CYCLE_1)
	s_cmp_eq_u32 s2, s20
	s_cselect_b32 s2, -1, 0
	s_add_co_i32 s3, s3, s10
	s_lshr_b32 s3, s3, s13
	s_delay_alu instid0(SALU_CYCLE_1)
	s_cmp_eq_u32 s12, s3
	s_mul_i32 s3, s3, s14
	s_cselect_b32 s8, -1, 0
	s_cmp_lg_u32 s3, s10
	s_cselect_b32 s3, -1, 0
	s_wait_alu 0xfffe
	s_or_b32 s2, s7, s2
	s_and_b32 s3, s8, s3
	s_delay_alu instid0(SALU_CYCLE_1) | instskip(NEXT) | instid1(SALU_CYCLE_1)
	s_or_b32 s2, s2, s3
	s_and_b32 vcc_lo, exec_lo, s2
	s_cbranch_vccnz .LBB3_24
; %bb.7:
	s_load_b256 s[24:31], s[0:1], 0x20
	s_mov_b32 s3, s21
	s_wait_kmcnt 0x0
	s_mov_b32 s2, s24
	s_delay_alu instid0(SALU_CYCLE_1) | instskip(NEXT) | instid1(SALU_CYCLE_1)
	s_mul_u64 s[2:3], s[20:21], s[2:3]
	s_add_co_i32 s2, s3, s20
	s_delay_alu instid0(SALU_CYCLE_1) | instskip(SKIP_2) | instid1(SALU_CYCLE_1)
	s_lshr_b32 s7, s2, s25
	s_load_b32 s2, s[0:1], 0x40
	s_mul_i32 s3, s7, s26
	s_sub_co_i32 s3, s20, s3
	s_delay_alu instid0(SALU_CYCLE_1) | instskip(NEXT) | instid1(SALU_CYCLE_1)
	s_mul_hi_u32 s8, s3, s27
	s_add_co_i32 s8, s3, s8
	s_delay_alu instid0(SALU_CYCLE_1) | instskip(NEXT) | instid1(SALU_CYCLE_1)
	s_lshr_b32 s8, s8, s28
	s_mul_i32 s9, s8, s29
	s_delay_alu instid0(SALU_CYCLE_1) | instskip(NEXT) | instid1(SALU_CYCLE_1)
	s_sub_co_i32 s9, s3, s9
	s_mul_hi_u32 s3, s9, s30
	s_delay_alu instid0(SALU_CYCLE_1) | instskip(NEXT) | instid1(SALU_CYCLE_1)
	s_add_co_i32 s3, s9, s3
	s_lshr_b32 s24, s3, s31
	s_mov_b32 s3, s21
	s_wait_kmcnt 0x0
	s_mul_i32 s2, s24, s2
	s_lshl_b32 s21, s24, 4
	s_sub_co_i32 s2, s9, s2
	s_delay_alu instid0(SALU_CYCLE_1) | instskip(SKIP_2) | instid1(SALU_CYCLE_1)
	s_mul_u64 s[10:11], s[2:3], s[22:23]
	s_lshr_b32 s3, ttmp7, 16
	s_add_co_i32 s2, s2, s11
	s_lshr_b32 s15, s2, s13
	s_and_b32 s2, ttmp7, 0xffff
	s_lshl_b32 s9, s15, 1
	s_delay_alu instid0(SALU_CYCLE_1) | instskip(NEXT) | instid1(SALU_CYCLE_1)
	s_add_co_i32 s9, s9, s2
	s_cmp_lt_i32 s9, s4
	s_cselect_b32 s9, -1, 0
	s_add_co_i32 s10, s21, s3
	s_delay_alu instid0(SALU_CYCLE_1) | instskip(SKIP_1) | instid1(SALU_CYCLE_1)
	s_cmp_lt_i32 s10, s6
	s_cselect_b32 s10, -1, 0
	s_and_b32 s9, s9, s10
	s_delay_alu instid0(SALU_CYCLE_1)
	s_and_not1_b32 vcc_lo, exec_lo, s9
	s_cbranch_vccnz .LBB3_24
; %bb.8:
	s_mul_i32 s4, s7, s4
	s_mul_i32 s6, s8, s6
	s_add_co_i32 s4, s4, s2
	s_load_b128 s[8:11], s[0:1], 0x0
	s_mul_i32 s4, s4, s5
	s_mul_i32 s1, s5, s15
	s_add_co_i32 s4, s4, s3
	s_lshl_b32 s1, s1, 10
	s_add_co_i32 s0, s4, s6
	s_lshl_b32 s15, s2, 4
	s_add_co_i32 s0, s0, s21
	s_add_co_i32 s15, s15, s3
	s_lshl_b32 s0, s0, 9
	v_cvt_f32_u32_e32 v4, s16
	s_add_co_i32 s1, s1, s0
	s_add_co_i32 s34, ttmp9, -1
	v_or_b32_e32 v1, s1, v0
	s_add_nc_u64 s[0:1], s[16:17], 0
	v_rcp_iflag_f32_e32 v4, v4
	s_wait_alu 0xfffe
	s_xor_b64 s[6:7], s[0:1], 0
	s_lshl_b32 s0, ttmp9, 5
	v_ashrrev_i32_e32 v2, 31, v1
	s_wait_alu 0xfffe
	s_cvt_f32_u32 s1, s6
	s_cvt_f32_u32 s2, s7
	s_add_co_i32 s0, s15, s0
	v_lshl_or_b32 v0, s15, 9, v0
	v_lshlrev_b64_e32 v[1:2], 2, v[1:2]
	s_wait_alu 0xfffe
	s_fmamk_f32 s2, s2, 0x4f800000, s1
	s_ashr_i32 s1, s0, 31
	s_sub_nc_u64 s[30:31], 0, s[6:7]
	s_wait_alu 0xfffe
	s_lshl_b64 s[0:1], s[0:1], 3
	v_s_rcp_f32 s2, s2
	s_wait_kmcnt 0x0
	v_add_co_u32 v1, vcc_lo, s8, v1
	s_delay_alu instid0(VALU_DEP_1)
	v_add_co_ci_u32_e64 v2, null, s9, v2, vcc_lo
	s_wait_alu 0xfffe
	s_add_nc_u64 s[0:1], s[10:11], s[0:1]
	s_mov_b32 s8, 0
	s_load_b64 s[26:27], s[0:1], 0x0
	global_load_b32 v3, v[1:2], off
	s_mul_f32 s2, s2, 0x5f7ffffc
	v_mul_f32_e32 v4, 0x4f7ffffe, v4
	s_lshl_b32 s0, s16, 7
	s_wait_alu 0xfffe
	s_mul_f32 s1, s2, 0x2f800000
	s_wait_alu 0xfffe
	s_delay_alu instid0(SALU_CYCLE_2)
	s_trunc_f32 s3, s1
	s_mov_b32 s1, s8
	s_wait_alu 0xfffe
	s_lshl_b64 s[0:1], s[0:1], 2
	s_fmamk_f32 s2, s3, 0xcf800000, s2
	s_cvt_u32_f32 s29, s3
	s_wait_alu 0xfffe
	s_add_nc_u64 s[24:25], s[10:11], s[0:1]
	s_cvt_u32_f32 s28, s2
	s_wait_kmcnt 0x0
	v_mov_b32_e32 v5, s27
	v_cvt_u32_f32_e32 v4, v4
.LBB3_9:                                ; =>This Inner Loop Header: Depth=1
	s_wait_alu 0xfffe
	s_ashr_i32 s35, s34, 31
	s_mov_b32 s2, -1
	s_wait_alu 0xfffe
	s_mul_u64 s[0:1], s[34:35], s[18:19]
                                        ; implicit-def: $sgpr38_sgpr39
	s_wait_alu 0xfffe
	s_mov_b32 s9, s1
	s_wait_alu 0xfffe
	s_cmp_lg_u64 s[8:9], 0
	s_cbranch_scc0 .LBB3_11
; %bb.10:                               ;   in Loop: Header=BB3_9 Depth=1
	s_mul_u64 s[2:3], s[30:31], s[28:29]
	s_mov_b32 s37, s8
	s_wait_alu 0xfffe
	s_mul_hi_u32 s5, s28, s3
	s_mul_i32 s4, s28, s3
	s_mul_hi_u32 s36, s28, s2
	s_mul_hi_u32 s9, s29, s2
	s_wait_alu 0xfffe
	s_add_nc_u64 s[4:5], s[36:37], s[4:5]
	s_mul_i32 s2, s29, s2
	s_mul_hi_u32 s17, s29, s3
	s_wait_alu 0xfffe
	s_add_co_u32 s2, s4, s2
	s_add_co_ci_u32 s2, s5, s9
	s_add_co_ci_u32 s5, s17, 0
	s_mul_i32 s4, s29, s3
	s_mov_b32 s3, s8
	s_mov_b32 s39, s8
	s_wait_alu 0xfffe
	s_add_nc_u64 s[2:3], s[2:3], s[4:5]
	s_wait_alu 0xfffe
	s_add_co_u32 s2, s28, s2
	s_cselect_b32 s4, -1, 0
	s_wait_alu 0xfffe
	s_cmp_lg_u32 s4, 0
	s_add_co_ci_u32 s3, s29, s3
	s_wait_alu 0xfffe
	s_mul_u64 s[4:5], s[30:31], s[2:3]
	s_wait_alu 0xfffe
	s_mul_hi_u32 s37, s2, s5
	s_mul_i32 s36, s2, s5
	s_mul_hi_u32 s38, s2, s4
	s_mul_hi_u32 s9, s3, s4
	s_mul_i32 s4, s3, s4
	s_wait_alu 0xfffe
	s_add_nc_u64 s[36:37], s[38:39], s[36:37]
	s_mul_hi_u32 s17, s3, s5
	s_wait_alu 0xfffe
	s_add_co_u32 s4, s36, s4
	s_add_co_ci_u32 s4, s37, s9
	s_add_co_ci_u32 s37, s17, 0
	s_mul_i32 s36, s3, s5
	s_mov_b32 s5, s8
	s_wait_alu 0xfffe
	s_add_nc_u64 s[4:5], s[4:5], s[36:37]
	s_mov_b32 s37, s8
	s_wait_alu 0xfffe
	s_add_co_u32 s9, s2, s4
	s_cselect_b32 s2, -1, 0
	s_wait_alu 0xfffe
	s_cmp_lg_u32 s2, 0
	s_add_co_ci_u32 s17, s3, s5
	s_ashr_i32 s2, s1, 31
	s_wait_alu 0xfffe
	s_mov_b32 s3, s2
	s_wait_alu 0xfffe
	s_add_nc_u64 s[4:5], s[0:1], s[2:3]
	s_wait_alu 0xfffe
	s_xor_b64 s[4:5], s[4:5], s[2:3]
	s_wait_alu 0xfffe
	s_mul_hi_u32 s39, s4, s17
	s_mul_i32 s38, s4, s17
	s_mul_hi_u32 s36, s4, s9
	s_mul_i32 s21, s5, s9
	s_wait_alu 0xfffe
	s_add_nc_u64 s[36:37], s[36:37], s[38:39]
	s_mul_hi_u32 s9, s5, s9
	s_mul_hi_u32 s1, s5, s17
	s_wait_alu 0xfffe
	s_add_co_u32 s21, s36, s21
	s_add_co_ci_u32 s36, s37, s9
	s_add_co_ci_u32 s39, s1, 0
	s_mul_i32 s38, s5, s17
	s_mov_b32 s37, s8
	s_wait_alu 0xfffe
	s_add_nc_u64 s[36:37], s[36:37], s[38:39]
	s_wait_alu 0xfffe
	s_mul_u64 s[38:39], s[6:7], s[36:37]
	s_add_nc_u64 s[40:41], s[36:37], 1
	s_sub_co_u32 s1, s4, s38
	s_cselect_b32 s4, -1, 0
	s_sub_co_i32 s9, s5, s39
	s_wait_alu 0xfffe
	s_cmp_lg_u32 s4, 0
	s_add_nc_u64 s[42:43], s[36:37], 2
	s_sub_co_ci_u32 s9, s9, s7
	s_sub_co_u32 s17, s1, s6
	s_cselect_b32 s21, -1, 0
	s_delay_alu instid0(SALU_CYCLE_1)
	s_cmp_lg_u32 s21, 0
	s_wait_alu 0xfffe
	s_sub_co_ci_u32 s9, s9, 0
	s_wait_alu 0xfffe
	s_cmp_ge_u32 s9, s7
	s_cselect_b32 s21, -1, 0
	s_cmp_ge_u32 s17, s6
	s_cselect_b32 s17, -1, 0
	s_cmp_eq_u32 s9, s7
	s_wait_alu 0xfffe
	s_cselect_b32 s9, s17, s21
	s_wait_alu 0xfffe
	s_cmp_lg_u32 s9, 0
	s_cselect_b32 s9, s42, s40
	s_cselect_b32 s17, s43, s41
	s_cmp_lg_u32 s4, 0
	s_sub_co_ci_u32 s4, s5, s39
	s_wait_alu 0xfffe
	s_cmp_ge_u32 s4, s7
	s_cselect_b32 s5, -1, 0
	s_cmp_ge_u32 s1, s6
	s_cselect_b32 s1, -1, 0
	s_cmp_eq_u32 s4, s7
	s_wait_alu 0xfffe
	s_cselect_b32 s1, s1, s5
	s_wait_alu 0xfffe
	s_cmp_lg_u32 s1, 0
	s_cselect_b32 s5, s17, s37
	s_cselect_b32 s4, s9, s36
	s_xor_b64 s[2:3], s[2:3], 0
	s_wait_alu 0xfffe
	s_xor_b64 s[4:5], s[4:5], s[2:3]
	s_wait_alu 0xfffe
	s_sub_nc_u64 s[38:39], s[4:5], s[2:3]
	s_mov_b32 s2, 0
.LBB3_11:                               ;   in Loop: Header=BB3_9 Depth=1
	s_wait_alu 0xfffe
	s_and_not1_b32 vcc_lo, exec_lo, s2
	s_wait_alu 0xfffe
	s_cbranch_vccnz .LBB3_13
; %bb.12:                               ;   in Loop: Header=BB3_9 Depth=1
	v_readfirstlane_b32 s1, v4
	s_sub_co_i32 s2, 0, s16
	s_wait_alu 0xfffe
	s_mul_i32 s2, s2, s1
	s_wait_alu 0xfffe
	s_mul_hi_u32 s2, s1, s2
	s_wait_alu 0xfffe
	s_add_co_i32 s1, s1, s2
	s_wait_alu 0xfffe
	s_mul_hi_u32 s1, s0, s1
	s_wait_alu 0xfffe
	s_mul_i32 s2, s1, s16
	s_wait_alu 0xfffe
	s_sub_co_i32 s0, s0, s2
	s_add_co_i32 s2, s1, 1
	s_wait_alu 0xfffe
	s_sub_co_i32 s3, s0, s16
	s_cmp_ge_u32 s0, s16
	s_cselect_b32 s1, s2, s1
	s_wait_alu 0xfffe
	s_cselect_b32 s0, s3, s0
	s_add_co_i32 s2, s1, 1
	s_wait_alu 0xfffe
	s_cmp_ge_u32 s0, s16
	s_cselect_b32 s38, s2, s1
.LBB3_13:                               ;   in Loop: Header=BB3_9 Depth=1
	v_readfirstlane_b32 s9, v0
	s_cmp_lg_u32 s20, s38
	s_mov_b32 s0, -1
                                        ; implicit-def: $sgpr21
                                        ; implicit-def: $vgpr6
                                        ; implicit-def: $vgpr7
                                        ; implicit-def: $sgpr17
                                        ; implicit-def: $sgpr27
	s_cbranch_scc1 .LBB3_16
; %bb.14:                               ;   in Loop: Header=BB3_9 Depth=1
	s_wait_alu 0xfffe
	s_and_not1_b32 vcc_lo, exec_lo, s0
	s_wait_alu 0xfffe
	s_cbranch_vccz .LBB3_19
.LBB3_15:                               ;   in Loop: Header=BB3_9 Depth=1
	s_and_not1_b32 vcc_lo, exec_lo, s21
	s_wait_alu 0xfffe
	s_cbranch_vccnz .LBB3_20
	s_branch .LBB3_23
.LBB3_16:                               ;   in Loop: Header=BB3_9 Depth=1
	s_add_co_i32 s0, s34, s16
	s_mov_b32 s1, s8
	s_wait_alu 0xfffe
	s_lshl_b32 s0, s0, 5
	v_max_num_f32_e64 v6, s26, s26
	s_wait_alu 0xfffe
	s_add_co_i32 s0, s0, s15
	s_mov_b32 s39, s8
	s_wait_alu 0xfffe
	s_lshl_b64 s[0:1], s[0:1], 3
	s_mul_u64 s[40:41], s[38:39], s[22:23]
	s_wait_alu 0xfffe
	s_add_nc_u64 s[0:1], s[10:11], s[0:1]
	s_mov_b32 s27, s20
	s_load_b64 s[36:37], s[0:1], 0x0
	v_readfirstlane_b32 s0, v6
	s_wait_kmcnt 0x0
	v_max_num_f32_e64 v7, s36, s36
	s_delay_alu instid0(VALU_DEP_1) | instskip(SKIP_2) | instid1(SALU_CYCLE_2)
	v_readfirstlane_b32 s1, v7
	s_max_num_f32 s9, s0, s1
	s_wait_alu 0xfffe
	s_sub_f32 s33, s26, s9
	s_sub_f32 s35, s36, s9
	s_wait_alu 0xfffe
	s_delay_alu instid0(SALU_CYCLE_1)
	s_cmp_nlt_f32 s33, 0xc2ce8ed0
	s_cselect_b32 s0, -1, 0
	s_cmp_ngt_f32 s33, 0x42b17218
	s_cselect_b32 s1, -1, 0
	s_cmp_ge_f32 s33, 0xc1a00000
	s_cselect_b32 s2, -1, 0
	s_cmp_nlt_f32 s35, 0xc2ce8ed0
	s_cselect_b32 s3, -1, 0
	s_cmp_ngt_f32 s35, 0x42b17218
	s_cselect_b32 s4, -1, 0
	s_cmp_ge_f32 s35, 0xc1a00000
	s_cselect_b32 s5, -1, 0
	s_add_co_i32 s17, s41, s38
	s_wait_alu 0xfffe
	s_lshr_b32 s17, s17, s13
	s_wait_alu 0xfffe
	s_mul_i32 s21, s17, s14
	s_delay_alu instid0(SALU_CYCLE_1)
	s_cmp_eq_u32 s21, s38
	s_cselect_b32 s21, -1, 0
	s_cmp_lt_u32 s17, s12
	s_cselect_b32 s17, -1, 0
	s_wait_alu 0xfffe
	s_or_b32 s17, s17, s21
	s_mov_b32 s21, -1
	s_wait_alu 0xfffe
	s_and_b32 vcc_lo, exec_lo, s17
	s_mov_b32 s17, s34
	s_wait_alu 0xfffe
	s_cbranch_vccnz .LBB3_18
; %bb.17:                               ;   in Loop: Header=BB3_9 Depth=1
	s_add_co_i32 s17, s34, -1
	s_mov_b32 s21, 0
	s_mov_b32 s27, s38
.LBB3_18:                               ;   in Loop: Header=BB3_9 Depth=1
	v_lshl_add_u32 v6, s34, 14, v0
	s_mul_f32 s36, s35, 0x3fb8aa3b
	s_mul_f32 s38, s33, 0x3fb8aa3b
	s_wait_alu 0xfffe
	s_delay_alu instid0(SALU_CYCLE_1)
	s_xor_b32 s39, s36, 0x80000000
	v_ashrrev_i32_e32 v7, 31, v6
	s_rndne_f32 s40, s36
	s_fmamk_f32 s39, s35, 0x3fb8aa3b, s39
	s_xor_b32 s41, s38, 0x80000000
	s_rndne_f32 s42, s38
	v_lshlrev_b64_e32 v[6:7], 2, v[6:7]
	s_sub_f32 s36, s36, s40
	s_fmamk_f32 s35, s35, 0x32a5705f, s39
	s_fmamk_f32 s39, s33, 0x3fb8aa3b, s41
	s_sub_f32 s38, s38, s42
	s_delay_alu instid0(VALU_DEP_1)
	v_add_co_u32 v6, vcc_lo, s24, v6
	s_wait_alu 0xfffd
	v_add_co_ci_u32_e64 v7, null, s25, v7, vcc_lo
	s_wait_alu 0xfffe
	s_add_f32 s35, s36, s35
	s_fmamk_f32 s33, s33, 0x32a5705f, s39
	s_cvt_i32_f32 s36, s40
	global_load_b32 v6, v[6:7], off
	s_wait_alu 0xfffe
	v_s_exp_f32 s35, s35
	s_add_f32 s33, s38, s33
	s_wait_alu 0xfffe
	s_delay_alu instid0(SALU_CYCLE_2) | instskip(NEXT) | instid1(TRANS32_DEP_2)
	v_s_exp_f32 s33, s33
	v_ldexp_f32 v7, s35, s36
	s_cvt_i32_f32 s35, s42
	s_wait_alu 0xf1fe
	s_delay_alu instid0(TRANS32_DEP_1) | instid1(SALU_CYCLE_2)
	v_ldexp_f32 v8, s33, s35
	s_delay_alu instid0(VALU_DEP_2) | instskip(NEXT) | instid1(VALU_DEP_2)
	v_cndmask_b32_e64 v7, 0, v7, s3
	v_cndmask_b32_e64 v8, 0, v8, s0
	s_delay_alu instid0(VALU_DEP_2) | instskip(NEXT) | instid1(VALU_DEP_2)
	v_cndmask_b32_e64 v7, 0x7f800000, v7, s4
	v_cndmask_b32_e64 v8, 0x7f800000, v8, s1
	;; [unrolled: 3-line block ×3, first 2 shown]
	s_wait_loadcnt 0x0
	s_delay_alu instid0(VALU_DEP_2) | instskip(SKIP_1) | instid1(VALU_DEP_1)
	v_mul_f32_e32 v6, v6, v7
	v_mul_f32_e32 v7, s37, v7
	v_fmac_f32_e32 v7, v5, v8
	s_delay_alu instid0(VALU_DEP_3)
	v_fmac_f32_e32 v6, v3, v8
	s_cbranch_execnz .LBB3_15
.LBB3_19:                               ;   in Loop: Header=BB3_9 Depth=1
	s_wait_loadcnt 0x0
	v_dual_mov_b32 v7, v5 :: v_dual_mov_b32 v6, v3
	s_add_co_i32 s17, s34, -1
	s_mov_b32 s27, s20
	s_mov_b32 s9, s26
	s_cbranch_execz .LBB3_23
.LBB3_20:                               ;   in Loop: Header=BB3_9 Depth=1
	v_mov_b32_e32 v5, v7
	s_wait_loadcnt 0x0
	v_mov_b32_e32 v3, v6
	s_wait_alu 0xfffe
	s_mov_b32 s20, s27
	s_mov_b32 s34, s17
	;; [unrolled: 1-line block ×3, first 2 shown]
	s_branch .LBB3_9
.LBB3_21:
                                        ; implicit-def: $sgpr20_sgpr21
	s_branch .LBB3_2
.LBB3_22:
                                        ; implicit-def: $sgpr10_sgpr11
	s_load_b96 s[12:14], s[0:1], 0x44
	s_branch .LBB3_5
.LBB3_23:
	v_div_scale_f32 v0, null, v7, v7, v6
	s_wait_loadcnt 0x0
	s_delay_alu instid0(VALU_DEP_1) | instskip(NEXT) | instid1(TRANS32_DEP_1)
	v_rcp_f32_e32 v3, v0
	v_fma_f32 v4, -v0, v3, 1.0
	s_delay_alu instid0(VALU_DEP_1) | instskip(SKIP_1) | instid1(VALU_DEP_1)
	v_fmac_f32_e32 v3, v4, v3
	v_div_scale_f32 v4, vcc_lo, v6, v7, v6
	v_mul_f32_e32 v5, v4, v3
	s_delay_alu instid0(VALU_DEP_1) | instskip(NEXT) | instid1(VALU_DEP_1)
	v_fma_f32 v8, -v0, v5, v4
	v_fmac_f32_e32 v5, v8, v3
	s_delay_alu instid0(VALU_DEP_1) | instskip(SKIP_1) | instid1(VALU_DEP_1)
	v_fma_f32 v0, -v0, v5, v4
	s_wait_alu 0xfffd
	v_div_fmas_f32 v0, v0, v3, v5
	s_delay_alu instid0(VALU_DEP_1)
	v_div_fixup_f32 v0, v0, v7, v6
	global_store_b32 v[1:2], v0, off
.LBB3_24:
	s_endpgm
	.section	.rodata,"a",@progbits
	.p2align	6, 0x0
	.amdhsa_kernel _ZL33flash_attn_stream_k_fixup_generalILi512ELi2ELi16EEvPfPK15HIP_vector_typeIfLj2EEiiiiS1_IjLj3EES5_S5_S5_
		.amdhsa_group_segment_fixed_size 0
		.amdhsa_private_segment_fixed_size 0
		.amdhsa_kernarg_size 336
		.amdhsa_user_sgpr_count 2
		.amdhsa_user_sgpr_dispatch_ptr 0
		.amdhsa_user_sgpr_queue_ptr 0
		.amdhsa_user_sgpr_kernarg_segment_ptr 1
		.amdhsa_user_sgpr_dispatch_id 0
		.amdhsa_user_sgpr_private_segment_size 0
		.amdhsa_wavefront_size32 1
		.amdhsa_uses_dynamic_stack 0
		.amdhsa_enable_private_segment 0
		.amdhsa_system_sgpr_workgroup_id_x 1
		.amdhsa_system_sgpr_workgroup_id_y 1
		.amdhsa_system_sgpr_workgroup_id_z 1
		.amdhsa_system_sgpr_workgroup_info 0
		.amdhsa_system_vgpr_workitem_id 0
		.amdhsa_next_free_vgpr 9
		.amdhsa_next_free_sgpr 44
		.amdhsa_reserve_vcc 1
		.amdhsa_float_round_mode_32 0
		.amdhsa_float_round_mode_16_64 0
		.amdhsa_float_denorm_mode_32 3
		.amdhsa_float_denorm_mode_16_64 3
		.amdhsa_fp16_overflow 0
		.amdhsa_workgroup_processor_mode 1
		.amdhsa_memory_ordered 1
		.amdhsa_forward_progress 1
		.amdhsa_inst_pref_size 28
		.amdhsa_round_robin_scheduling 0
		.amdhsa_exception_fp_ieee_invalid_op 0
		.amdhsa_exception_fp_denorm_src 0
		.amdhsa_exception_fp_ieee_div_zero 0
		.amdhsa_exception_fp_ieee_overflow 0
		.amdhsa_exception_fp_ieee_underflow 0
		.amdhsa_exception_fp_ieee_inexact 0
		.amdhsa_exception_int_div_zero 0
	.end_amdhsa_kernel
	.section	.text._ZL33flash_attn_stream_k_fixup_generalILi512ELi2ELi16EEvPfPK15HIP_vector_typeIfLj2EEiiiiS1_IjLj3EES5_S5_S5_,"axG",@progbits,_ZL33flash_attn_stream_k_fixup_generalILi512ELi2ELi16EEvPfPK15HIP_vector_typeIfLj2EEiiiiS1_IjLj3EES5_S5_S5_,comdat
.Lfunc_end3:
	.size	_ZL33flash_attn_stream_k_fixup_generalILi512ELi2ELi16EEvPfPK15HIP_vector_typeIfLj2EEiiiiS1_IjLj3EES5_S5_S5_, .Lfunc_end3-_ZL33flash_attn_stream_k_fixup_generalILi512ELi2ELi16EEvPfPK15HIP_vector_typeIfLj2EEiiiiS1_IjLj3EES5_S5_S5_
                                        ; -- End function
	.set _ZL33flash_attn_stream_k_fixup_generalILi512ELi2ELi16EEvPfPK15HIP_vector_typeIfLj2EEiiiiS1_IjLj3EES5_S5_S5_.num_vgpr, 9
	.set _ZL33flash_attn_stream_k_fixup_generalILi512ELi2ELi16EEvPfPK15HIP_vector_typeIfLj2EEiiiiS1_IjLj3EES5_S5_S5_.num_agpr, 0
	.set _ZL33flash_attn_stream_k_fixup_generalILi512ELi2ELi16EEvPfPK15HIP_vector_typeIfLj2EEiiiiS1_IjLj3EES5_S5_S5_.numbered_sgpr, 44
	.set _ZL33flash_attn_stream_k_fixup_generalILi512ELi2ELi16EEvPfPK15HIP_vector_typeIfLj2EEiiiiS1_IjLj3EES5_S5_S5_.num_named_barrier, 0
	.set _ZL33flash_attn_stream_k_fixup_generalILi512ELi2ELi16EEvPfPK15HIP_vector_typeIfLj2EEiiiiS1_IjLj3EES5_S5_S5_.private_seg_size, 0
	.set _ZL33flash_attn_stream_k_fixup_generalILi512ELi2ELi16EEvPfPK15HIP_vector_typeIfLj2EEiiiiS1_IjLj3EES5_S5_S5_.uses_vcc, 1
	.set _ZL33flash_attn_stream_k_fixup_generalILi512ELi2ELi16EEvPfPK15HIP_vector_typeIfLj2EEiiiiS1_IjLj3EES5_S5_S5_.uses_flat_scratch, 0
	.set _ZL33flash_attn_stream_k_fixup_generalILi512ELi2ELi16EEvPfPK15HIP_vector_typeIfLj2EEiiiiS1_IjLj3EES5_S5_S5_.has_dyn_sized_stack, 0
	.set _ZL33flash_attn_stream_k_fixup_generalILi512ELi2ELi16EEvPfPK15HIP_vector_typeIfLj2EEiiiiS1_IjLj3EES5_S5_S5_.has_recursion, 0
	.set _ZL33flash_attn_stream_k_fixup_generalILi512ELi2ELi16EEvPfPK15HIP_vector_typeIfLj2EEiiiiS1_IjLj3EES5_S5_S5_.has_indirect_call, 0
	.section	.AMDGPU.csdata,"",@progbits
; Kernel info:
; codeLenInByte = 3548
; TotalNumSgprs: 46
; NumVgprs: 9
; ScratchSize: 0
; MemoryBound: 0
; FloatMode: 240
; IeeeMode: 1
; LDSByteSize: 0 bytes/workgroup (compile time only)
; SGPRBlocks: 0
; VGPRBlocks: 1
; NumSGPRsForWavesPerEU: 46
; NumVGPRsForWavesPerEU: 9
; Occupancy: 16
; WaveLimiterHint : 0
; COMPUTE_PGM_RSRC2:SCRATCH_EN: 0
; COMPUTE_PGM_RSRC2:USER_SGPR: 2
; COMPUTE_PGM_RSRC2:TRAP_HANDLER: 0
; COMPUTE_PGM_RSRC2:TGID_X_EN: 1
; COMPUTE_PGM_RSRC2:TGID_Y_EN: 1
; COMPUTE_PGM_RSRC2:TGID_Z_EN: 1
; COMPUTE_PGM_RSRC2:TIDIG_COMP_CNT: 0
	.section	.text._ZL26flash_attn_combine_resultsILi512EEvPKfPK15HIP_vector_typeIfLj2EEPfi,"axG",@progbits,_ZL26flash_attn_combine_resultsILi512EEvPKfPK15HIP_vector_typeIfLj2EEPfi,comdat
	.globl	_ZL26flash_attn_combine_resultsILi512EEvPKfPK15HIP_vector_typeIfLj2EEPfi ; -- Begin function _ZL26flash_attn_combine_resultsILi512EEvPKfPK15HIP_vector_typeIfLj2EEPfi
	.p2align	8
	.type	_ZL26flash_attn_combine_resultsILi512EEvPKfPK15HIP_vector_typeIfLj2EEPfi,@function
_ZL26flash_attn_combine_resultsILi512EEvPKfPK15HIP_vector_typeIfLj2EEPfi: ; @_ZL26flash_attn_combine_resultsILi512EEvPKfPK15HIP_vector_typeIfLj2EEPfi
; %bb.0:
	s_clause 0x2
	s_load_b64 s[2:3], s[0:1], 0x20
	s_load_b96 s[8:10], s[0:1], 0x10
	s_load_b128 s[4:7], s[0:1], 0x0
	s_lshr_b32 s0, ttmp7, 16
	v_lshlrev_b32_e32 v5, 2, v0
	s_mov_b32 s12, exec_lo
	s_wait_kmcnt 0x0
	s_mul_i32 s0, s2, s0
	s_and_b32 s2, ttmp7, 0xffff
	s_add_co_i32 s0, s0, ttmp9
	s_lshl_b32 s1, s10, 1
	s_mul_i32 s11, s0, s3
	s_delay_alu instid0(SALU_CYCLE_1) | instskip(NEXT) | instid1(SALU_CYCLE_1)
	s_add_co_i32 s11, s11, s2
	s_mul_i32 s2, s11, s10
	v_cmpx_gt_i32_e64 s1, v0
	s_cbranch_execz .LBB4_3
; %bb.1:
	s_ashr_i32 s3, s2, 31
	v_dual_mov_b32 v4, v0 :: v_dual_add_nc_u32 v3, 0, v5
	s_lshl_b64 s[14:15], s[2:3], 3
	s_mov_b32 s3, 0
	s_add_nc_u64 s[6:7], s[6:7], s[14:15]
	s_delay_alu instid0(SALU_CYCLE_1)
	v_add_co_u32 v1, s0, s6, v5
	s_wait_alu 0xf1ff
	v_add_co_ci_u32_e64 v2, null, s7, 0, s0
.LBB4_2:                                ; =>This Inner Loop Header: Depth=1
	global_load_b32 v6, v[1:2], off
	v_add_nc_u32_e32 v4, 0x200, v4
	v_add_co_u32 v1, vcc_lo, 0x800, v1
	s_wait_alu 0xfffd
	v_add_co_ci_u32_e64 v2, null, 0, v2, vcc_lo
	s_delay_alu instid0(VALU_DEP_3)
	v_cmp_le_i32_e64 s0, s1, v4
	s_or_b32 s3, s0, s3
	s_wait_loadcnt 0x0
	ds_store_b32 v3, v6
	v_add_nc_u32_e32 v3, 0x800, v3
	s_and_not1_b32 exec_lo, exec_lo, s3
	s_cbranch_execnz .LBB4_2
.LBB4_3:
	s_or_b32 exec_lo, exec_lo, s12
	v_mov_b32_e32 v1, 0
	s_wait_dscnt 0x0
	s_barrier_signal -1
	s_barrier_wait -1
	global_inv scope:SCOPE_SE
	ds_load_b32 v6, v1
	s_cmp_lt_i32 s10, 2
	s_cbranch_scc1 .LBB4_11
; %bb.4:
	s_add_co_i32 s1, s10, -2
	s_add_co_i32 s0, s10, -1
	s_wait_alu 0xfffe
	s_cmp_lt_u32 s1, 7
	s_cbranch_scc1 .LBB4_8
; %bb.5:
	s_mov_b32 s3, 0
	s_add_co_i32 s1, 0, 8
	s_and_b32 s6, s0, -8
.LBB4_6:                                ; =>This Inner Loop Header: Depth=1
	s_wait_alu 0xfffe
	v_mov_b32_e32 v9, s1
	s_mov_b32 s7, s3
	s_add_co_i32 s3, s3, 8
	s_add_co_i32 s1, s1, 64
	s_cmp_eq_u32 s6, s3
	ds_load_2addr_b32 v[1:2], v9 offset1:2
	ds_load_2addr_b32 v[3:4], v9 offset0:4 offset1:6
	ds_load_2addr_b32 v[7:8], v9 offset0:8 offset1:10
	;; [unrolled: 1-line block ×3, first 2 shown]
	s_wait_dscnt 0x3
	v_max3_num_f32 v1, v6, v1, v2
	s_wait_dscnt 0x2
	s_delay_alu instid0(VALU_DEP_1) | instskip(SKIP_1) | instid1(VALU_DEP_1)
	v_max3_num_f32 v1, v1, v3, v4
	s_wait_dscnt 0x1
	v_max3_num_f32 v1, v1, v7, v8
	s_wait_dscnt 0x0
	s_delay_alu instid0(VALU_DEP_1)
	v_max3_num_f32 v6, v1, v9, v10
	s_cbranch_scc0 .LBB4_6
; %bb.7:
	s_wait_alu 0xfffe
	s_add_co_i32 s1, s7, 9
	s_and_b32 s0, s0, 7
	s_wait_alu 0xfffe
	s_cmp_eq_u32 s0, 0
	s_cbranch_scc0 .LBB4_9
	s_branch .LBB4_11
.LBB4_8:
	s_mov_b32 s1, 1
	s_and_b32 s0, s0, 7
	s_wait_alu 0xfffe
	s_cmp_eq_u32 s0, 0
	s_cbranch_scc1 .LBB4_11
.LBB4_9:
	s_lshl_b32 s1, s1, 3
	s_wait_alu 0xfffe
	s_add_co_i32 s1, s1, 0
.LBB4_10:                               ; =>This Inner Loop Header: Depth=1
	s_wait_dscnt 0x0
	s_wait_alu 0xfffe
	s_delay_alu instid0(VALU_DEP_1)
	v_dual_mov_b32 v1, s1 :: v_dual_max_num_f32 v2, v6, v6
	s_add_co_i32 s0, s0, -1
	s_add_co_i32 s1, s1, 8
	s_wait_alu 0xfffe
	s_cmp_lg_u32 s0, 0
	ds_load_b32 v1, v1
	s_wait_dscnt 0x0
	v_max_num_f32_e32 v1, v1, v1
	s_delay_alu instid0(VALU_DEP_1)
	v_max_num_f32_e32 v6, v2, v1
	s_cbranch_scc1 .LBB4_10
.LBB4_11:
	s_cmp_lt_i32 s10, 1
	s_cbranch_scc1 .LBB4_16
; %bb.12:
	s_lshl_b32 s0, s2, 9
	s_wait_alu 0xfffe
	s_ashr_i32 s1, s0, 31
	s_wait_alu 0xfffe
	s_lshl_b64 s[0:1], s[0:1], 2
	s_cmp_lt_u32 s10, 8
	s_wait_alu 0xfffe
	s_add_nc_u64 s[6:7], s[4:5], s[0:1]
	s_cbranch_scc1 .LBB4_17
; %bb.13:
	v_or_b32_e32 v1, 0xe00, v0
	v_dual_mov_b32 v4, 0 :: v_dual_mov_b32 v7, 0
	v_mov_b32_e32 v8, 0
	s_and_b32 s12, s10, 0x7ffffff8
	s_mov_b32 s13, 0
	s_mov_b32 s14, 0
.LBB4_14:                               ; =>This Inner Loop Header: Depth=1
	v_dual_mov_b32 v2, v4 :: v_dual_add_nc_u32 v3, 0xfffff200, v1
	v_mov_b32_e32 v21, s14
	s_add_co_i32 s13, s13, 8
	s_add_co_i32 s14, s14, 64
	s_delay_alu instid0(VALU_DEP_2) | instskip(SKIP_3) | instid1(VALU_DEP_2)
	v_lshlrev_b64_e32 v[9:10], 2, v[3:4]
	v_add_nc_u32_e32 v3, 0xfffff400, v1
	v_lshlrev_b64_e32 v[11:12], 2, v[1:2]
	s_cmp_eq_u32 s12, s13
	v_lshlrev_b64_e32 v[13:14], 2, v[3:4]
	s_wait_alu 0xfffe
	v_add_co_u32 v9, vcc_lo, s6, v9
	s_wait_alu 0xfffd
	v_add_co_ci_u32_e64 v10, null, s7, v10, vcc_lo
	v_add_nc_u32_e32 v3, 0xfffff600, v1
	v_add_co_u32 v13, vcc_lo, s6, v13
	global_load_b32 v25, v[9:10], off
	s_wait_alu 0xfffd
	v_add_co_ci_u32_e64 v14, null, s7, v14, vcc_lo
	v_lshlrev_b64_e32 v[15:16], 2, v[3:4]
	v_add_nc_u32_e32 v3, 0xfffff800, v1
	global_load_b32 v26, v[13:14], off
	v_add_co_u32 v13, vcc_lo, s6, v15
	s_wait_alu 0xfffd
	v_add_co_ci_u32_e64 v14, null, s7, v16, vcc_lo
	v_lshlrev_b64_e32 v[9:10], 2, v[3:4]
	v_add_nc_u32_e32 v3, 0xfffffa00, v1
	global_load_b32 v27, v[13:14], off
	v_add_co_u32 v9, vcc_lo, s6, v9
	v_lshlrev_b64_e32 v[15:16], 2, v[3:4]
	v_add_nc_u32_e32 v3, 0xfffffc00, v1
	s_wait_alu 0xfffd
	v_add_co_ci_u32_e64 v10, null, s7, v10, vcc_lo
	global_load_b32 v28, v[9:10], off
	v_lshlrev_b64_e32 v[13:14], 2, v[3:4]
	v_add_nc_u32_e32 v3, 0xfffffe00, v1
	v_add_co_u32 v9, vcc_lo, s6, v15
	s_wait_alu 0xfffd
	v_add_co_ci_u32_e64 v10, null, s7, v16, vcc_lo
	s_delay_alu instid0(VALU_DEP_4)
	v_add_co_u32 v13, vcc_lo, s6, v13
	v_lshlrev_b64_e32 v[2:3], 2, v[3:4]
	s_wait_alu 0xfffd
	v_add_co_ci_u32_e64 v14, null, s7, v14, vcc_lo
	s_clause 0x1
	global_load_b32 v29, v[9:10], off
	global_load_b32 v30, v[13:14], off
	v_add_co_u32 v2, vcc_lo, s6, v2
	s_wait_alu 0xfffd
	v_add_co_ci_u32_e64 v3, null, s7, v3, vcc_lo
	v_add_co_u32 v9, vcc_lo, s6, v11
	s_wait_alu 0xfffd
	v_add_co_ci_u32_e64 v10, null, s7, v12, vcc_lo
	s_clause 0x1
	global_load_b32 v2, v[2:3], off
	global_load_b32 v3, v[9:10], off
	ds_load_2addr_b64 v[9:12], v21 offset1:1
	ds_load_2addr_b64 v[13:16], v21 offset0:2 offset1:3
	ds_load_2addr_b64 v[17:20], v21 offset0:4 offset1:5
	;; [unrolled: 1-line block ×3, first 2 shown]
	v_add_nc_u32_e32 v1, 0x1000, v1
	s_wait_dscnt 0x1
	v_sub_f32_e32 v19, v19, v6
	v_sub_f32_e32 v11, v11, v6
	s_wait_dscnt 0x0
	v_sub_f32_e32 v23, v23, v6
	s_delay_alu instid0(VALU_DEP_3) | instskip(NEXT) | instid1(VALU_DEP_3)
	v_dual_sub_f32 v13, v13, v6 :: v_dual_mul_f32 v36, 0x3fb8aa3b, v19
	v_mul_f32_e32 v32, 0x3fb8aa3b, v11
	s_delay_alu instid0(VALU_DEP_2) | instskip(SKIP_1) | instid1(VALU_DEP_4)
	v_dual_mul_f32 v38, 0x3fb8aa3b, v23 :: v_dual_mul_f32 v33, 0x3fb8aa3b, v13
	v_cmp_ngt_f32_e32 vcc_lo, 0xc2ce8ed0, v13
	v_xor_b32_e32 v49, 0x80000000, v36
	s_delay_alu instid0(VALU_DEP_4) | instskip(SKIP_4) | instid1(VALU_DEP_4)
	v_xor_b32_e32 v41, 0x80000000, v32
	v_rndne_f32_e32 v42, v32
	v_xor_b32_e32 v43, 0x80000000, v33
	v_rndne_f32_e32 v44, v33
	v_rndne_f32_e32 v50, v36
	v_dual_fmac_f32 v41, 0x3fb8aa3b, v11 :: v_dual_sub_f32 v32, v32, v42
	s_delay_alu instid0(VALU_DEP_4) | instskip(NEXT) | instid1(VALU_DEP_4)
	v_fmac_f32_e32 v43, 0x3fb8aa3b, v13
	v_sub_f32_e32 v33, v33, v44
	v_cvt_i32_f32_e32 v42, v42
	s_delay_alu instid0(VALU_DEP_4) | instskip(SKIP_3) | instid1(VALU_DEP_4)
	v_fmac_f32_e32 v41, 0x32a5705f, v11
	v_sub_f32_e32 v15, v15, v6
	v_fmac_f32_e32 v43, 0x32a5705f, v13
	v_cvt_i32_f32_e32 v44, v44
	v_dual_fmac_f32 v49, 0x3fb8aa3b, v19 :: v_dual_add_f32 v32, v32, v41
	s_delay_alu instid0(VALU_DEP_4) | instskip(NEXT) | instid1(VALU_DEP_4)
	v_dual_sub_f32 v9, v9, v6 :: v_dual_mul_f32 v34, 0x3fb8aa3b, v15
	v_add_f32_e32 v33, v33, v43
	v_cmp_ngt_f32_e64 s0, 0xc2ce8ed0, v15
	s_delay_alu instid0(VALU_DEP_4) | instskip(NEXT) | instid1(VALU_DEP_3)
	v_exp_f32_e32 v32, v32
	v_mul_f32_e32 v31, 0x3fb8aa3b, v9
	v_xor_b32_e32 v45, 0x80000000, v34
	v_rndne_f32_e32 v46, v34
	v_exp_f32_e32 v33, v33
	v_cmp_ngt_f32_e64 s5, 0xc2ce8ed0, v9
	v_xor_b32_e32 v39, 0x80000000, v31
	v_rndne_f32_e32 v40, v31
	v_dual_fmac_f32 v45, 0x3fb8aa3b, v15 :: v_dual_sub_f32 v34, v34, v46
	s_delay_alu instid0(TRANS32_DEP_2) | instskip(NEXT) | instid1(VALU_DEP_4)
	v_ldexp_f32 v32, v32, v42
	v_fmac_f32_e32 v39, 0x3fb8aa3b, v9
	s_delay_alu instid0(VALU_DEP_4)
	v_sub_f32_e32 v31, v31, v40
	v_cvt_i32_f32_e32 v40, v40
	v_fmac_f32_e32 v45, 0x32a5705f, v15
	v_sub_f32_e32 v17, v17, v6
	v_fmac_f32_e32 v39, 0x32a5705f, v9
	v_ldexp_f32 v33, v33, v44
	v_cvt_i32_f32_e32 v46, v46
	v_add_f32_e32 v34, v34, v45
	s_delay_alu instid0(VALU_DEP_4) | instskip(SKIP_2) | instid1(VALU_DEP_4)
	v_dual_sub_f32 v36, v36, v50 :: v_dual_add_f32 v31, v31, v39
	v_fmac_f32_e32 v49, 0x32a5705f, v19
	v_xor_b32_e32 v53, 0x80000000, v38
	v_exp_f32_e32 v34, v34
	v_cvt_i32_f32_e32 v50, v50
	v_exp_f32_e32 v31, v31
	v_add_f32_e32 v36, v36, v49
	v_cmp_ngt_f32_e64 s1, 0xc2ce8ed0, v17
	v_rndne_f32_e32 v54, v38
	v_cmp_ngt_f32_e64 s2, 0xc2ce8ed0, v19
	s_delay_alu instid0(VALU_DEP_4) | instskip(NEXT) | instid1(TRANS32_DEP_3)
	v_exp_f32_e32 v36, v36
	v_ldexp_f32 v34, v34, v46
	s_delay_alu instid0(VALU_DEP_3) | instskip(NEXT) | instid1(TRANS32_DEP_2)
	v_sub_f32_e32 v38, v38, v54
	v_ldexp_f32 v31, v31, v40
	v_cvt_i32_f32_e32 v54, v54
	s_wait_alu 0xf1ff
	s_delay_alu instid0(VALU_DEP_2) | instskip(SKIP_1) | instid1(TRANS32_DEP_1)
	v_cndmask_b32_e64 v31, 0, v31, s5
	v_cmp_ngt_f32_e64 s5, 0xc2ce8ed0, v11
	v_ldexp_f32 v36, v36, v50
	s_wait_alu 0xf1ff
	s_delay_alu instid0(VALU_DEP_2) | instskip(SKIP_2) | instid1(VALU_DEP_1)
	v_cndmask_b32_e64 v32, 0, v32, s5
	v_cmp_nlt_f32_e64 s5, 0x42b17218, v9
	s_wait_alu 0xf1ff
	v_cndmask_b32_e64 v9, 0x7f800000, v31, s5
	s_wait_alu 0xfffd
	v_cndmask_b32_e32 v31, 0, v33, vcc_lo
	v_cmp_nlt_f32_e32 vcc_lo, 0x42b17218, v11
	s_wait_alu 0xfffd
	v_dual_fmac_f32 v8, v9, v10 :: v_dual_cndmask_b32 v11, 0x7f800000, v32
	v_cmp_nlt_f32_e32 vcc_lo, 0x42b17218, v13
	s_delay_alu instid0(VALU_DEP_2)
	v_fmac_f32_e32 v8, v11, v12
	s_wait_alu 0xfffd
	v_cndmask_b32_e32 v10, 0x7f800000, v31, vcc_lo
	v_cmp_nlt_f32_e32 vcc_lo, 0x42b17218, v15
	v_fmac_f32_e32 v53, 0x3fb8aa3b, v23
	v_cmp_ngt_f32_e64 s4, 0xc2ce8ed0, v23
	s_delay_alu instid0(VALU_DEP_2) | instskip(NEXT) | instid1(VALU_DEP_1)
	v_dual_fmac_f32 v8, v10, v14 :: v_dual_fmac_f32 v53, 0x32a5705f, v23
	v_dual_sub_f32 v21, v21, v6 :: v_dual_add_f32 v38, v38, v53
	s_delay_alu instid0(VALU_DEP_1) | instskip(NEXT) | instid1(VALU_DEP_2)
	v_cmp_ngt_f32_e64 s3, 0xc2ce8ed0, v21
	v_exp_f32_e32 v38, v38
	s_delay_alu instid0(TRANS32_DEP_1) | instskip(SKIP_4) | instid1(VALU_DEP_1)
	v_ldexp_f32 v38, v38, v54
	s_wait_loadcnt 0x7
	v_fmac_f32_e32 v7, v25, v9
	v_cndmask_b32_e64 v9, 0, v34, s0
	s_wait_alu 0xfffd
	v_cndmask_b32_e32 v9, 0x7f800000, v9, vcc_lo
	s_wait_loadcnt 0x6
	v_fmac_f32_e32 v7, v26, v11
	v_cmp_nlt_f32_e32 vcc_lo, 0x42b17218, v17
	s_delay_alu instid0(VALU_DEP_3) | instskip(SKIP_1) | instid1(VALU_DEP_3)
	v_dual_fmac_f32 v8, v9, v16 :: v_dual_mul_f32 v35, 0x3fb8aa3b, v17
	s_wait_loadcnt 0x5
	v_fmac_f32_e32 v7, v27, v10
	s_delay_alu instid0(VALU_DEP_2) | instskip(SKIP_2) | instid1(VALU_DEP_3)
	v_xor_b32_e32 v47, 0x80000000, v35
	v_rndne_f32_e32 v48, v35
	v_cndmask_b32_e64 v10, 0, v36, s2
	v_fmac_f32_e32 v47, 0x3fb8aa3b, v17
	s_delay_alu instid0(VALU_DEP_3) | instskip(SKIP_1) | instid1(VALU_DEP_3)
	v_sub_f32_e32 v35, v35, v48
	v_cvt_i32_f32_e32 v48, v48
	v_fmac_f32_e32 v47, 0x32a5705f, v17
	s_wait_loadcnt 0x4
	v_fmac_f32_e32 v7, v28, v9
	s_delay_alu instid0(VALU_DEP_2) | instskip(NEXT) | instid1(VALU_DEP_1)
	v_add_f32_e32 v35, v35, v47
	v_exp_f32_e32 v35, v35
	s_delay_alu instid0(TRANS32_DEP_1) | instskip(NEXT) | instid1(VALU_DEP_1)
	v_ldexp_f32 v35, v35, v48
	v_cndmask_b32_e64 v11, 0, v35, s1
	s_wait_alu 0xfffd
	s_delay_alu instid0(VALU_DEP_1) | instskip(SKIP_1) | instid1(VALU_DEP_2)
	v_cndmask_b32_e32 v11, 0x7f800000, v11, vcc_lo
	v_cmp_nlt_f32_e32 vcc_lo, 0x42b17218, v19
	v_fmac_f32_e32 v8, v11, v18
	s_wait_alu 0xfffd
	v_cndmask_b32_e32 v10, 0x7f800000, v10, vcc_lo
	v_mul_f32_e32 v37, 0x3fb8aa3b, v21
	s_wait_loadcnt 0x3
	v_fmac_f32_e32 v7, v29, v11
	v_cmp_nlt_f32_e32 vcc_lo, 0x42b17218, v21
	s_wait_alu 0xf1ff
	v_cndmask_b32_e64 v11, 0, v38, s4
	v_fmac_f32_e32 v8, v10, v20
	v_xor_b32_e32 v51, 0x80000000, v37
	v_rndne_f32_e32 v52, v37
	s_wait_loadcnt 0x2
	v_fmac_f32_e32 v7, v30, v10
	s_delay_alu instid0(VALU_DEP_3) | instskip(NEXT) | instid1(VALU_DEP_3)
	v_fmac_f32_e32 v51, 0x3fb8aa3b, v21
	v_sub_f32_e32 v37, v37, v52
	v_cvt_i32_f32_e32 v52, v52
	s_delay_alu instid0(VALU_DEP_3) | instskip(NEXT) | instid1(VALU_DEP_1)
	v_fmac_f32_e32 v51, 0x32a5705f, v21
	v_add_f32_e32 v37, v37, v51
	s_delay_alu instid0(VALU_DEP_1) | instskip(NEXT) | instid1(TRANS32_DEP_1)
	v_exp_f32_e32 v37, v37
	v_ldexp_f32 v37, v37, v52
	s_delay_alu instid0(VALU_DEP_1) | instskip(SKIP_1) | instid1(VALU_DEP_1)
	v_cndmask_b32_e64 v9, 0, v37, s3
	s_wait_alu 0xfffd
	v_cndmask_b32_e32 v9, 0x7f800000, v9, vcc_lo
	v_cmp_nlt_f32_e32 vcc_lo, 0x42b17218, v23
	s_delay_alu instid0(VALU_DEP_2) | instskip(SKIP_4) | instid1(VALU_DEP_1)
	v_fmac_f32_e32 v8, v9, v22
	s_wait_loadcnt 0x1
	s_wait_alu 0xfffd
	v_dual_cndmask_b32 v10, 0x7f800000, v11 :: v_dual_fmac_f32 v7, v2, v9
	s_wait_loadcnt 0x0
	v_dual_fmac_f32 v8, v10, v24 :: v_dual_fmac_f32 v7, v3, v10
	s_cbranch_scc0 .LBB4_14
; %bb.15:
	s_and_b32 s0, s10, 7
	s_wait_alu 0xfffe
	s_cmp_eq_u32 s0, 0
	s_cbranch_scc0 .LBB4_18
	s_branch .LBB4_20
.LBB4_16:
	v_mov_b32_e32 v0, 0x7fc00000
	s_branch .LBB4_21
.LBB4_17:
	v_dual_mov_b32 v7, 0 :: v_dual_mov_b32 v8, 0
	s_mov_b32 s12, 0
	s_and_b32 s0, s10, 7
	s_wait_alu 0xfffe
	s_cmp_eq_u32 s0, 0
	s_cbranch_scc1 .LBB4_20
.LBB4_18:
	v_lshl_or_b32 v0, s12, 9, v0
	v_mov_b32_e32 v1, 0
	s_lshl_b32 s1, s12, 3
	s_wait_alu 0xfffe
	s_add_co_i32 s1, s1, 0
.LBB4_19:                               ; =>This Inner Loop Header: Depth=1
	s_delay_alu instid0(VALU_DEP_1) | instskip(SKIP_2) | instid1(VALU_DEP_2)
	v_lshlrev_b64_e32 v[2:3], 2, v[0:1]
	s_add_co_i32 s0, s0, -1
	v_add_nc_u32_e32 v0, 0x200, v0
	v_add_co_u32 v2, vcc_lo, s6, v2
	s_wait_alu 0xfffd
	s_delay_alu instid0(VALU_DEP_3)
	v_add_co_ci_u32_e64 v3, null, s7, v3, vcc_lo
	global_load_b32 v4, v[2:3], off
	s_wait_alu 0xfffe
	v_mov_b32_e32 v2, s1
	s_add_co_i32 s1, s1, 8
	s_cmp_lg_u32 s0, 0
	ds_load_b64 v[2:3], v2
	s_wait_dscnt 0x0
	v_sub_f32_e32 v2, v2, v6
	s_delay_alu instid0(VALU_DEP_1) | instskip(SKIP_1) | instid1(VALU_DEP_2)
	v_mul_f32_e32 v9, 0x3fb8aa3b, v2
	v_cmp_ngt_f32_e32 vcc_lo, 0xc2ce8ed0, v2
	v_xor_b32_e32 v10, 0x80000000, v9
	v_rndne_f32_e32 v11, v9
	s_delay_alu instid0(VALU_DEP_1) | instskip(NEXT) | instid1(VALU_DEP_1)
	v_dual_fmac_f32 v10, 0x3fb8aa3b, v2 :: v_dual_sub_f32 v9, v9, v11
	v_fmac_f32_e32 v10, 0x32a5705f, v2
	s_delay_alu instid0(VALU_DEP_1) | instskip(SKIP_1) | instid1(VALU_DEP_2)
	v_add_f32_e32 v9, v9, v10
	v_cvt_i32_f32_e32 v10, v11
	v_exp_f32_e32 v9, v9
	s_delay_alu instid0(TRANS32_DEP_1) | instskip(SKIP_1) | instid1(VALU_DEP_1)
	v_ldexp_f32 v9, v9, v10
	s_wait_alu 0xfffd
	v_cndmask_b32_e32 v9, 0, v9, vcc_lo
	v_cmp_nlt_f32_e32 vcc_lo, 0x42b17218, v2
	s_wait_alu 0xfffd
	s_delay_alu instid0(VALU_DEP_2) | instskip(SKIP_1) | instid1(VALU_DEP_1)
	v_cndmask_b32_e32 v2, 0x7f800000, v9, vcc_lo
	s_wait_loadcnt 0x0
	v_dual_fmac_f32 v8, v2, v3 :: v_dual_fmac_f32 v7, v4, v2
	s_cbranch_scc1 .LBB4_19
.LBB4_20:
	s_delay_alu instid0(VALU_DEP_1) | instskip(NEXT) | instid1(VALU_DEP_1)
	v_div_scale_f32 v0, null, v8, v8, v7
	v_rcp_f32_e32 v1, v0
	s_delay_alu instid0(TRANS32_DEP_1) | instskip(NEXT) | instid1(VALU_DEP_1)
	v_fma_f32 v2, -v0, v1, 1.0
	v_fmac_f32_e32 v1, v2, v1
	v_div_scale_f32 v2, vcc_lo, v7, v8, v7
	s_delay_alu instid0(VALU_DEP_1) | instskip(NEXT) | instid1(VALU_DEP_1)
	v_mul_f32_e32 v3, v2, v1
	v_fma_f32 v4, -v0, v3, v2
	s_delay_alu instid0(VALU_DEP_1) | instskip(NEXT) | instid1(VALU_DEP_1)
	v_fmac_f32_e32 v3, v4, v1
	v_fma_f32 v0, -v0, v3, v2
	s_wait_alu 0xfffd
	s_delay_alu instid0(VALU_DEP_1) | instskip(NEXT) | instid1(VALU_DEP_1)
	v_div_fmas_f32 v0, v0, v1, v3
	v_div_fixup_f32 v0, v0, v8, v7
.LBB4_21:
	s_lshl_b32 s0, s11, 9
	s_wait_alu 0xfffe
	s_ashr_i32 s1, s0, 31
	s_wait_alu 0xfffe
	s_lshl_b64 s[0:1], s[0:1], 2
	s_wait_alu 0xfffe
	s_add_nc_u64 s[0:1], s[8:9], s[0:1]
	global_store_b32 v5, v0, s[0:1]
	s_endpgm
	.section	.rodata,"a",@progbits
	.p2align	6, 0x0
	.amdhsa_kernel _ZL26flash_attn_combine_resultsILi512EEvPKfPK15HIP_vector_typeIfLj2EEPfi
		.amdhsa_group_segment_fixed_size 0
		.amdhsa_private_segment_fixed_size 0
		.amdhsa_kernarg_size 288
		.amdhsa_user_sgpr_count 2
		.amdhsa_user_sgpr_dispatch_ptr 0
		.amdhsa_user_sgpr_queue_ptr 0
		.amdhsa_user_sgpr_kernarg_segment_ptr 1
		.amdhsa_user_sgpr_dispatch_id 0
		.amdhsa_user_sgpr_private_segment_size 0
		.amdhsa_wavefront_size32 1
		.amdhsa_uses_dynamic_stack 0
		.amdhsa_enable_private_segment 0
		.amdhsa_system_sgpr_workgroup_id_x 1
		.amdhsa_system_sgpr_workgroup_id_y 1
		.amdhsa_system_sgpr_workgroup_id_z 1
		.amdhsa_system_sgpr_workgroup_info 0
		.amdhsa_system_vgpr_workitem_id 0
		.amdhsa_next_free_vgpr 55
		.amdhsa_next_free_sgpr 16
		.amdhsa_reserve_vcc 1
		.amdhsa_float_round_mode_32 0
		.amdhsa_float_round_mode_16_64 0
		.amdhsa_float_denorm_mode_32 3
		.amdhsa_float_denorm_mode_16_64 3
		.amdhsa_fp16_overflow 0
		.amdhsa_workgroup_processor_mode 1
		.amdhsa_memory_ordered 1
		.amdhsa_forward_progress 1
		.amdhsa_inst_pref_size 21
		.amdhsa_round_robin_scheduling 0
		.amdhsa_exception_fp_ieee_invalid_op 0
		.amdhsa_exception_fp_denorm_src 0
		.amdhsa_exception_fp_ieee_div_zero 0
		.amdhsa_exception_fp_ieee_overflow 0
		.amdhsa_exception_fp_ieee_underflow 0
		.amdhsa_exception_fp_ieee_inexact 0
		.amdhsa_exception_int_div_zero 0
	.end_amdhsa_kernel
	.section	.text._ZL26flash_attn_combine_resultsILi512EEvPKfPK15HIP_vector_typeIfLj2EEPfi,"axG",@progbits,_ZL26flash_attn_combine_resultsILi512EEvPKfPK15HIP_vector_typeIfLj2EEPfi,comdat
.Lfunc_end4:
	.size	_ZL26flash_attn_combine_resultsILi512EEvPKfPK15HIP_vector_typeIfLj2EEPfi, .Lfunc_end4-_ZL26flash_attn_combine_resultsILi512EEvPKfPK15HIP_vector_typeIfLj2EEPfi
                                        ; -- End function
	.set _ZL26flash_attn_combine_resultsILi512EEvPKfPK15HIP_vector_typeIfLj2EEPfi.num_vgpr, 55
	.set _ZL26flash_attn_combine_resultsILi512EEvPKfPK15HIP_vector_typeIfLj2EEPfi.num_agpr, 0
	.set _ZL26flash_attn_combine_resultsILi512EEvPKfPK15HIP_vector_typeIfLj2EEPfi.numbered_sgpr, 16
	.set _ZL26flash_attn_combine_resultsILi512EEvPKfPK15HIP_vector_typeIfLj2EEPfi.num_named_barrier, 0
	.set _ZL26flash_attn_combine_resultsILi512EEvPKfPK15HIP_vector_typeIfLj2EEPfi.private_seg_size, 0
	.set _ZL26flash_attn_combine_resultsILi512EEvPKfPK15HIP_vector_typeIfLj2EEPfi.uses_vcc, 1
	.set _ZL26flash_attn_combine_resultsILi512EEvPKfPK15HIP_vector_typeIfLj2EEPfi.uses_flat_scratch, 0
	.set _ZL26flash_attn_combine_resultsILi512EEvPKfPK15HIP_vector_typeIfLj2EEPfi.has_dyn_sized_stack, 0
	.set _ZL26flash_attn_combine_resultsILi512EEvPKfPK15HIP_vector_typeIfLj2EEPfi.has_recursion, 0
	.set _ZL26flash_attn_combine_resultsILi512EEvPKfPK15HIP_vector_typeIfLj2EEPfi.has_indirect_call, 0
	.section	.AMDGPU.csdata,"",@progbits
; Kernel info:
; codeLenInByte = 2564
; TotalNumSgprs: 18
; NumVgprs: 55
; ScratchSize: 0
; MemoryBound: 0
; FloatMode: 240
; IeeeMode: 1
; LDSByteSize: 0 bytes/workgroup (compile time only)
; SGPRBlocks: 0
; VGPRBlocks: 6
; NumSGPRsForWavesPerEU: 18
; NumVGPRsForWavesPerEU: 55
; Occupancy: 16
; WaveLimiterHint : 0
; COMPUTE_PGM_RSRC2:SCRATCH_EN: 0
; COMPUTE_PGM_RSRC2:USER_SGPR: 2
; COMPUTE_PGM_RSRC2:TRAP_HANDLER: 0
; COMPUTE_PGM_RSRC2:TGID_X_EN: 1
; COMPUTE_PGM_RSRC2:TGID_Y_EN: 1
; COMPUTE_PGM_RSRC2:TGID_Z_EN: 1
; COMPUTE_PGM_RSRC2:TIDIG_COMP_CNT: 0
	.section	.text._ZL15flash_attn_tileILi576ELi512ELi1ELi16ELb0EEvPKcS1_S1_S1_S1_PKiPfP15HIP_vector_typeIfLj2EEffffjfiS5_IjLj3EEiiiiiiiiiiiliiliiiiil,"axG",@progbits,_ZL15flash_attn_tileILi576ELi512ELi1ELi16ELb0EEvPKcS1_S1_S1_S1_PKiPfP15HIP_vector_typeIfLj2EEffffjfiS5_IjLj3EEiiiiiiiiiiiliiliiiiil,comdat
	.globl	_ZL15flash_attn_tileILi576ELi512ELi1ELi16ELb0EEvPKcS1_S1_S1_S1_PKiPfP15HIP_vector_typeIfLj2EEffffjfiS5_IjLj3EEiiiiiiiiiiiliiliiiiil ; -- Begin function _ZL15flash_attn_tileILi576ELi512ELi1ELi16ELb0EEvPKcS1_S1_S1_S1_PKiPfP15HIP_vector_typeIfLj2EEffffjfiS5_IjLj3EEiiiiiiiiiiiliiliiiiil
	.p2align	8
	.type	_ZL15flash_attn_tileILi576ELi512ELi1ELi16ELb0EEvPKcS1_S1_S1_S1_PKiPfP15HIP_vector_typeIfLj2EEffffjfiS5_IjLj3EEiiiiiiiiiiiliiliiiiil,@function
_ZL15flash_attn_tileILi576ELi512ELi1ELi16ELb0EEvPKcS1_S1_S1_S1_PKiPfP15HIP_vector_typeIfLj2EEffffjfiS5_IjLj3EEiiiiiiiiiiiliiliiiiil: ; @_ZL15flash_attn_tileILi576ELi512ELi1ELi16ELb0EEvPKcS1_S1_S1_S1_PKiPfP15HIP_vector_typeIfLj2EEffffjfiS5_IjLj3EEiiiiiiiiiiiliiliiiiil
; %bb.0:
	s_clause 0x1
	s_load_b128 s[20:23], s[0:1], 0x5c
	s_load_b64 s[30:31], s[0:1], 0x80
	s_lshr_b32 s5, ttmp7, 16
	s_load_b64 s[36:37], s[0:1], 0xb8
	s_mov_b64 s[34:35], 0
	s_wait_kmcnt 0x0
	s_ashr_i32 s2, s23, 31
	s_delay_alu instid0(SALU_CYCLE_1) | instskip(NEXT) | instid1(SALU_CYCLE_1)
	s_lshr_b32 s2, s2, 28
	s_add_co_i32 s2, s23, s2
	s_delay_alu instid0(SALU_CYCLE_1) | instskip(NEXT) | instid1(SALU_CYCLE_1)
	s_ashr_i32 s2, s2, 4
	s_cvt_f32_u32 s3, s2
	s_sub_co_i32 s4, 0, s2
	s_delay_alu instid0(SALU_CYCLE_2) | instskip(NEXT) | instid1(TRANS32_DEP_1)
	v_rcp_iflag_f32_e32 v1, s3
	v_readfirstlane_b32 s3, v1
	s_mul_f32 s3, s3, 0x4f7ffffe
	s_wait_alu 0xfffe
	s_delay_alu instid0(SALU_CYCLE_2) | instskip(SKIP_1) | instid1(SALU_CYCLE_2)
	s_cvt_u32_f32 s3, s3
	s_wait_alu 0xfffe
	s_mul_i32 s4, s4, s3
	s_delay_alu instid0(SALU_CYCLE_1) | instskip(NEXT) | instid1(SALU_CYCLE_1)
	s_mul_hi_u32 s4, s3, s4
	s_add_co_i32 s3, s3, s4
	s_wait_alu 0xfffe
	s_mul_hi_u32 s3, s5, s3
	s_wait_alu 0xfffe
	s_mul_i32 s4, s3, s2
	s_add_co_i32 s6, s3, 1
	s_sub_co_i32 s4, s5, s4
	s_delay_alu instid0(SALU_CYCLE_1)
	s_sub_co_i32 s7, s4, s2
	s_cmp_ge_u32 s4, s2
	s_cselect_b32 s3, s6, s3
	s_cselect_b32 s4, s7, s4
	s_wait_alu 0xfffe
	s_add_co_i32 s6, s3, 1
	s_cmp_ge_u32 s4, s2
	s_cselect_b32 s28, s6, s3
	s_abs_i32 s2, s31
	s_abs_i32 s7, s23
	s_wait_alu 0xfffe
	s_cvt_f32_u32 s3, s2
	s_sub_co_i32 s4, 0, s2
	s_lshl_b32 s5, s5, 4
	s_mul_i32 s6, s28, s23
	s_wait_alu 0xfffe
	v_rcp_iflag_f32_e32 v1, s3
	s_sub_co_i32 s33, s5, s6
	s_delay_alu instid0(TRANS32_DEP_1) | instskip(SKIP_2) | instid1(SALU_CYCLE_2)
	v_readfirstlane_b32 s3, v1
	s_mul_f32 s3, s3, 0x4f7ffffe
	s_wait_alu 0xfffe
	s_cvt_u32_f32 s3, s3
	s_wait_alu 0xfffe
	s_delay_alu instid0(SALU_CYCLE_2) | instskip(NEXT) | instid1(SALU_CYCLE_1)
	s_mul_i32 s4, s4, s3
	s_mul_hi_u32 s4, s3, s4
	s_delay_alu instid0(SALU_CYCLE_1)
	s_add_co_i32 s3, s3, s4
	s_xor_b32 s4, s23, s31
	s_wait_alu 0xfffe
	s_mul_hi_u32 s3, s7, s3
	s_ashr_i32 s24, s4, 31
	s_wait_alu 0xfffe
	s_mul_i32 s5, s3, s2
	s_delay_alu instid0(SALU_CYCLE_1)
	s_sub_co_i32 s4, s7, s5
	s_add_co_i32 s5, s3, 1
	s_sub_co_i32 s6, s4, s2
	s_cmp_ge_u32 s4, s2
	s_cselect_b32 s3, s5, s3
	s_cselect_b32 s4, s6, s4
	s_wait_alu 0xfffe
	s_add_co_i32 s5, s3, 1
	s_cmp_ge_u32 s4, s2
	s_cselect_b32 s2, s5, s3
	s_load_b512 s[4:19], s[0:1], 0x0
	s_xor_b32 s2, s2, s24
	s_mov_b32 s3, 0
	s_wait_alu 0xfffe
	s_sub_co_i32 s38, s2, s24
	s_delay_alu instid0(SALU_CYCLE_1) | instskip(NEXT) | instid1(SALU_CYCLE_1)
	s_abs_i32 s31, s38
	s_cvt_f32_u32 s2, s31
	s_wait_alu 0xfffe
	s_delay_alu instid0(SALU_CYCLE_2) | instskip(SKIP_2) | instid1(TRANS32_DEP_1)
	v_rcp_iflag_f32_e32 v1, s2
	s_wait_kmcnt 0x0
	s_cmp_eq_u64 s[10:11], 0
	v_readfirstlane_b32 s24, v1
	s_cbranch_scc1 .LBB5_2
; %bb.1:
	s_abs_i32 s2, s36
	s_wait_alu 0xfffe
	s_cvt_f32_u32 s25, s2
	s_sub_co_i32 s26, 0, s2
	s_delay_alu instid0(SALU_CYCLE_2) | instskip(NEXT) | instid1(TRANS32_DEP_1)
	v_rcp_iflag_f32_e32 v1, s25
	v_readfirstlane_b32 s25, v1
	s_mul_f32 s25, s25, 0x4f7ffffe
	s_wait_alu 0xfffe
	s_delay_alu instid0(SALU_CYCLE_2) | instskip(SKIP_1) | instid1(SALU_CYCLE_2)
	s_cvt_u32_f32 s25, s25
	s_wait_alu 0xfffe
	s_mul_i32 s26, s26, s25
	s_delay_alu instid0(SALU_CYCLE_1)
	s_mul_hi_u32 s29, s25, s26
	s_load_b64 s[26:27], s[0:1], 0xc8
	s_add_co_i32 s25, s25, s29
	s_wait_alu 0xfffe
	s_mul_hi_u32 s25, s28, s25
	s_wait_alu 0xfffe
	s_mul_i32 s25, s25, s2
	s_wait_alu 0xfffe
	s_sub_co_i32 s25, s28, s25
	s_wait_alu 0xfffe
	s_sub_co_i32 s29, s25, s2
	s_cmp_ge_u32 s25, s2
	s_cselect_b32 s25, s29, s25
	s_wait_alu 0xfffe
	s_sub_co_i32 s29, s25, s2
	s_cmp_ge_u32 s25, s2
	s_cselect_b32 s34, s29, s25
	s_delay_alu instid0(SALU_CYCLE_1) | instskip(SKIP_2) | instid1(SALU_CYCLE_1)
	s_ashr_i32 s35, s34, 31
	s_wait_kmcnt 0x0
	s_mul_u64 s[26:27], s[26:27], s[34:35]
	s_add_nc_u64 s[34:35], s[10:11], s[26:27]
.LBB5_2:
	v_lshrrev_b32_e32 v1, 10, v0
	s_load_b96 s[40:42], s[0:1], 0x70
	v_bfe_u32 v4, v0, 10, 10
	v_and_b32_e32 v0, 0x3ff, v0
	s_delay_alu instid0(VALU_DEP_3) | instskip(NEXT) | instid1(VALU_DEP_3)
	v_bfe_u32 v1, v1, 3, 7
	v_lshlrev_b32_e32 v7, 1, v4
	v_mul_u32_u24_e32 v31, 0x900, v4
	s_delay_alu instid0(VALU_DEP_3) | instskip(NEXT) | instid1(VALU_DEP_3)
	v_add_nc_u32_e32 v1, ttmp9, v1
	v_and_b32_e32 v30, 14, v7
	s_delay_alu instid0(VALU_DEP_2) | instskip(SKIP_3) | instid1(VALU_DEP_1)
	v_mul_hi_u32 v2, s20, v1
	s_wait_kmcnt 0x0
	s_mul_i32 s20, s33, s41
	s_ashr_i32 s27, s41, 31
	v_add_nc_u32_e32 v2, v1, v2
	s_mov_b32 s26, s41
	s_ashr_i32 s41, s40, 31
	s_delay_alu instid0(SALU_CYCLE_1) | instskip(NEXT) | instid1(VALU_DEP_1)
	s_lshr_b64 s[10:11], s[40:41], 2
	v_lshrrev_b32_e32 v2, s21, v2
	s_lshr_b32 s2, s41, 2
	s_wait_alu 0xfffe
	s_ashr_i32 s21, s20, 31
	s_delay_alu instid0(VALU_DEP_1) | instskip(NEXT) | instid1(VALU_DEP_1)
	v_mul_lo_u32 v2, v2, s22
	v_sub_nc_u32_e32 v5, v1, v2
	s_delay_alu instid0(VALU_DEP_1)
	v_mad_co_u64_u32 v[2:3], null, s10, v5, 0
	s_lshr_b64 s[10:11], s[26:27], 2
	s_mul_i32 s26, s28, s42
	s_wait_alu 0xfffe
	v_mad_co_u64_u32 v[8:9], null, s10, v30, 0
	v_mad_co_u64_u32 v[10:11], null, s2, v5, v[3:4]
	s_lshr_b32 s2, s27, 2
	s_ashr_i32 s27, s26, 31
	v_mov_b32_e32 v6, v9
	s_add_nc_u64 s[4:5], s[4:5], s[26:27]
	s_delay_alu instid0(SALU_CYCLE_1) | instskip(SKIP_4) | instid1(VALU_DEP_3)
	s_add_nc_u64 s[4:5], s[4:5], s[20:21]
	v_mov_b32_e32 v3, v10
	s_wait_alu 0xfffe
	v_mad_co_u64_u32 v[9:10], null, s2, v30, v[6:7]
	v_lshlrev_b32_e32 v6, 4, v0
	v_lshlrev_b64_e32 v[2:3], 2, v[2:3]
	s_delay_alu instid0(VALU_DEP_1) | instskip(NEXT) | instid1(VALU_DEP_1)
	v_add_co_u32 v10, vcc_lo, s4, v2
	v_add_co_ci_u32_e64 v11, null, s5, v3, vcc_lo
	v_lshlrev_b64_e32 v[2:3], 2, v[8:9]
	s_delay_alu instid0(VALU_DEP_3) | instskip(SKIP_1) | instid1(VALU_DEP_3)
	v_add_co_u32 v8, vcc_lo, v10, v6
	s_wait_alu 0xfffd
	v_add_co_ci_u32_e64 v9, null, 0, v11, vcc_lo
	s_load_b32 s4, s[0:1], 0x40
	v_add_co_u32 v2, vcc_lo, v8, v2
	s_wait_alu 0xfffd
	v_add_co_ci_u32_e64 v3, null, v9, v3, vcc_lo
	v_lshlrev_b32_e32 v6, 3, v0
	v_cmp_gt_u32_e32 vcc_lo, 16, v0
	s_clause 0x3
	global_load_b128 v[10:13], v[2:3], off
	global_load_b128 v[14:17], v[2:3], off offset:512
	global_load_b128 v[18:21], v[2:3], off offset:1024
	;; [unrolled: 1-line block ×3, first 2 shown]
	v_mad_u32_u24 v26, 0x900, v4, v6
	s_wait_loadcnt 0x3
	s_wait_kmcnt 0x0
	v_fma_mixlo_f16 v10, s4, v10, 0
	v_fma_mixlo_f16 v11, s4, v11, 0
	;; [unrolled: 1-line block ×4, first 2 shown]
	s_wait_loadcnt 0x2
	v_fma_mixlo_f16 v14, s4, v14, 0
	v_fma_mixlo_f16 v15, s4, v15, 0
	;; [unrolled: 1-line block ×4, first 2 shown]
	s_wait_loadcnt 0x1
	v_fma_mixlo_f16 v18, s4, v18, 0
	v_fma_mixlo_f16 v19, s4, v19, 0
	s_wait_loadcnt 0x0
	v_fma_mixlo_f16 v22, s4, v22, 0
	v_fma_mixlo_f16 v23, s4, v23, 0
	v_lshlrev_b32_e32 v11, 16, v11
	v_and_b32_e32 v10, 0xffff, v10
	v_lshlrev_b32_e32 v13, 16, v13
	v_and_b32_e32 v12, 0xffff, v12
	;; [unrolled: 2-line block ×3, first 2 shown]
	v_fma_mixlo_f16 v20, s4, v20, 0
	v_fma_mixlo_f16 v21, s4, v21, 0
	;; [unrolled: 1-line block ×4, first 2 shown]
	v_lshlrev_b32_e32 v17, 16, v17
	v_and_b32_e32 v16, 0xffff, v16
	v_lshlrev_b32_e32 v19, 16, v19
	v_and_b32_e32 v18, 0xffff, v18
	;; [unrolled: 2-line block ×3, first 2 shown]
	v_or_b32_e32 v10, v11, v10
	v_or3_b32 v11, v13, v12, 0
	v_or_b32_e32 v12, v15, v14
	v_lshlrev_b32_e32 v21, 16, v21
	v_and_b32_e32 v20, 0xffff, v20
	v_lshlrev_b32_e32 v25, 16, v25
	v_and_b32_e32 v24, 0xffff, v24
	v_or3_b32 v13, v17, v16, 0
	v_or_b32_e32 v14, v19, v18
	v_or_b32_e32 v16, v23, v22
	v_or3_b32 v10, 0, 0, v10
	v_or3_b32 v12, 0, 0, v12
	;; [unrolled: 1-line block ×6, first 2 shown]
	ds_store_2addr_b64 v26, v[10:11], v[12:13] offset1:32
	ds_store_2addr_b64 v26, v[14:15], v[16:17] offset0:64 offset1:96
	s_and_saveexec_b32 s2, vcc_lo
	s_cbranch_execz .LBB5_4
; %bb.3:
	global_load_b128 v[10:13], v[2:3], off offset:2048
	s_wait_loadcnt 0x0
	v_fma_mixlo_f16 v2, s4, v11, 0
	v_fma_mixlo_f16 v3, s4, v10, 0
	;; [unrolled: 1-line block ×4, first 2 shown]
	s_delay_alu instid0(VALU_DEP_4) | instskip(NEXT) | instid1(VALU_DEP_4)
	v_lshlrev_b32_e32 v2, 16, v2
	v_and_b32_e32 v3, 0xffff, v3
	s_delay_alu instid0(VALU_DEP_4) | instskip(NEXT) | instid1(VALU_DEP_4)
	v_and_b32_e32 v10, 0xffff, v10
	v_lshlrev_b32_e32 v11, 16, v11
	s_delay_alu instid0(VALU_DEP_3) | instskip(NEXT) | instid1(VALU_DEP_2)
	v_or_b32_e32 v2, v2, v3
	v_or3_b32 v3, v11, v10, 0
	v_add_nc_u32_e32 v10, v6, v31
	s_delay_alu instid0(VALU_DEP_3)
	v_or3_b32 v2, 0, 0, v2
	ds_store_b64 v10, v[2:3] offset:1024
.LBB5_4:
	s_wait_alu 0xfffe
	s_or_b32 exec_lo, exec_lo, s2
	v_or_b32_e32 v7, 1, v7
	s_delay_alu instid0(VALU_DEP_1) | instskip(SKIP_1) | instid1(VALU_DEP_2)
	v_and_b32_e32 v10, 15, v7
	v_mad_u32_u24 v24, 0x480, v7, v6
	v_mad_co_u64_u32 v[2:3], null, s10, v10, 0
	s_delay_alu instid0(VALU_DEP_1) | instskip(NEXT) | instid1(VALU_DEP_1)
	v_mad_co_u64_u32 v[10:11], null, s11, v10, v[3:4]
	v_mov_b32_e32 v3, v10
	s_delay_alu instid0(VALU_DEP_1) | instskip(NEXT) | instid1(VALU_DEP_1)
	v_lshlrev_b64_e32 v[2:3], 2, v[2:3]
	v_add_co_u32 v2, s2, v8, v2
	s_wait_alu 0xf1ff
	s_delay_alu instid0(VALU_DEP_2)
	v_add_co_ci_u32_e64 v3, null, v9, v3, s2
	s_clause 0x3
	global_load_b128 v[8:11], v[2:3], off
	global_load_b128 v[12:15], v[2:3], off offset:512
	global_load_b128 v[16:19], v[2:3], off offset:1024
	;; [unrolled: 1-line block ×3, first 2 shown]
	s_wait_loadcnt 0x3
	v_fma_mixlo_f16 v8, s4, v8, 0
	v_fma_mixlo_f16 v9, s4, v9, 0
	;; [unrolled: 1-line block ×4, first 2 shown]
	s_wait_loadcnt 0x2
	v_fma_mixlo_f16 v12, s4, v12, 0
	v_fma_mixlo_f16 v13, s4, v13, 0
	;; [unrolled: 1-line block ×4, first 2 shown]
	s_wait_loadcnt 0x1
	v_fma_mixlo_f16 v16, s4, v16, 0
	v_fma_mixlo_f16 v17, s4, v17, 0
	s_wait_loadcnt 0x0
	v_fma_mixlo_f16 v20, s4, v20, 0
	v_fma_mixlo_f16 v21, s4, v21, 0
	v_lshlrev_b32_e32 v9, 16, v9
	v_and_b32_e32 v8, 0xffff, v8
	v_lshlrev_b32_e32 v11, 16, v11
	v_and_b32_e32 v10, 0xffff, v10
	;; [unrolled: 2-line block ×3, first 2 shown]
	v_fma_mixlo_f16 v18, s4, v18, 0
	v_fma_mixlo_f16 v19, s4, v19, 0
	;; [unrolled: 1-line block ×4, first 2 shown]
	v_lshlrev_b32_e32 v15, 16, v15
	v_and_b32_e32 v14, 0xffff, v14
	v_lshlrev_b32_e32 v17, 16, v17
	v_and_b32_e32 v16, 0xffff, v16
	;; [unrolled: 2-line block ×3, first 2 shown]
	v_or_b32_e32 v8, v9, v8
	v_or3_b32 v9, v11, v10, 0
	v_or_b32_e32 v10, v13, v12
	v_lshlrev_b32_e32 v19, 16, v19
	v_and_b32_e32 v18, 0xffff, v18
	v_lshlrev_b32_e32 v23, 16, v23
	v_and_b32_e32 v22, 0xffff, v22
	v_or3_b32 v11, v15, v14, 0
	v_or_b32_e32 v12, v17, v16
	v_or_b32_e32 v14, v21, v20
	v_or3_b32 v8, 0, 0, v8
	v_or3_b32 v10, 0, 0, v10
	;; [unrolled: 1-line block ×6, first 2 shown]
	ds_store_2addr_b64 v24, v[8:9], v[10:11] offset1:32
	ds_store_2addr_b64 v24, v[12:13], v[14:15] offset0:64 offset1:96
	s_and_saveexec_b32 s2, vcc_lo
	s_cbranch_execz .LBB5_6
; %bb.5:
	global_load_b128 v[8:11], v[2:3], off offset:2048
	v_mul_u32_u24_e32 v7, 0x480, v7
	s_delay_alu instid0(VALU_DEP_1)
	v_add_nc_u32_e32 v7, v6, v7
	s_wait_loadcnt 0x0
	v_fma_mixlo_f16 v2, s4, v9, 0
	v_fma_mixlo_f16 v3, s4, v8, 0
	v_fma_mixlo_f16 v8, s4, v10, 0
	v_fma_mixlo_f16 v9, s4, v11, 0
	s_delay_alu instid0(VALU_DEP_4) | instskip(NEXT) | instid1(VALU_DEP_4)
	v_lshlrev_b32_e32 v2, 16, v2
	v_and_b32_e32 v3, 0xffff, v3
	s_delay_alu instid0(VALU_DEP_4) | instskip(NEXT) | instid1(VALU_DEP_4)
	v_and_b32_e32 v8, 0xffff, v8
	v_lshlrev_b32_e32 v9, 16, v9
	s_delay_alu instid0(VALU_DEP_3) | instskip(NEXT) | instid1(VALU_DEP_2)
	v_or_b32_e32 v2, v2, v3
	v_or3_b32 v3, v9, v8, 0
	s_delay_alu instid0(VALU_DEP_2)
	v_or3_b32 v2, 0, 0, v2
	ds_store_b64 v7, v[2:3] offset:1024
.LBB5_6:
	s_wait_alu 0xfffe
	s_or_b32 exec_lo, exec_lo, s2
	s_cmp_eq_u64 s[14:15], 0
	s_wait_dscnt 0x0
	s_barrier_signal -1
	s_barrier_wait -1
	global_inv scope:SCOPE_SE
	s_cbranch_scc1 .LBB5_8
; %bb.7:
	s_load_b32 s2, s[0:1], 0xd0
	s_mov_b32 s5, 0
	s_wait_kmcnt 0x0
	s_mul_i32 s2, s2, s28
	s_wait_alu 0xfffe
	s_add_co_i32 s4, s2, ttmp9
	s_wait_alu 0xfffe
	s_lshl_b64 s[4:5], s[4:5], 2
	s_wait_alu 0xfffe
	s_add_nc_u64 s[4:5], s[14:15], s[4:5]
	s_load_b32 s30, s[4:5], 0x0
.LBB5_8:
	s_and_b32 s10, ttmp7, 0xffff
	v_lshlrev_b32_e32 v29, 2, v0
	v_mbcnt_lo_u32_b32 v32, -1, 0
	s_wait_alu 0xfffe
	s_lshl_b32 s14, s10, 6
	s_wait_kmcnt 0x0
	s_cmp_lt_i32 s14, s30
	s_cbranch_scc1 .LBB5_11
; %bb.9:
	v_mbcnt_lo_u32_b32 v3, -1, 0
	v_mov_b32_e32 v2, 32
	s_delay_alu instid0(VALU_DEP_2)
	v_xor_b32_e32 v37, 16, v3
	v_xor_b32_e32 v36, 8, v3
	;; [unrolled: 1-line block ×5, first 2 shown]
	s_mov_b32 s29, 0
	s_cbranch_execz .LBB5_12
; %bb.10:
	v_dual_mov_b32 v63, 0 :: v_dual_mov_b32 v12, 0xfeffffff
	v_dual_mov_b32 v23, 0 :: v_dual_mov_b32 v24, 0
	;; [unrolled: 1-line block ×10, first 2 shown]
	s_branch .LBB5_15
.LBB5_11:
                                        ; implicit-def: $vgpr3
                                        ; implicit-def: $vgpr2
                                        ; implicit-def: $vgpr37
                                        ; implicit-def: $vgpr36
                                        ; implicit-def: $vgpr35
                                        ; implicit-def: $vgpr34
                                        ; implicit-def: $vgpr33
	s_mov_b32 s29, 0
.LBB5_12:
	s_mul_f32 s2, s24, 0x4f7ffffe
	s_clause 0x1
	s_load_b128 s[24:27], s[0:1], 0x98
	s_load_b64 s[4:5], s[0:1], 0x8c
	s_sub_co_i32 s15, 0, s31
	v_lshrrev_b32_e32 v2, 3, v0
	s_cvt_u32_f32 s11, s2
	v_dual_mov_b32 v52, 0 :: v_dual_and_b32 v13, 28, v29
	s_abs_i32 s2, s33
	s_wait_alu 0xfffe
	s_mul_i32 s15, s15, s11
	s_mov_b32 s21, s3
	s_mul_hi_u32 s15, s11, s15
	s_ashr_i32 s40, s38, 31
	s_add_co_i32 s20, s11, s15
	s_load_b64 s[38:39], s[0:1], 0xa8
	s_mul_u64 s[20:21], s[2:3], s[20:21]
	v_lshl_add_u32 v2, v4, 2, v2
	s_wait_alu 0xfffe
	s_mul_i32 s3, s21, s31
	v_dual_mov_b32 v56, 0 :: v_dual_lshlrev_b32 v3, 2, v13
	s_ashr_i32 s36, s33, 31
	s_wait_alu 0xfffe
	s_sub_co_i32 s2, s2, s3
	s_wait_kmcnt 0x0
	s_ashr_i32 s20, s26, 2
	s_ashr_i32 s26, s4, 2
	;; [unrolled: 1-line block ×3, first 2 shown]
	s_xor_b32 s15, s36, s40
	s_add_co_i32 s36, s21, 1
	s_wait_alu 0xfffe
	s_sub_co_i32 s3, s2, s31
	s_cmp_ge_u32 s2, s31
	v_mul_lo_u32 v7, s26, v2
	v_mad_u32_u24 v10, 0x90, v2, v3
	v_mul_lo_u32 v2, s20, v4
	s_cselect_b32 s4, s36, s21
	s_wait_alu 0xfffe
	s_cselect_b32 s2, s3, s2
	s_add_co_i32 s3, s4, 1
	s_wait_alu 0xfffe
	s_cmp_ge_u32 s2, s31
	v_lshlrev_b32_e32 v14, 2, v29
	s_cselect_b32 s4, s3, s4
	s_mul_u64 s[2:3], s[24:25], s[28:29]
	v_ashrrev_i32_e32 v3, 31, v2
	s_wait_alu 0xfffe
	s_xor_b32 s4, s4, s15
	s_mul_u64 s[24:25], s[38:39], s[28:29]
	s_wait_alu 0xfffe
	s_sub_co_i32 s15, s4, s15
	s_add_nc_u64 s[2:3], s[6:7], s[2:3]
	s_mul_i32 s4, s15, s5
	s_add_nc_u64 s[6:7], s[8:9], s[24:25]
	s_mul_i32 s24, s15, s27
	v_lshlrev_b64_e32 v[11:12], 2, v[2:3]
	s_wait_alu 0xfffe
	s_ashr_i32 s5, s4, 31
	s_ashr_i32 s25, s24, 31
	v_lshl_add_u32 v9, s26, 5, v7
	s_wait_alu 0xfffe
	s_add_nc_u64 s[8:9], s[2:3], s[4:5]
	s_add_nc_u64 s[2:3], s[6:7], s[24:25]
	v_mad_co_u64_u32 v[2:3], null, v5, s11, v[0:1]
	s_wait_alu 0xfffe
	v_add_co_u32 v3, vcc_lo, s2, v11
	v_dual_mov_b32 v53, 0 :: v_dual_add_nc_u32 v38, 0x4800, v10
	v_ashrrev_i32_e32 v8, 31, v7
	v_dual_mov_b32 v54, 0 :: v_dual_add_nc_u32 v39, 0x5a00, v10
	v_ashrrev_i32_e32 v10, 31, v9
	v_lshl_add_u32 v41, v4, 8, 0x6c00
	v_mov_b32_e32 v11, 0xfeffffff
	v_lshl_add_u32 v15, v4, 10, v14
	s_wait_alu 0xfffd
	v_add_co_ci_u32_e64 v4, null, s3, v12, vcc_lo
	v_dual_mov_b32 v59, 0 :: v_dual_add_nc_u32 v44, 0x4800, v6
	v_add_co_u32 v45, vcc_lo, v3, v14
	s_movk_i32 s4, 0x4800
	s_wait_alu 0xfffd
	v_add_co_ci_u32_e64 v46, null, 0, v4, vcc_lo
	v_lshlrev_b64_e32 v[3:4], 2, v[7:8]
	v_lshlrev_b64_e32 v[5:6], 2, v[9:10]
	s_wait_alu 0xfffe
	v_mad_u32_u24 v40, 0x90, v0, s4
	v_dual_mov_b32 v57, 0 :: v_dual_add_nc_u32 v42, 0x4800, v15
	v_dual_mov_b32 v58, 0 :: v_dual_add_nc_u32 v43, 0x4a00, v15
	v_dual_mov_b32 v60, 0 :: v_dual_lshlrev_b32 v47, 2, v13
	v_xor_b32_e32 v37, 16, v32
	v_xor_b32_e32 v36, 8, v32
	v_xor_b32_e32 v35, 4, v32
	v_xor_b32_e32 v34, 2, v32
	v_xor_b32_e32 v33, 1, v32
	v_dual_mov_b32 v55, 0 :: v_dual_add_nc_u32 v48, v41, v29
	v_dual_mov_b32 v64, 0 :: v_dual_add_nc_u32 v49, 0x800, v44
	;; [unrolled: 1-line block ×4, first 2 shown]
	v_dual_mov_b32 v66, 0 :: v_dual_mov_b32 v65, 0
	v_dual_mov_b32 v67, 0 :: v_dual_mov_b32 v12, 0xfeffffff
	;; [unrolled: 1-line block ×3, first 2 shown]
	v_mov_b32_e32 v23, 0
	s_ashr_i32 s27, s26, 31
	s_ashr_i32 s21, s20, 31
	s_add_nc_u64 s[24:25], s[0:1], 0xd0
.LBB5_13:                               ; =>This Inner Loop Header: Depth=1
	v_cmp_gt_i32_e32 vcc_lo, 32, v37
	v_dual_mov_b32 v70, v11 :: v_dual_mov_b32 v71, 0
	s_ashr_i32 s15, s14, 31
	v_dual_mov_b32 v68, v24 :: v_dual_mov_b32 v69, v12
	s_wait_alu 0xfffd
	v_dual_cndmask_b32 v8, v32, v37 :: v_dual_mov_b32 v75, v23
	v_cmp_gt_i32_e32 vcc_lo, 32, v36
	s_wait_alu 0xfffe
	s_mul_u64 s[44:45], s[14:15], s[26:27]
	s_mul_u64 s[46:47], s[14:15], s[20:21]
	s_or_b32 s2, s14, 8
	s_wait_alu 0xfffe
	s_lshl_b64 s[44:45], s[44:45], 2
	s_wait_alu 0xfffd
	v_cndmask_b32_e32 v9, v32, v36, vcc_lo
	v_cmp_gt_i32_e32 vcc_lo, 32, v35
	s_lshl_b64 s[46:47], s[46:47], 2
	s_or_b32 s4, s14, 16
	s_ashr_i32 s3, s2, 31
	s_wait_alu 0xfffe
	s_add_nc_u64 s[44:45], s[8:9], s[44:45]
	s_wait_alu 0xfffd
	v_cndmask_b32_e32 v10, v32, v35, vcc_lo
	v_cmp_gt_i32_e32 vcc_lo, 32, v34
	v_lshlrev_b32_e32 v80, 2, v8
	s_or_b32 s6, s14, 24
	s_ashr_i32 s5, s4, 31
	s_mul_u64 s[2:3], s[2:3], s[20:21]
	s_wait_alu 0xfffd
	v_cndmask_b32_e32 v11, v32, v34, vcc_lo
	v_cmp_gt_i32_e32 vcc_lo, 32, v33
	s_or_b32 s36, s14, 32
	s_wait_alu 0xfffe
	s_ashr_i32 s7, s6, 31
	s_mul_u64 s[4:5], s[4:5], s[20:21]
	s_wait_alu 0xfffd
	v_dual_cndmask_b32 v12, v32, v33 :: v_dual_lshlrev_b32 v77, 2, v11
	v_add_co_u32 v11, vcc_lo, v45, s46
	s_lshl_b64 s[2:3], s[2:3], 2
	s_or_b32 s38, s14, 40
	v_lshlrev_b32_e32 v76, 2, v12
	s_wait_alu 0xfffd
	v_add_co_ci_u32_e64 v12, null, s47, v46, vcc_lo
	v_add_co_u32 v25, vcc_lo, s44, v3
	s_wait_alu 0xfffd
	v_add_co_ci_u32_e64 v26, null, s45, v4, vcc_lo
	v_add_co_u32 v27, vcc_lo, s44, v5
	s_ashr_i32 s37, s36, 31
	s_wait_alu 0xfffe
	s_mul_u64 s[6:7], s[6:7], s[20:21]
	s_lshl_b64 s[4:5], s[4:5], 2
	s_wait_alu 0xfffd
	v_add_co_ci_u32_e64 v28, null, s45, v6, vcc_lo
	v_add_co_u32 v21, vcc_lo, v45, s2
	v_dual_mov_b32 v74, 0 :: v_dual_add_nc_u32 v7, s14, v2
	s_or_b32 s40, s14, 48
	s_ashr_i32 s39, s38, 31
	s_mul_u64 s[36:37], s[36:37], s[20:21]
	s_wait_alu 0xfffe
	s_lshl_b64 s[6:7], s[6:7], 2
	s_wait_alu 0xfffd
	v_add_co_ci_u32_e64 v22, null, s3, v46, vcc_lo
	v_add_co_u32 v19, vcc_lo, v45, s4
	s_or_b32 s42, s14, 56
	s_ashr_i32 s41, s40, 31
	s_mul_u64 s[38:39], s[38:39], s[20:21]
	s_lshl_b64 s[36:37], s[36:37], 2
	s_wait_alu 0xfffd
	v_add_co_ci_u32_e64 v20, null, s5, v46, vcc_lo
	s_wait_alu 0xfffe
	v_add_co_u32 v17, vcc_lo, v45, s6
	s_ashr_i32 s43, s42, 31
	s_mul_u64 s[40:41], s[40:41], s[20:21]
	s_lshl_b64 s[38:39], s[38:39], 2
	s_wait_alu 0xfffd
	v_add_co_ci_u32_e64 v18, null, s7, v46, vcc_lo
	v_add_co_u32 v15, vcc_lo, v45, s36
	v_ashrrev_i32_e32 v8, 31, v7
	s_wait_alu 0xfffe
	s_mul_u64 s[42:43], s[42:43], s[20:21]
	s_lshl_b64 s[40:41], s[40:41], 2
	s_wait_alu 0xfffd
	v_add_co_ci_u32_e64 v16, null, s37, v46, vcc_lo
	v_add_co_u32 v13, vcc_lo, v45, s38
	v_lshlrev_b32_e32 v78, 2, v10
	v_lshlrev_b32_e32 v79, 2, v9
	s_wait_alu 0xfffe
	s_lshl_b64 s[42:43], s[42:43], 2
	s_wait_alu 0xfffd
	v_add_co_ci_u32_e64 v14, null, s39, v46, vcc_lo
	v_add_co_u32 v9, vcc_lo, v45, s40
	v_lshlrev_b64_e32 v[23:24], 1, v[7:8]
	s_wait_alu 0xfffd
	v_add_co_ci_u32_e64 v10, null, s41, v46, vcc_lo
	s_wait_alu 0xfffe
	v_add_co_u32 v7, vcc_lo, v45, s42
	s_wait_alu 0xfffd
	v_add_co_ci_u32_e64 v8, null, s43, v46, vcc_lo
	v_add_co_u32 v25, vcc_lo, v25, v47
	s_wait_alu 0xfffd
	v_add_co_ci_u32_e64 v26, null, 0, v26, vcc_lo
	;; [unrolled: 3-line block ×3, first 2 shown]
	s_clause 0x1
	global_load_b128 v[81:84], v[25:26], off
	global_load_b128 v[85:88], v[27:28], off
	v_dual_mov_b32 v72, 0 :: v_dual_mov_b32 v73, 0
	v_add_co_u32 v23, vcc_lo, s34, v23
	s_wait_alu 0xfffd
	v_add_co_ci_u32_e64 v24, null, s35, v24, vcc_lo
	s_wait_loadcnt 0x1
	ds_store_b128 v38, v[81:84]
	s_wait_loadcnt 0x0
	ds_store_b128 v39, v[85:88]
	s_wait_dscnt 0x0
	s_barrier_signal -1
	s_barrier_wait -1
	global_inv scope:SCOPE_SE
	ds_load_b128 v[81:84], v40
	ds_load_b128 v[85:88], v31
	ds_load_b128 v[89:92], v31 offset:1152
	ds_load_b128 v[93:96], v40 offset:4608
	s_wait_dscnt 0x2
	;;#ASMSTART
	v_dot2_f32_f16 v71, v81, v85, v71
	;;#ASMEND
	;;#ASMSTART
	v_dot2_f32_f16 v71, v82, v86, v71
	;;#ASMEND
	;;#ASMSTART
	v_dot2_f32_f16 v71, v83, v87, v71
	;;#ASMEND
	;;#ASMSTART
	v_dot2_f32_f16 v71, v84, v88, v71
	;;#ASMEND
	s_wait_dscnt 0x1
	;;#ASMSTART
	v_dot2_f32_f16 v72, v81, v89, v72
	;;#ASMEND
	;;#ASMSTART
	v_dot2_f32_f16 v72, v82, v90, v72
	;;#ASMEND
	;;#ASMSTART
	v_dot2_f32_f16 v72, v83, v91, v72
	;;#ASMEND
	;;#ASMSTART
	v_dot2_f32_f16 v72, v84, v92, v72
	;;#ASMEND
	s_wait_dscnt 0x0
	;;#ASMSTART
	v_dot2_f32_f16 v73, v93, v85, v73
	;;#ASMEND
	;;#ASMSTART
	v_dot2_f32_f16 v73, v94, v86, v73
	;;#ASMEND
	;;#ASMSTART
	v_dot2_f32_f16 v73, v95, v87, v73
	;;#ASMEND
	;;#ASMSTART
	v_dot2_f32_f16 v73, v96, v88, v73
	;;#ASMEND
	;;#ASMSTART
	v_dot2_f32_f16 v74, v93, v89, v74
	;;#ASMEND
	;;#ASMSTART
	v_dot2_f32_f16 v74, v94, v90, v74
	;;#ASMEND
	;;#ASMSTART
	v_dot2_f32_f16 v74, v95, v91, v74
	;;#ASMEND
	;;#ASMSTART
	v_dot2_f32_f16 v74, v96, v92, v74
	;;#ASMEND
	ds_load_b128 v[81:84], v40 offset:16
	ds_load_b128 v[85:88], v31 offset:16
	ds_load_b128 v[89:92], v31 offset:1168
	ds_load_b128 v[93:96], v40 offset:4624
	s_wait_dscnt 0x2
	;;#ASMSTART
	v_dot2_f32_f16 v71, v81, v85, v71
	;;#ASMEND
	;;#ASMSTART
	v_dot2_f32_f16 v71, v82, v86, v71
	;;#ASMEND
	;;#ASMSTART
	v_dot2_f32_f16 v71, v83, v87, v71
	;;#ASMEND
	;;#ASMSTART
	v_dot2_f32_f16 v71, v84, v88, v71
	;;#ASMEND
	s_wait_dscnt 0x1
	;;#ASMSTART
	v_dot2_f32_f16 v72, v81, v89, v72
	;;#ASMEND
	;;#ASMSTART
	v_dot2_f32_f16 v72, v82, v90, v72
	;;#ASMEND
	;;#ASMSTART
	v_dot2_f32_f16 v72, v83, v91, v72
	;;#ASMEND
	;;#ASMSTART
	v_dot2_f32_f16 v72, v84, v92, v72
	;;#ASMEND
	s_wait_dscnt 0x0
	;;#ASMSTART
	v_dot2_f32_f16 v73, v93, v85, v73
	;;#ASMEND
	;;#ASMSTART
	v_dot2_f32_f16 v73, v94, v86, v73
	;;#ASMEND
	;;#ASMSTART
	v_dot2_f32_f16 v73, v95, v87, v73
	;;#ASMEND
	;;#ASMSTART
	v_dot2_f32_f16 v73, v96, v88, v73
	;;#ASMEND
	;;#ASMSTART
	v_dot2_f32_f16 v74, v93, v89, v74
	;;#ASMEND
	;;#ASMSTART
	v_dot2_f32_f16 v74, v94, v90, v74
	;;#ASMEND
	;;#ASMSTART
	v_dot2_f32_f16 v74, v95, v91, v74
	;;#ASMEND
	;;#ASMSTART
	v_dot2_f32_f16 v74, v96, v92, v74
	;;#ASMEND
	ds_load_b128 v[81:84], v40 offset:32
	ds_load_b128 v[85:88], v31 offset:32
	;; [unrolled: 55-line block ×7, first 2 shown]
	ds_load_b128 v[89:92], v31 offset:1264
	ds_load_b128 v[93:96], v40 offset:4720
	s_wait_dscnt 0x2
	;;#ASMSTART
	v_dot2_f32_f16 v71, v81, v85, v71
	;;#ASMEND
	;;#ASMSTART
	v_dot2_f32_f16 v71, v82, v86, v71
	;;#ASMEND
	;;#ASMSTART
	v_dot2_f32_f16 v71, v83, v87, v71
	;;#ASMEND
	;;#ASMSTART
	v_dot2_f32_f16 v71, v84, v88, v71
	;;#ASMEND
	s_wait_dscnt 0x1
	;;#ASMSTART
	v_dot2_f32_f16 v72, v81, v89, v72
	;;#ASMEND
	;;#ASMSTART
	v_dot2_f32_f16 v72, v82, v90, v72
	;;#ASMEND
	;;#ASMSTART
	v_dot2_f32_f16 v72, v83, v91, v72
	;;#ASMEND
	;;#ASMSTART
	v_dot2_f32_f16 v72, v84, v92, v72
	;;#ASMEND
	;; [unrolled: 13-line block ×3, first 2 shown]
	;;#ASMSTART
	v_dot2_f32_f16 v74, v93, v89, v74
	;;#ASMEND
	;;#ASMSTART
	v_dot2_f32_f16 v74, v94, v90, v74
	;;#ASMEND
	;; [unrolled: 3-line block ×4, first 2 shown]
	s_wait_loadcnt 0x0
	s_barrier_signal -1
	s_barrier_wait -1
	global_inv scope:SCOPE_SE
	s_clause 0x1
	global_load_b128 v[81:84], v[25:26], off offset:128
	global_load_b128 v[85:88], v[27:28], off offset:128
	s_wait_loadcnt 0x1
	ds_store_b128 v38, v[81:84]
	s_wait_loadcnt 0x0
	ds_store_b128 v39, v[85:88]
	s_wait_dscnt 0x0
	s_barrier_signal -1
	s_barrier_wait -1
	global_inv scope:SCOPE_SE
	ds_load_b128 v[81:84], v40
	ds_load_b128 v[85:88], v31 offset:128
	ds_load_b128 v[89:92], v31 offset:1280
	ds_load_b128 v[93:96], v40 offset:4608
	s_wait_dscnt 0x2
	;;#ASMSTART
	v_dot2_f32_f16 v71, v81, v85, v71
	;;#ASMEND
	;;#ASMSTART
	v_dot2_f32_f16 v71, v82, v86, v71
	;;#ASMEND
	;;#ASMSTART
	v_dot2_f32_f16 v71, v83, v87, v71
	;;#ASMEND
	;;#ASMSTART
	v_dot2_f32_f16 v71, v84, v88, v71
	;;#ASMEND
	s_wait_dscnt 0x1
	;;#ASMSTART
	v_dot2_f32_f16 v72, v81, v89, v72
	;;#ASMEND
	;;#ASMSTART
	v_dot2_f32_f16 v72, v82, v90, v72
	;;#ASMEND
	;;#ASMSTART
	v_dot2_f32_f16 v72, v83, v91, v72
	;;#ASMEND
	;;#ASMSTART
	v_dot2_f32_f16 v72, v84, v92, v72
	;;#ASMEND
	s_wait_dscnt 0x0
	;;#ASMSTART
	v_dot2_f32_f16 v73, v93, v85, v73
	;;#ASMEND
	;;#ASMSTART
	v_dot2_f32_f16 v73, v94, v86, v73
	;;#ASMEND
	;;#ASMSTART
	v_dot2_f32_f16 v73, v95, v87, v73
	;;#ASMEND
	;;#ASMSTART
	v_dot2_f32_f16 v73, v96, v88, v73
	;;#ASMEND
	;;#ASMSTART
	v_dot2_f32_f16 v74, v93, v89, v74
	;;#ASMEND
	;;#ASMSTART
	v_dot2_f32_f16 v74, v94, v90, v74
	;;#ASMEND
	;;#ASMSTART
	v_dot2_f32_f16 v74, v95, v91, v74
	;;#ASMEND
	;;#ASMSTART
	v_dot2_f32_f16 v74, v96, v92, v74
	;;#ASMEND
	ds_load_b128 v[81:84], v40 offset:16
	ds_load_b128 v[85:88], v31 offset:144
	ds_load_b128 v[89:92], v31 offset:1296
	ds_load_b128 v[93:96], v40 offset:4624
	s_wait_dscnt 0x2
	;;#ASMSTART
	v_dot2_f32_f16 v71, v81, v85, v71
	;;#ASMEND
	;;#ASMSTART
	v_dot2_f32_f16 v71, v82, v86, v71
	;;#ASMEND
	;;#ASMSTART
	v_dot2_f32_f16 v71, v83, v87, v71
	;;#ASMEND
	;;#ASMSTART
	v_dot2_f32_f16 v71, v84, v88, v71
	;;#ASMEND
	s_wait_dscnt 0x1
	;;#ASMSTART
	v_dot2_f32_f16 v72, v81, v89, v72
	;;#ASMEND
	;;#ASMSTART
	v_dot2_f32_f16 v72, v82, v90, v72
	;;#ASMEND
	;;#ASMSTART
	v_dot2_f32_f16 v72, v83, v91, v72
	;;#ASMEND
	;;#ASMSTART
	v_dot2_f32_f16 v72, v84, v92, v72
	;;#ASMEND
	s_wait_dscnt 0x0
	;;#ASMSTART
	v_dot2_f32_f16 v73, v93, v85, v73
	;;#ASMEND
	;;#ASMSTART
	v_dot2_f32_f16 v73, v94, v86, v73
	;;#ASMEND
	;;#ASMSTART
	v_dot2_f32_f16 v73, v95, v87, v73
	;;#ASMEND
	;;#ASMSTART
	v_dot2_f32_f16 v73, v96, v88, v73
	;;#ASMEND
	;;#ASMSTART
	v_dot2_f32_f16 v74, v93, v89, v74
	;;#ASMEND
	;;#ASMSTART
	v_dot2_f32_f16 v74, v94, v90, v74
	;;#ASMEND
	;;#ASMSTART
	v_dot2_f32_f16 v74, v95, v91, v74
	;;#ASMEND
	;;#ASMSTART
	v_dot2_f32_f16 v74, v96, v92, v74
	;;#ASMEND
	ds_load_b128 v[81:84], v40 offset:32
	;; [unrolled: 55-line block ×7, first 2 shown]
	ds_load_b128 v[85:88], v31 offset:240
	ds_load_b128 v[89:92], v31 offset:1392
	;; [unrolled: 1-line block ×3, first 2 shown]
	s_wait_dscnt 0x2
	;;#ASMSTART
	v_dot2_f32_f16 v71, v81, v85, v71
	;;#ASMEND
	;;#ASMSTART
	v_dot2_f32_f16 v71, v82, v86, v71
	;;#ASMEND
	;;#ASMSTART
	v_dot2_f32_f16 v71, v83, v87, v71
	;;#ASMEND
	;;#ASMSTART
	v_dot2_f32_f16 v71, v84, v88, v71
	;;#ASMEND
	s_wait_dscnt 0x1
	;;#ASMSTART
	v_dot2_f32_f16 v72, v81, v89, v72
	;;#ASMEND
	;;#ASMSTART
	v_dot2_f32_f16 v72, v82, v90, v72
	;;#ASMEND
	;;#ASMSTART
	v_dot2_f32_f16 v72, v83, v91, v72
	;;#ASMEND
	;;#ASMSTART
	v_dot2_f32_f16 v72, v84, v92, v72
	;;#ASMEND
	s_wait_dscnt 0x0
	;;#ASMSTART
	v_dot2_f32_f16 v73, v93, v85, v73
	;;#ASMEND
	;;#ASMSTART
	v_dot2_f32_f16 v73, v94, v86, v73
	;;#ASMEND
	;;#ASMSTART
	v_dot2_f32_f16 v73, v95, v87, v73
	;;#ASMEND
	;;#ASMSTART
	v_dot2_f32_f16 v73, v96, v88, v73
	;;#ASMEND
	;;#ASMSTART
	v_dot2_f32_f16 v74, v93, v89, v74
	;;#ASMEND
	;;#ASMSTART
	v_dot2_f32_f16 v74, v94, v90, v74
	;;#ASMEND
	;; [unrolled: 3-line block ×4, first 2 shown]
	s_wait_loadcnt 0x0
	s_barrier_signal -1
	s_barrier_wait -1
	global_inv scope:SCOPE_SE
	s_clause 0x1
	global_load_b128 v[81:84], v[25:26], off offset:256
	global_load_b128 v[85:88], v[27:28], off offset:256
	s_wait_loadcnt 0x1
	ds_store_b128 v38, v[81:84]
	s_wait_loadcnt 0x0
	ds_store_b128 v39, v[85:88]
	s_wait_dscnt 0x0
	s_barrier_signal -1
	s_barrier_wait -1
	global_inv scope:SCOPE_SE
	ds_load_b128 v[81:84], v40
	ds_load_b128 v[85:88], v31 offset:256
	ds_load_b128 v[89:92], v31 offset:1408
	ds_load_b128 v[93:96], v40 offset:4608
	s_wait_dscnt 0x2
	;;#ASMSTART
	v_dot2_f32_f16 v71, v81, v85, v71
	;;#ASMEND
	;;#ASMSTART
	v_dot2_f32_f16 v71, v82, v86, v71
	;;#ASMEND
	;;#ASMSTART
	v_dot2_f32_f16 v71, v83, v87, v71
	;;#ASMEND
	;;#ASMSTART
	v_dot2_f32_f16 v71, v84, v88, v71
	;;#ASMEND
	s_wait_dscnt 0x1
	;;#ASMSTART
	v_dot2_f32_f16 v72, v81, v89, v72
	;;#ASMEND
	;;#ASMSTART
	v_dot2_f32_f16 v72, v82, v90, v72
	;;#ASMEND
	;;#ASMSTART
	v_dot2_f32_f16 v72, v83, v91, v72
	;;#ASMEND
	;;#ASMSTART
	v_dot2_f32_f16 v72, v84, v92, v72
	;;#ASMEND
	s_wait_dscnt 0x0
	;;#ASMSTART
	v_dot2_f32_f16 v73, v93, v85, v73
	;;#ASMEND
	;;#ASMSTART
	v_dot2_f32_f16 v73, v94, v86, v73
	;;#ASMEND
	;;#ASMSTART
	v_dot2_f32_f16 v73, v95, v87, v73
	;;#ASMEND
	;;#ASMSTART
	v_dot2_f32_f16 v73, v96, v88, v73
	;;#ASMEND
	;;#ASMSTART
	v_dot2_f32_f16 v74, v93, v89, v74
	;;#ASMEND
	;;#ASMSTART
	v_dot2_f32_f16 v74, v94, v90, v74
	;;#ASMEND
	;;#ASMSTART
	v_dot2_f32_f16 v74, v95, v91, v74
	;;#ASMEND
	;;#ASMSTART
	v_dot2_f32_f16 v74, v96, v92, v74
	;;#ASMEND
	ds_load_b128 v[81:84], v40 offset:16
	ds_load_b128 v[85:88], v31 offset:272
	ds_load_b128 v[89:92], v31 offset:1424
	ds_load_b128 v[93:96], v40 offset:4624
	s_wait_dscnt 0x2
	;;#ASMSTART
	v_dot2_f32_f16 v71, v81, v85, v71
	;;#ASMEND
	;;#ASMSTART
	v_dot2_f32_f16 v71, v82, v86, v71
	;;#ASMEND
	;;#ASMSTART
	v_dot2_f32_f16 v71, v83, v87, v71
	;;#ASMEND
	;;#ASMSTART
	v_dot2_f32_f16 v71, v84, v88, v71
	;;#ASMEND
	s_wait_dscnt 0x1
	;;#ASMSTART
	v_dot2_f32_f16 v72, v81, v89, v72
	;;#ASMEND
	;;#ASMSTART
	v_dot2_f32_f16 v72, v82, v90, v72
	;;#ASMEND
	;;#ASMSTART
	v_dot2_f32_f16 v72, v83, v91, v72
	;;#ASMEND
	;;#ASMSTART
	v_dot2_f32_f16 v72, v84, v92, v72
	;;#ASMEND
	s_wait_dscnt 0x0
	;;#ASMSTART
	v_dot2_f32_f16 v73, v93, v85, v73
	;;#ASMEND
	;;#ASMSTART
	v_dot2_f32_f16 v73, v94, v86, v73
	;;#ASMEND
	;;#ASMSTART
	v_dot2_f32_f16 v73, v95, v87, v73
	;;#ASMEND
	;;#ASMSTART
	v_dot2_f32_f16 v73, v96, v88, v73
	;;#ASMEND
	;;#ASMSTART
	v_dot2_f32_f16 v74, v93, v89, v74
	;;#ASMEND
	;;#ASMSTART
	v_dot2_f32_f16 v74, v94, v90, v74
	;;#ASMEND
	;;#ASMSTART
	v_dot2_f32_f16 v74, v95, v91, v74
	;;#ASMEND
	;;#ASMSTART
	v_dot2_f32_f16 v74, v96, v92, v74
	;;#ASMEND
	ds_load_b128 v[81:84], v40 offset:32
	;; [unrolled: 55-line block ×7, first 2 shown]
	ds_load_b128 v[85:88], v31 offset:368
	ds_load_b128 v[89:92], v31 offset:1520
	;; [unrolled: 1-line block ×3, first 2 shown]
	s_wait_dscnt 0x2
	;;#ASMSTART
	v_dot2_f32_f16 v71, v81, v85, v71
	;;#ASMEND
	;;#ASMSTART
	v_dot2_f32_f16 v71, v82, v86, v71
	;;#ASMEND
	;;#ASMSTART
	v_dot2_f32_f16 v71, v83, v87, v71
	;;#ASMEND
	;;#ASMSTART
	v_dot2_f32_f16 v71, v84, v88, v71
	;;#ASMEND
	s_wait_dscnt 0x1
	;;#ASMSTART
	v_dot2_f32_f16 v72, v81, v89, v72
	;;#ASMEND
	;;#ASMSTART
	v_dot2_f32_f16 v72, v82, v90, v72
	;;#ASMEND
	;;#ASMSTART
	v_dot2_f32_f16 v72, v83, v91, v72
	;;#ASMEND
	;;#ASMSTART
	v_dot2_f32_f16 v72, v84, v92, v72
	;;#ASMEND
	;; [unrolled: 13-line block ×3, first 2 shown]
	;;#ASMSTART
	v_dot2_f32_f16 v74, v93, v89, v74
	;;#ASMEND
	;;#ASMSTART
	v_dot2_f32_f16 v74, v94, v90, v74
	;;#ASMEND
	;; [unrolled: 3-line block ×4, first 2 shown]
	s_wait_loadcnt 0x0
	s_barrier_signal -1
	s_barrier_wait -1
	global_inv scope:SCOPE_SE
	s_clause 0x1
	global_load_b128 v[81:84], v[25:26], off offset:384
	global_load_b128 v[85:88], v[27:28], off offset:384
	s_wait_loadcnt 0x1
	ds_store_b128 v38, v[81:84]
	s_wait_loadcnt 0x0
	ds_store_b128 v39, v[85:88]
	s_wait_dscnt 0x0
	s_barrier_signal -1
	s_barrier_wait -1
	global_inv scope:SCOPE_SE
	ds_load_b128 v[81:84], v40
	ds_load_b128 v[85:88], v31 offset:384
	ds_load_b128 v[89:92], v31 offset:1536
	ds_load_b128 v[93:96], v40 offset:4608
	s_wait_dscnt 0x2
	;;#ASMSTART
	v_dot2_f32_f16 v71, v81, v85, v71
	;;#ASMEND
	;;#ASMSTART
	v_dot2_f32_f16 v71, v82, v86, v71
	;;#ASMEND
	;;#ASMSTART
	v_dot2_f32_f16 v71, v83, v87, v71
	;;#ASMEND
	;;#ASMSTART
	v_dot2_f32_f16 v71, v84, v88, v71
	;;#ASMEND
	s_wait_dscnt 0x1
	;;#ASMSTART
	v_dot2_f32_f16 v72, v81, v89, v72
	;;#ASMEND
	;;#ASMSTART
	v_dot2_f32_f16 v72, v82, v90, v72
	;;#ASMEND
	;;#ASMSTART
	v_dot2_f32_f16 v72, v83, v91, v72
	;;#ASMEND
	;;#ASMSTART
	v_dot2_f32_f16 v72, v84, v92, v72
	;;#ASMEND
	s_wait_dscnt 0x0
	;;#ASMSTART
	v_dot2_f32_f16 v73, v93, v85, v73
	;;#ASMEND
	;;#ASMSTART
	v_dot2_f32_f16 v73, v94, v86, v73
	;;#ASMEND
	;;#ASMSTART
	v_dot2_f32_f16 v73, v95, v87, v73
	;;#ASMEND
	;;#ASMSTART
	v_dot2_f32_f16 v73, v96, v88, v73
	;;#ASMEND
	;;#ASMSTART
	v_dot2_f32_f16 v74, v93, v89, v74
	;;#ASMEND
	;;#ASMSTART
	v_dot2_f32_f16 v74, v94, v90, v74
	;;#ASMEND
	;;#ASMSTART
	v_dot2_f32_f16 v74, v95, v91, v74
	;;#ASMEND
	;;#ASMSTART
	v_dot2_f32_f16 v74, v96, v92, v74
	;;#ASMEND
	ds_load_b128 v[81:84], v40 offset:16
	ds_load_b128 v[85:88], v31 offset:400
	ds_load_b128 v[89:92], v31 offset:1552
	ds_load_b128 v[93:96], v40 offset:4624
	s_wait_dscnt 0x2
	;;#ASMSTART
	v_dot2_f32_f16 v71, v81, v85, v71
	;;#ASMEND
	;;#ASMSTART
	v_dot2_f32_f16 v71, v82, v86, v71
	;;#ASMEND
	;;#ASMSTART
	v_dot2_f32_f16 v71, v83, v87, v71
	;;#ASMEND
	;;#ASMSTART
	v_dot2_f32_f16 v71, v84, v88, v71
	;;#ASMEND
	s_wait_dscnt 0x1
	;;#ASMSTART
	v_dot2_f32_f16 v72, v81, v89, v72
	;;#ASMEND
	;;#ASMSTART
	v_dot2_f32_f16 v72, v82, v90, v72
	;;#ASMEND
	;;#ASMSTART
	v_dot2_f32_f16 v72, v83, v91, v72
	;;#ASMEND
	;;#ASMSTART
	v_dot2_f32_f16 v72, v84, v92, v72
	;;#ASMEND
	s_wait_dscnt 0x0
	;;#ASMSTART
	v_dot2_f32_f16 v73, v93, v85, v73
	;;#ASMEND
	;;#ASMSTART
	v_dot2_f32_f16 v73, v94, v86, v73
	;;#ASMEND
	;;#ASMSTART
	v_dot2_f32_f16 v73, v95, v87, v73
	;;#ASMEND
	;;#ASMSTART
	v_dot2_f32_f16 v73, v96, v88, v73
	;;#ASMEND
	;;#ASMSTART
	v_dot2_f32_f16 v74, v93, v89, v74
	;;#ASMEND
	;;#ASMSTART
	v_dot2_f32_f16 v74, v94, v90, v74
	;;#ASMEND
	;;#ASMSTART
	v_dot2_f32_f16 v74, v95, v91, v74
	;;#ASMEND
	;;#ASMSTART
	v_dot2_f32_f16 v74, v96, v92, v74
	;;#ASMEND
	ds_load_b128 v[81:84], v40 offset:32
	;; [unrolled: 55-line block ×7, first 2 shown]
	ds_load_b128 v[85:88], v31 offset:496
	ds_load_b128 v[89:92], v31 offset:1648
	;; [unrolled: 1-line block ×3, first 2 shown]
	s_wait_dscnt 0x2
	;;#ASMSTART
	v_dot2_f32_f16 v71, v81, v85, v71
	;;#ASMEND
	;;#ASMSTART
	v_dot2_f32_f16 v71, v82, v86, v71
	;;#ASMEND
	;;#ASMSTART
	v_dot2_f32_f16 v71, v83, v87, v71
	;;#ASMEND
	;;#ASMSTART
	v_dot2_f32_f16 v71, v84, v88, v71
	;;#ASMEND
	s_wait_dscnt 0x1
	;;#ASMSTART
	v_dot2_f32_f16 v72, v81, v89, v72
	;;#ASMEND
	;;#ASMSTART
	v_dot2_f32_f16 v72, v82, v90, v72
	;;#ASMEND
	;;#ASMSTART
	v_dot2_f32_f16 v72, v83, v91, v72
	;;#ASMEND
	;;#ASMSTART
	v_dot2_f32_f16 v72, v84, v92, v72
	;;#ASMEND
	;; [unrolled: 13-line block ×3, first 2 shown]
	;;#ASMSTART
	v_dot2_f32_f16 v74, v93, v89, v74
	;;#ASMEND
	;;#ASMSTART
	v_dot2_f32_f16 v74, v94, v90, v74
	;;#ASMEND
	;; [unrolled: 3-line block ×4, first 2 shown]
	s_wait_loadcnt 0x0
	s_barrier_signal -1
	s_barrier_wait -1
	global_inv scope:SCOPE_SE
	s_clause 0x1
	global_load_b128 v[81:84], v[25:26], off offset:512
	global_load_b128 v[85:88], v[27:28], off offset:512
	s_wait_loadcnt 0x1
	ds_store_b128 v38, v[81:84]
	s_wait_loadcnt 0x0
	ds_store_b128 v39, v[85:88]
	s_wait_dscnt 0x0
	s_barrier_signal -1
	s_barrier_wait -1
	global_inv scope:SCOPE_SE
	ds_load_b128 v[81:84], v40
	ds_load_b128 v[85:88], v31 offset:512
	ds_load_b128 v[89:92], v31 offset:1664
	ds_load_b128 v[93:96], v40 offset:4608
	s_wait_dscnt 0x2
	;;#ASMSTART
	v_dot2_f32_f16 v71, v81, v85, v71
	;;#ASMEND
	;;#ASMSTART
	v_dot2_f32_f16 v71, v82, v86, v71
	;;#ASMEND
	;;#ASMSTART
	v_dot2_f32_f16 v71, v83, v87, v71
	;;#ASMEND
	;;#ASMSTART
	v_dot2_f32_f16 v71, v84, v88, v71
	;;#ASMEND
	s_wait_dscnt 0x1
	;;#ASMSTART
	v_dot2_f32_f16 v72, v81, v89, v72
	;;#ASMEND
	;;#ASMSTART
	v_dot2_f32_f16 v72, v82, v90, v72
	;;#ASMEND
	;;#ASMSTART
	v_dot2_f32_f16 v72, v83, v91, v72
	;;#ASMEND
	;;#ASMSTART
	v_dot2_f32_f16 v72, v84, v92, v72
	;;#ASMEND
	s_wait_dscnt 0x0
	;;#ASMSTART
	v_dot2_f32_f16 v73, v93, v85, v73
	;;#ASMEND
	;;#ASMSTART
	v_dot2_f32_f16 v73, v94, v86, v73
	;;#ASMEND
	;;#ASMSTART
	v_dot2_f32_f16 v73, v95, v87, v73
	;;#ASMEND
	;;#ASMSTART
	v_dot2_f32_f16 v73, v96, v88, v73
	;;#ASMEND
	;;#ASMSTART
	v_dot2_f32_f16 v74, v93, v89, v74
	;;#ASMEND
	;;#ASMSTART
	v_dot2_f32_f16 v74, v94, v90, v74
	;;#ASMEND
	;;#ASMSTART
	v_dot2_f32_f16 v74, v95, v91, v74
	;;#ASMEND
	;;#ASMSTART
	v_dot2_f32_f16 v74, v96, v92, v74
	;;#ASMEND
	ds_load_b128 v[81:84], v40 offset:16
	ds_load_b128 v[85:88], v31 offset:528
	ds_load_b128 v[89:92], v31 offset:1680
	ds_load_b128 v[93:96], v40 offset:4624
	s_wait_dscnt 0x2
	;;#ASMSTART
	v_dot2_f32_f16 v71, v81, v85, v71
	;;#ASMEND
	;;#ASMSTART
	v_dot2_f32_f16 v71, v82, v86, v71
	;;#ASMEND
	;;#ASMSTART
	v_dot2_f32_f16 v71, v83, v87, v71
	;;#ASMEND
	;;#ASMSTART
	v_dot2_f32_f16 v71, v84, v88, v71
	;;#ASMEND
	s_wait_dscnt 0x1
	;;#ASMSTART
	v_dot2_f32_f16 v72, v81, v89, v72
	;;#ASMEND
	;;#ASMSTART
	v_dot2_f32_f16 v72, v82, v90, v72
	;;#ASMEND
	;;#ASMSTART
	v_dot2_f32_f16 v72, v83, v91, v72
	;;#ASMEND
	;;#ASMSTART
	v_dot2_f32_f16 v72, v84, v92, v72
	;;#ASMEND
	s_wait_dscnt 0x0
	;;#ASMSTART
	v_dot2_f32_f16 v73, v93, v85, v73
	;;#ASMEND
	;;#ASMSTART
	v_dot2_f32_f16 v73, v94, v86, v73
	;;#ASMEND
	;;#ASMSTART
	v_dot2_f32_f16 v73, v95, v87, v73
	;;#ASMEND
	;;#ASMSTART
	v_dot2_f32_f16 v73, v96, v88, v73
	;;#ASMEND
	;;#ASMSTART
	v_dot2_f32_f16 v74, v93, v89, v74
	;;#ASMEND
	;;#ASMSTART
	v_dot2_f32_f16 v74, v94, v90, v74
	;;#ASMEND
	;;#ASMSTART
	v_dot2_f32_f16 v74, v95, v91, v74
	;;#ASMEND
	;;#ASMSTART
	v_dot2_f32_f16 v74, v96, v92, v74
	;;#ASMEND
	ds_load_b128 v[81:84], v40 offset:32
	;; [unrolled: 55-line block ×7, first 2 shown]
	ds_load_b128 v[85:88], v31 offset:624
	ds_load_b128 v[89:92], v31 offset:1776
	;; [unrolled: 1-line block ×3, first 2 shown]
	s_wait_dscnt 0x2
	;;#ASMSTART
	v_dot2_f32_f16 v71, v81, v85, v71
	;;#ASMEND
	;;#ASMSTART
	v_dot2_f32_f16 v71, v82, v86, v71
	;;#ASMEND
	;;#ASMSTART
	v_dot2_f32_f16 v71, v83, v87, v71
	;;#ASMEND
	;;#ASMSTART
	v_dot2_f32_f16 v71, v84, v88, v71
	;;#ASMEND
	s_wait_dscnt 0x1
	;;#ASMSTART
	v_dot2_f32_f16 v72, v81, v89, v72
	;;#ASMEND
	;;#ASMSTART
	v_dot2_f32_f16 v72, v82, v90, v72
	;;#ASMEND
	;;#ASMSTART
	v_dot2_f32_f16 v72, v83, v91, v72
	;;#ASMEND
	;;#ASMSTART
	v_dot2_f32_f16 v72, v84, v92, v72
	;;#ASMEND
	;; [unrolled: 13-line block ×3, first 2 shown]
	;;#ASMSTART
	v_dot2_f32_f16 v74, v93, v89, v74
	;;#ASMEND
	;;#ASMSTART
	v_dot2_f32_f16 v74, v94, v90, v74
	;;#ASMEND
	;; [unrolled: 3-line block ×4, first 2 shown]
	s_wait_loadcnt 0x0
	s_barrier_signal -1
	s_barrier_wait -1
	global_inv scope:SCOPE_SE
	s_clause 0x1
	global_load_b128 v[81:84], v[25:26], off offset:640
	global_load_b128 v[85:88], v[27:28], off offset:640
	s_wait_loadcnt 0x1
	ds_store_b128 v38, v[81:84]
	s_wait_loadcnt 0x0
	ds_store_b128 v39, v[85:88]
	s_wait_dscnt 0x0
	s_barrier_signal -1
	s_barrier_wait -1
	global_inv scope:SCOPE_SE
	ds_load_b128 v[81:84], v40
	ds_load_b128 v[85:88], v31 offset:640
	ds_load_b128 v[89:92], v31 offset:1792
	ds_load_b128 v[93:96], v40 offset:4608
	s_wait_dscnt 0x2
	;;#ASMSTART
	v_dot2_f32_f16 v71, v81, v85, v71
	;;#ASMEND
	;;#ASMSTART
	v_dot2_f32_f16 v71, v82, v86, v71
	;;#ASMEND
	;;#ASMSTART
	v_dot2_f32_f16 v71, v83, v87, v71
	;;#ASMEND
	;;#ASMSTART
	v_dot2_f32_f16 v71, v84, v88, v71
	;;#ASMEND
	s_wait_dscnt 0x1
	;;#ASMSTART
	v_dot2_f32_f16 v72, v81, v89, v72
	;;#ASMEND
	;;#ASMSTART
	v_dot2_f32_f16 v72, v82, v90, v72
	;;#ASMEND
	;;#ASMSTART
	v_dot2_f32_f16 v72, v83, v91, v72
	;;#ASMEND
	;;#ASMSTART
	v_dot2_f32_f16 v72, v84, v92, v72
	;;#ASMEND
	s_wait_dscnt 0x0
	;;#ASMSTART
	v_dot2_f32_f16 v73, v93, v85, v73
	;;#ASMEND
	;;#ASMSTART
	v_dot2_f32_f16 v73, v94, v86, v73
	;;#ASMEND
	;;#ASMSTART
	v_dot2_f32_f16 v73, v95, v87, v73
	;;#ASMEND
	;;#ASMSTART
	v_dot2_f32_f16 v73, v96, v88, v73
	;;#ASMEND
	;;#ASMSTART
	v_dot2_f32_f16 v74, v93, v89, v74
	;;#ASMEND
	;;#ASMSTART
	v_dot2_f32_f16 v74, v94, v90, v74
	;;#ASMEND
	;;#ASMSTART
	v_dot2_f32_f16 v74, v95, v91, v74
	;;#ASMEND
	;;#ASMSTART
	v_dot2_f32_f16 v74, v96, v92, v74
	;;#ASMEND
	ds_load_b128 v[81:84], v40 offset:16
	ds_load_b128 v[85:88], v31 offset:656
	ds_load_b128 v[89:92], v31 offset:1808
	ds_load_b128 v[93:96], v40 offset:4624
	s_wait_dscnt 0x2
	;;#ASMSTART
	v_dot2_f32_f16 v71, v81, v85, v71
	;;#ASMEND
	;;#ASMSTART
	v_dot2_f32_f16 v71, v82, v86, v71
	;;#ASMEND
	;;#ASMSTART
	v_dot2_f32_f16 v71, v83, v87, v71
	;;#ASMEND
	;;#ASMSTART
	v_dot2_f32_f16 v71, v84, v88, v71
	;;#ASMEND
	s_wait_dscnt 0x1
	;;#ASMSTART
	v_dot2_f32_f16 v72, v81, v89, v72
	;;#ASMEND
	;;#ASMSTART
	v_dot2_f32_f16 v72, v82, v90, v72
	;;#ASMEND
	;;#ASMSTART
	v_dot2_f32_f16 v72, v83, v91, v72
	;;#ASMEND
	;;#ASMSTART
	v_dot2_f32_f16 v72, v84, v92, v72
	;;#ASMEND
	s_wait_dscnt 0x0
	;;#ASMSTART
	v_dot2_f32_f16 v73, v93, v85, v73
	;;#ASMEND
	;;#ASMSTART
	v_dot2_f32_f16 v73, v94, v86, v73
	;;#ASMEND
	;;#ASMSTART
	v_dot2_f32_f16 v73, v95, v87, v73
	;;#ASMEND
	;;#ASMSTART
	v_dot2_f32_f16 v73, v96, v88, v73
	;;#ASMEND
	;;#ASMSTART
	v_dot2_f32_f16 v74, v93, v89, v74
	;;#ASMEND
	;;#ASMSTART
	v_dot2_f32_f16 v74, v94, v90, v74
	;;#ASMEND
	;;#ASMSTART
	v_dot2_f32_f16 v74, v95, v91, v74
	;;#ASMEND
	;;#ASMSTART
	v_dot2_f32_f16 v74, v96, v92, v74
	;;#ASMEND
	ds_load_b128 v[81:84], v40 offset:32
	;; [unrolled: 55-line block ×7, first 2 shown]
	ds_load_b128 v[85:88], v31 offset:752
	ds_load_b128 v[89:92], v31 offset:1904
	;; [unrolled: 1-line block ×3, first 2 shown]
	s_wait_dscnt 0x2
	;;#ASMSTART
	v_dot2_f32_f16 v71, v81, v85, v71
	;;#ASMEND
	;;#ASMSTART
	v_dot2_f32_f16 v71, v82, v86, v71
	;;#ASMEND
	;;#ASMSTART
	v_dot2_f32_f16 v71, v83, v87, v71
	;;#ASMEND
	;;#ASMSTART
	v_dot2_f32_f16 v71, v84, v88, v71
	;;#ASMEND
	s_wait_dscnt 0x1
	;;#ASMSTART
	v_dot2_f32_f16 v72, v81, v89, v72
	;;#ASMEND
	;;#ASMSTART
	v_dot2_f32_f16 v72, v82, v90, v72
	;;#ASMEND
	;;#ASMSTART
	v_dot2_f32_f16 v72, v83, v91, v72
	;;#ASMEND
	;;#ASMSTART
	v_dot2_f32_f16 v72, v84, v92, v72
	;;#ASMEND
	;; [unrolled: 13-line block ×3, first 2 shown]
	;;#ASMSTART
	v_dot2_f32_f16 v74, v93, v89, v74
	;;#ASMEND
	;;#ASMSTART
	v_dot2_f32_f16 v74, v94, v90, v74
	;;#ASMEND
	;; [unrolled: 3-line block ×4, first 2 shown]
	s_wait_loadcnt 0x0
	s_barrier_signal -1
	s_barrier_wait -1
	global_inv scope:SCOPE_SE
	s_clause 0x1
	global_load_b128 v[81:84], v[25:26], off offset:768
	global_load_b128 v[85:88], v[27:28], off offset:768
	s_wait_loadcnt 0x1
	ds_store_b128 v38, v[81:84]
	s_wait_loadcnt 0x0
	ds_store_b128 v39, v[85:88]
	s_wait_dscnt 0x0
	s_barrier_signal -1
	s_barrier_wait -1
	global_inv scope:SCOPE_SE
	ds_load_b128 v[81:84], v40
	ds_load_b128 v[85:88], v31 offset:768
	ds_load_b128 v[89:92], v31 offset:1920
	ds_load_b128 v[93:96], v40 offset:4608
	s_wait_dscnt 0x2
	;;#ASMSTART
	v_dot2_f32_f16 v71, v81, v85, v71
	;;#ASMEND
	;;#ASMSTART
	v_dot2_f32_f16 v71, v82, v86, v71
	;;#ASMEND
	;;#ASMSTART
	v_dot2_f32_f16 v71, v83, v87, v71
	;;#ASMEND
	;;#ASMSTART
	v_dot2_f32_f16 v71, v84, v88, v71
	;;#ASMEND
	s_wait_dscnt 0x1
	;;#ASMSTART
	v_dot2_f32_f16 v72, v81, v89, v72
	;;#ASMEND
	;;#ASMSTART
	v_dot2_f32_f16 v72, v82, v90, v72
	;;#ASMEND
	;;#ASMSTART
	v_dot2_f32_f16 v72, v83, v91, v72
	;;#ASMEND
	;;#ASMSTART
	v_dot2_f32_f16 v72, v84, v92, v72
	;;#ASMEND
	s_wait_dscnt 0x0
	;;#ASMSTART
	v_dot2_f32_f16 v73, v93, v85, v73
	;;#ASMEND
	;;#ASMSTART
	v_dot2_f32_f16 v73, v94, v86, v73
	;;#ASMEND
	;;#ASMSTART
	v_dot2_f32_f16 v73, v95, v87, v73
	;;#ASMEND
	;;#ASMSTART
	v_dot2_f32_f16 v73, v96, v88, v73
	;;#ASMEND
	;;#ASMSTART
	v_dot2_f32_f16 v74, v93, v89, v74
	;;#ASMEND
	;;#ASMSTART
	v_dot2_f32_f16 v74, v94, v90, v74
	;;#ASMEND
	;;#ASMSTART
	v_dot2_f32_f16 v74, v95, v91, v74
	;;#ASMEND
	;;#ASMSTART
	v_dot2_f32_f16 v74, v96, v92, v74
	;;#ASMEND
	ds_load_b128 v[81:84], v40 offset:16
	ds_load_b128 v[85:88], v31 offset:784
	ds_load_b128 v[89:92], v31 offset:1936
	ds_load_b128 v[93:96], v40 offset:4624
	s_wait_dscnt 0x2
	;;#ASMSTART
	v_dot2_f32_f16 v71, v81, v85, v71
	;;#ASMEND
	;;#ASMSTART
	v_dot2_f32_f16 v71, v82, v86, v71
	;;#ASMEND
	;;#ASMSTART
	v_dot2_f32_f16 v71, v83, v87, v71
	;;#ASMEND
	;;#ASMSTART
	v_dot2_f32_f16 v71, v84, v88, v71
	;;#ASMEND
	s_wait_dscnt 0x1
	;;#ASMSTART
	v_dot2_f32_f16 v72, v81, v89, v72
	;;#ASMEND
	;;#ASMSTART
	v_dot2_f32_f16 v72, v82, v90, v72
	;;#ASMEND
	;;#ASMSTART
	v_dot2_f32_f16 v72, v83, v91, v72
	;;#ASMEND
	;;#ASMSTART
	v_dot2_f32_f16 v72, v84, v92, v72
	;;#ASMEND
	s_wait_dscnt 0x0
	;;#ASMSTART
	v_dot2_f32_f16 v73, v93, v85, v73
	;;#ASMEND
	;;#ASMSTART
	v_dot2_f32_f16 v73, v94, v86, v73
	;;#ASMEND
	;;#ASMSTART
	v_dot2_f32_f16 v73, v95, v87, v73
	;;#ASMEND
	;;#ASMSTART
	v_dot2_f32_f16 v73, v96, v88, v73
	;;#ASMEND
	;;#ASMSTART
	v_dot2_f32_f16 v74, v93, v89, v74
	;;#ASMEND
	;;#ASMSTART
	v_dot2_f32_f16 v74, v94, v90, v74
	;;#ASMEND
	;;#ASMSTART
	v_dot2_f32_f16 v74, v95, v91, v74
	;;#ASMEND
	;;#ASMSTART
	v_dot2_f32_f16 v74, v96, v92, v74
	;;#ASMEND
	ds_load_b128 v[81:84], v40 offset:32
	;; [unrolled: 55-line block ×7, first 2 shown]
	ds_load_b128 v[85:88], v31 offset:880
	ds_load_b128 v[89:92], v31 offset:2032
	;; [unrolled: 1-line block ×3, first 2 shown]
	s_wait_dscnt 0x2
	;;#ASMSTART
	v_dot2_f32_f16 v71, v81, v85, v71
	;;#ASMEND
	;;#ASMSTART
	v_dot2_f32_f16 v71, v82, v86, v71
	;;#ASMEND
	;;#ASMSTART
	v_dot2_f32_f16 v71, v83, v87, v71
	;;#ASMEND
	;;#ASMSTART
	v_dot2_f32_f16 v71, v84, v88, v71
	;;#ASMEND
	s_wait_dscnt 0x1
	;;#ASMSTART
	v_dot2_f32_f16 v72, v81, v89, v72
	;;#ASMEND
	;;#ASMSTART
	v_dot2_f32_f16 v72, v82, v90, v72
	;;#ASMEND
	;;#ASMSTART
	v_dot2_f32_f16 v72, v83, v91, v72
	;;#ASMEND
	;;#ASMSTART
	v_dot2_f32_f16 v72, v84, v92, v72
	;;#ASMEND
	;; [unrolled: 13-line block ×3, first 2 shown]
	;;#ASMSTART
	v_dot2_f32_f16 v74, v93, v89, v74
	;;#ASMEND
	;;#ASMSTART
	v_dot2_f32_f16 v74, v94, v90, v74
	;;#ASMEND
	;; [unrolled: 3-line block ×4, first 2 shown]
	s_wait_loadcnt 0x0
	s_barrier_signal -1
	s_barrier_wait -1
	global_inv scope:SCOPE_SE
	s_clause 0x1
	global_load_b128 v[81:84], v[25:26], off offset:896
	global_load_b128 v[85:88], v[27:28], off offset:896
	s_wait_loadcnt 0x1
	ds_store_b128 v38, v[81:84]
	s_wait_loadcnt 0x0
	ds_store_b128 v39, v[85:88]
	s_wait_dscnt 0x0
	s_barrier_signal -1
	s_barrier_wait -1
	global_inv scope:SCOPE_SE
	ds_load_b128 v[81:84], v40
	ds_load_b128 v[85:88], v31 offset:896
	ds_load_b128 v[89:92], v31 offset:2048
	ds_load_b128 v[93:96], v40 offset:4608
	s_wait_dscnt 0x2
	;;#ASMSTART
	v_dot2_f32_f16 v71, v81, v85, v71
	;;#ASMEND
	;;#ASMSTART
	v_dot2_f32_f16 v71, v82, v86, v71
	;;#ASMEND
	;;#ASMSTART
	v_dot2_f32_f16 v71, v83, v87, v71
	;;#ASMEND
	;;#ASMSTART
	v_dot2_f32_f16 v71, v84, v88, v71
	;;#ASMEND
	s_wait_dscnt 0x1
	;;#ASMSTART
	v_dot2_f32_f16 v72, v81, v89, v72
	;;#ASMEND
	;;#ASMSTART
	v_dot2_f32_f16 v72, v82, v90, v72
	;;#ASMEND
	;;#ASMSTART
	v_dot2_f32_f16 v72, v83, v91, v72
	;;#ASMEND
	;;#ASMSTART
	v_dot2_f32_f16 v72, v84, v92, v72
	;;#ASMEND
	s_wait_dscnt 0x0
	;;#ASMSTART
	v_dot2_f32_f16 v73, v93, v85, v73
	;;#ASMEND
	;;#ASMSTART
	v_dot2_f32_f16 v73, v94, v86, v73
	;;#ASMEND
	;;#ASMSTART
	v_dot2_f32_f16 v73, v95, v87, v73
	;;#ASMEND
	;;#ASMSTART
	v_dot2_f32_f16 v73, v96, v88, v73
	;;#ASMEND
	;;#ASMSTART
	v_dot2_f32_f16 v74, v93, v89, v74
	;;#ASMEND
	;;#ASMSTART
	v_dot2_f32_f16 v74, v94, v90, v74
	;;#ASMEND
	;;#ASMSTART
	v_dot2_f32_f16 v74, v95, v91, v74
	;;#ASMEND
	;;#ASMSTART
	v_dot2_f32_f16 v74, v96, v92, v74
	;;#ASMEND
	ds_load_b128 v[81:84], v40 offset:16
	ds_load_b128 v[85:88], v31 offset:912
	ds_load_b128 v[89:92], v31 offset:2064
	ds_load_b128 v[93:96], v40 offset:4624
	s_wait_dscnt 0x2
	;;#ASMSTART
	v_dot2_f32_f16 v71, v81, v85, v71
	;;#ASMEND
	;;#ASMSTART
	v_dot2_f32_f16 v71, v82, v86, v71
	;;#ASMEND
	;;#ASMSTART
	v_dot2_f32_f16 v71, v83, v87, v71
	;;#ASMEND
	;;#ASMSTART
	v_dot2_f32_f16 v71, v84, v88, v71
	;;#ASMEND
	s_wait_dscnt 0x1
	;;#ASMSTART
	v_dot2_f32_f16 v72, v81, v89, v72
	;;#ASMEND
	;;#ASMSTART
	v_dot2_f32_f16 v72, v82, v90, v72
	;;#ASMEND
	;;#ASMSTART
	v_dot2_f32_f16 v72, v83, v91, v72
	;;#ASMEND
	;;#ASMSTART
	v_dot2_f32_f16 v72, v84, v92, v72
	;;#ASMEND
	s_wait_dscnt 0x0
	;;#ASMSTART
	v_dot2_f32_f16 v73, v93, v85, v73
	;;#ASMEND
	;;#ASMSTART
	v_dot2_f32_f16 v73, v94, v86, v73
	;;#ASMEND
	;;#ASMSTART
	v_dot2_f32_f16 v73, v95, v87, v73
	;;#ASMEND
	;;#ASMSTART
	v_dot2_f32_f16 v73, v96, v88, v73
	;;#ASMEND
	;;#ASMSTART
	v_dot2_f32_f16 v74, v93, v89, v74
	;;#ASMEND
	;;#ASMSTART
	v_dot2_f32_f16 v74, v94, v90, v74
	;;#ASMEND
	;;#ASMSTART
	v_dot2_f32_f16 v74, v95, v91, v74
	;;#ASMEND
	;;#ASMSTART
	v_dot2_f32_f16 v74, v96, v92, v74
	;;#ASMEND
	ds_load_b128 v[81:84], v40 offset:32
	;; [unrolled: 55-line block ×7, first 2 shown]
	ds_load_b128 v[85:88], v31 offset:1008
	ds_load_b128 v[89:92], v31 offset:2160
	;; [unrolled: 1-line block ×3, first 2 shown]
	s_wait_dscnt 0x2
	;;#ASMSTART
	v_dot2_f32_f16 v71, v81, v85, v71
	;;#ASMEND
	;;#ASMSTART
	v_dot2_f32_f16 v71, v82, v86, v71
	;;#ASMEND
	;;#ASMSTART
	v_dot2_f32_f16 v71, v83, v87, v71
	;;#ASMEND
	;;#ASMSTART
	v_dot2_f32_f16 v71, v84, v88, v71
	;;#ASMEND
	s_wait_dscnt 0x1
	;;#ASMSTART
	v_dot2_f32_f16 v72, v81, v89, v72
	;;#ASMEND
	;;#ASMSTART
	v_dot2_f32_f16 v72, v82, v90, v72
	;;#ASMEND
	;;#ASMSTART
	v_dot2_f32_f16 v72, v83, v91, v72
	;;#ASMEND
	;;#ASMSTART
	v_dot2_f32_f16 v72, v84, v92, v72
	;;#ASMEND
	;; [unrolled: 13-line block ×3, first 2 shown]
	;;#ASMSTART
	v_dot2_f32_f16 v74, v93, v89, v74
	;;#ASMEND
	;;#ASMSTART
	v_dot2_f32_f16 v74, v94, v90, v74
	;;#ASMEND
	;; [unrolled: 3-line block ×4, first 2 shown]
	s_wait_loadcnt 0x0
	s_barrier_signal -1
	s_barrier_wait -1
	global_inv scope:SCOPE_SE
	s_clause 0x1
	global_load_b128 v[81:84], v[25:26], off offset:1024
	global_load_b128 v[25:28], v[27:28], off offset:1024
	s_wait_loadcnt 0x1
	ds_store_b128 v38, v[81:84]
	s_wait_loadcnt 0x0
	ds_store_b128 v39, v[25:28]
	s_wait_dscnt 0x0
	s_barrier_signal -1
	s_barrier_wait -1
	global_inv scope:SCOPE_SE
	ds_load_b128 v[25:28], v40
	ds_load_b128 v[81:84], v31 offset:1024
	ds_load_b128 v[85:88], v31 offset:2176
	ds_load_b128 v[89:92], v40 offset:4608
	s_wait_dscnt 0x2
	;;#ASMSTART
	v_dot2_f32_f16 v71, v25, v81, v71
	;;#ASMEND
	;;#ASMSTART
	v_dot2_f32_f16 v71, v26, v82, v71
	;;#ASMEND
	;;#ASMSTART
	v_dot2_f32_f16 v71, v27, v83, v71
	;;#ASMEND
	;;#ASMSTART
	v_dot2_f32_f16 v71, v28, v84, v71
	;;#ASMEND
	s_wait_dscnt 0x1
	;;#ASMSTART
	v_dot2_f32_f16 v72, v25, v85, v72
	;;#ASMEND
	;;#ASMSTART
	v_dot2_f32_f16 v72, v26, v86, v72
	;;#ASMEND
	;;#ASMSTART
	v_dot2_f32_f16 v72, v27, v87, v72
	;;#ASMEND
	;;#ASMSTART
	v_dot2_f32_f16 v72, v28, v88, v72
	;;#ASMEND
	s_wait_dscnt 0x0
	;;#ASMSTART
	v_dot2_f32_f16 v73, v89, v81, v73
	;;#ASMEND
	;;#ASMSTART
	v_dot2_f32_f16 v73, v90, v82, v73
	;;#ASMEND
	;;#ASMSTART
	v_dot2_f32_f16 v73, v91, v83, v73
	;;#ASMEND
	;;#ASMSTART
	v_dot2_f32_f16 v73, v92, v84, v73
	;;#ASMEND
	;;#ASMSTART
	v_dot2_f32_f16 v74, v89, v85, v74
	;;#ASMEND
	;;#ASMSTART
	v_dot2_f32_f16 v74, v90, v86, v74
	;;#ASMEND
	;;#ASMSTART
	v_dot2_f32_f16 v74, v91, v87, v74
	;;#ASMEND
	;;#ASMSTART
	v_dot2_f32_f16 v74, v92, v88, v74
	;;#ASMEND
	ds_load_b128 v[25:28], v40 offset:16
	ds_load_b128 v[81:84], v31 offset:1040
	ds_load_b128 v[85:88], v31 offset:2192
	ds_load_b128 v[89:92], v40 offset:4624
	s_wait_dscnt 0x2
	;;#ASMSTART
	v_dot2_f32_f16 v71, v25, v81, v71
	;;#ASMEND
	;;#ASMSTART
	v_dot2_f32_f16 v71, v26, v82, v71
	;;#ASMEND
	;;#ASMSTART
	v_dot2_f32_f16 v71, v27, v83, v71
	;;#ASMEND
	;;#ASMSTART
	v_dot2_f32_f16 v71, v28, v84, v71
	;;#ASMEND
	s_wait_dscnt 0x1
	;;#ASMSTART
	v_dot2_f32_f16 v72, v25, v85, v72
	;;#ASMEND
	;;#ASMSTART
	v_dot2_f32_f16 v72, v26, v86, v72
	;;#ASMEND
	;;#ASMSTART
	v_dot2_f32_f16 v72, v27, v87, v72
	;;#ASMEND
	;;#ASMSTART
	v_dot2_f32_f16 v72, v28, v88, v72
	;;#ASMEND
	s_wait_dscnt 0x0
	;;#ASMSTART
	v_dot2_f32_f16 v73, v89, v81, v73
	;;#ASMEND
	;;#ASMSTART
	v_dot2_f32_f16 v73, v90, v82, v73
	;;#ASMEND
	;;#ASMSTART
	v_dot2_f32_f16 v73, v91, v83, v73
	;;#ASMEND
	;;#ASMSTART
	v_dot2_f32_f16 v73, v92, v84, v73
	;;#ASMEND
	;;#ASMSTART
	v_dot2_f32_f16 v74, v89, v85, v74
	;;#ASMEND
	;;#ASMSTART
	v_dot2_f32_f16 v74, v90, v86, v74
	;;#ASMEND
	;;#ASMSTART
	v_dot2_f32_f16 v74, v91, v87, v74
	;;#ASMEND
	;;#ASMSTART
	v_dot2_f32_f16 v74, v92, v88, v74
	;;#ASMEND
	ds_load_b128 v[25:28], v40 offset:32
	;; [unrolled: 55-line block ×7, first 2 shown]
	ds_load_b128 v[81:84], v31 offset:1136
	ds_load_b128 v[85:88], v31 offset:2288
	;; [unrolled: 1-line block ×3, first 2 shown]
	s_wait_dscnt 0x2
	;;#ASMSTART
	v_dot2_f32_f16 v71, v25, v81, v71
	;;#ASMEND
	;;#ASMSTART
	v_dot2_f32_f16 v71, v26, v82, v71
	;;#ASMEND
	;;#ASMSTART
	v_dot2_f32_f16 v71, v27, v83, v71
	;;#ASMEND
	;;#ASMSTART
	v_dot2_f32_f16 v71, v28, v84, v71
	;;#ASMEND
	s_wait_dscnt 0x1
	;;#ASMSTART
	v_dot2_f32_f16 v72, v25, v85, v72
	;;#ASMEND
	;;#ASMSTART
	v_dot2_f32_f16 v72, v26, v86, v72
	;;#ASMEND
	;;#ASMSTART
	v_dot2_f32_f16 v72, v27, v87, v72
	;;#ASMEND
	;;#ASMSTART
	v_dot2_f32_f16 v72, v28, v88, v72
	;;#ASMEND
	;; [unrolled: 13-line block ×3, first 2 shown]
	;;#ASMSTART
	v_dot2_f32_f16 v74, v89, v85, v74
	;;#ASMEND
	;;#ASMSTART
	v_dot2_f32_f16 v74, v90, v86, v74
	;;#ASMEND
	;;#ASMSTART
	v_dot2_f32_f16 v74, v91, v87, v74
	;;#ASMEND
	;;#ASMSTART
	v_dot2_f32_f16 v74, v92, v88, v74
	;;#ASMEND
	s_clause 0x1
	global_load_u16 v85, v[23:24], off
	global_load_u16 v23, v[23:24], off offset:64
	s_wait_loadcnt 0x0
	s_barrier_signal -1
	s_barrier_wait -1
	global_inv scope:SCOPE_SE
	s_clause 0x1
	global_load_b128 v[25:28], v[11:12], off
	global_load_b128 v[81:84], v[11:12], off offset:512
	v_cvt_f32_f16_e32 v11, v85
	v_cvt_f32_f16_e32 v12, v23
	s_delay_alu instid0(VALU_DEP_1) | instskip(SKIP_1) | instid1(VALU_DEP_2)
	v_dual_add_f32 v23, v71, v11 :: v_dual_add_f32 v24, v73, v12
	v_dual_add_f32 v71, v72, v11 :: v_dual_add_f32 v72, v74, v12
	;; [unrolled: 1-line block ×3, first 2 shown]
	s_delay_alu instid0(VALU_DEP_2) | instskip(NEXT) | instid1(VALU_DEP_2)
	v_dual_add_f32 v73, 0x40051340, v71 :: v_dual_add_f32 v74, 0x40051340, v72
	v_max3_num_f32 v11, v70, v11, v12
	s_delay_alu instid0(VALU_DEP_2) | instskip(SKIP_4) | instid1(VALU_DEP_1)
	v_max3_num_f32 v12, v69, v73, v74
	ds_bpermute_b32 v73, v80, v11
	ds_bpermute_b32 v74, v80, v12
	s_wait_dscnt 0x0
	v_dual_max_num_f32 v73, v73, v73 :: v_dual_max_num_f32 v74, v74, v74
	v_max_num_f32_e32 v11, v11, v73
	ds_bpermute_b32 v73, v79, v11
	s_wait_dscnt 0x0
	v_dual_max_num_f32 v12, v12, v74 :: v_dual_max_num_f32 v73, v73, v73
	ds_bpermute_b32 v74, v79, v12
	v_max_num_f32_e32 v11, v11, v73
	ds_bpermute_b32 v73, v78, v11
	s_wait_dscnt 0x1
	v_max_num_f32_e32 v74, v74, v74
	s_wait_dscnt 0x0
	s_delay_alu instid0(VALU_DEP_1)
	v_dual_max_num_f32 v12, v12, v74 :: v_dual_max_num_f32 v73, v73, v73
	ds_bpermute_b32 v74, v78, v12
	v_max_num_f32_e32 v11, v11, v73
	ds_bpermute_b32 v73, v77, v11
	s_wait_dscnt 0x1
	v_max_num_f32_e32 v74, v74, v74
	s_wait_dscnt 0x0
	s_delay_alu instid0(VALU_DEP_1)
	v_dual_max_num_f32 v12, v12, v74 :: v_dual_max_num_f32 v73, v73, v73
	ds_bpermute_b32 v74, v77, v12
	v_max_num_f32_e32 v11, v11, v73
	ds_bpermute_b32 v73, v76, v11
	s_wait_dscnt 0x1
	v_max_num_f32_e32 v74, v74, v74
	s_wait_dscnt 0x0
	s_delay_alu instid0(VALU_DEP_1) | instskip(SKIP_2) | instid1(VALU_DEP_1)
	v_dual_max_num_f32 v12, v12, v74 :: v_dual_max_num_f32 v73, v73, v73
	ds_bpermute_b32 v74, v76, v12
	v_max_num_f32_e32 v11, v11, v73
	v_sub_f32_e32 v23, v23, v11
	s_delay_alu instid0(VALU_DEP_1) | instskip(SKIP_1) | instid1(VALU_DEP_2)
	v_mul_f32_e32 v73, 0x3fb8aa3b, v23
	v_cmp_ngt_f32_e64 s6, 0xc2ce8ed0, v23
	v_fma_f32 v80, 0x3fb8aa3b, v23, -v73
	s_wait_dscnt 0x0
	v_max_num_f32_e32 v74, v74, v74
	v_rndne_f32_e32 v85, v73
	s_delay_alu instid0(VALU_DEP_2) | instskip(NEXT) | instid1(VALU_DEP_2)
	v_max_num_f32_e32 v12, v12, v74
	v_dual_sub_f32 v24, v24, v11 :: v_dual_sub_f32 v73, v73, v85
	v_sub_f32_e32 v70, v70, v11
	v_cvt_i32_f32_e32 v85, v85
	s_delay_alu instid0(VALU_DEP_4) | instskip(NEXT) | instid1(VALU_DEP_4)
	v_sub_f32_e32 v71, v71, v12
	v_mul_f32_e32 v74, 0x3fb8aa3b, v24
	v_sub_f32_e32 v72, v72, v12
	v_dual_sub_f32 v69, v69, v12 :: v_dual_mul_f32 v76, 0x3fb8aa3b, v70
	s_delay_alu instid0(VALU_DEP_4) | instskip(NEXT) | instid1(VALU_DEP_4)
	v_mul_f32_e32 v77, 0x3fb8aa3b, v71
	v_fma_f32 v86, 0x3fb8aa3b, v24, -v74
	v_rndne_f32_e32 v87, v74
	s_delay_alu instid0(VALU_DEP_4) | instskip(NEXT) | instid1(VALU_DEP_4)
	v_dual_mul_f32 v78, 0x3fb8aa3b, v72 :: v_dual_mul_f32 v79, 0x3fb8aa3b, v69
	v_fma_f32 v90, 0x3fb8aa3b, v71, -v77
	v_rndne_f32_e32 v91, v77
	v_fmac_f32_e32 v86, 0x32a5705f, v24
	v_fma_f32 v88, 0x3fb8aa3b, v70, -v76
	v_rndne_f32_e32 v89, v76
	v_fmac_f32_e32 v90, 0x32a5705f, v71
	v_sub_f32_e32 v77, v77, v91
	v_fmac_f32_e32 v80, 0x32a5705f, v23
	v_fma_f32 v92, 0x3fb8aa3b, v72, -v78
	v_rndne_f32_e32 v93, v78
	v_fma_f32 v94, 0x3fb8aa3b, v69, -v79
	v_dual_add_f32 v77, v77, v90 :: v_dual_sub_f32 v74, v74, v87
	v_add_f32_e32 v73, v73, v80
	v_cvt_i32_f32_e32 v87, v87
	v_rndne_f32_e32 v95, v79
	v_cmp_ngt_f32_e32 vcc_lo, 0xc2ce8ed0, v24
	v_add_f32_e32 v74, v74, v86
	v_fmac_f32_e32 v88, 0x32a5705f, v70
	v_fmac_f32_e32 v92, 0x32a5705f, v72
	v_dual_fmac_f32 v94, 0x32a5705f, v69 :: v_dual_sub_f32 v79, v79, v95
	s_delay_alu instid0(VALU_DEP_4)
	v_exp_f32_e32 v74, v74
	v_sub_f32_e32 v76, v76, v89
	v_exp_f32_e32 v73, v73
	v_exp_f32_e32 v77, v77
	v_add_f32_e32 v79, v79, v94
	v_cvt_i32_f32_e32 v89, v89
	v_add_f32_e32 v76, v76, v88
	v_cvt_i32_f32_e32 v91, v91
	v_cvt_i32_f32_e32 v95, v95
	v_exp_f32_e32 v79, v79
	v_ldexp_f32 v74, v74, v87
	v_exp_f32_e32 v76, v76
	v_ldexp_f32 v73, v73, v85
	v_cmp_ngt_f32_e64 s2, 0xc2ce8ed0, v70
	v_ldexp_f32 v77, v77, v91
	s_wait_alu 0xfffd
	v_cndmask_b32_e32 v74, 0, v74, vcc_lo
	v_cmp_nlt_f32_e32 vcc_lo, 0x42b17218, v24
	v_sub_f32_e32 v78, v78, v93
	v_cvt_i32_f32_e32 v93, v93
	v_cmp_ngt_f32_e64 s3, 0xc2ce8ed0, v71
	v_cmp_ngt_f32_e64 s4, 0xc2ce8ed0, v72
	v_ldexp_f32 v76, v76, v89
	v_add_f32_e32 v78, v78, v92
	v_ldexp_f32 v79, v79, v95
	v_cmp_ngt_f32_e64 s5, 0xc2ce8ed0, v69
	s_wait_alu 0xf1ff
	v_cndmask_b32_e64 v73, 0, v73, s6
	v_cndmask_b32_e64 v24, 0, v76, s2
	v_exp_f32_e32 v78, v78
	v_cmp_nlt_f32_e64 s2, 0x42b17218, v70
	v_cndmask_b32_e64 v70, 0, v77, s3
	v_cmp_nlt_f32_e64 s3, 0x42b17218, v71
	v_cmp_nlt_f32_e64 s6, 0x42b17218, v23
	s_wait_alu 0xf1ff
	s_delay_alu instid0(VALU_DEP_2) | instskip(NEXT) | instid1(VALU_DEP_2)
	v_cndmask_b32_e64 v70, 0x7f800000, v70, s3
	v_cndmask_b32_e64 v23, 0x7f800000, v73, s6
	s_delay_alu instid0(TRANS32_DEP_1) | instskip(SKIP_1) | instid1(VALU_DEP_2)
	v_ldexp_f32 v78, v78, v93
	v_cndmask_b32_e64 v73, 0x7f800000, v24, s2
	v_cndmask_b32_e64 v71, 0, v78, s4
	v_cmp_nlt_f32_e64 s4, 0x42b17218, v72
	v_cndmask_b32_e64 v72, 0, v79, s5
	v_cmp_nlt_f32_e64 s5, 0x42b17218, v69
	s_wait_alu 0xfffd
	v_cndmask_b32_e32 v69, 0x7f800000, v74, vcc_lo
	v_cvt_f16_f32_e32 v74, v23
	s_wait_alu 0xf1ff
	v_cndmask_b32_e64 v71, 0x7f800000, v71, s4
	v_cvt_f16_f32_e32 v77, v73
	v_cndmask_b32_e64 v72, 0x7f800000, v72, s5
	v_add_f32_e32 v24, v23, v69
	v_cvt_f16_f32_e32 v23, v69
	v_cvt_f16_f32_e32 v69, v70
	;; [unrolled: 1-line block ×3, first 2 shown]
	v_add_f32_e32 v70, v70, v71
	v_cvt_f16_f32_e32 v71, v72
	v_fmac_f32_e32 v24, v68, v73
	v_pack_b32_f16 v69, v74, v69
	v_pack_b32_f16 v74, v23, v76
	v_and_b32_e32 v73, 0xffff, v77
	v_dual_mov_b32 v23, v70 :: v_dual_and_b32 v148, 0xffff, v71
	ds_store_2addr_b32 v48, v69, v74 offset1:32
	s_wait_loadcnt 0x1
	ds_store_b128 v42, v[25:28]
	s_wait_loadcnt 0x0
	ds_store_b128 v43, v[81:84]
	s_wait_dscnt 0x0
	s_barrier_signal -1
	s_barrier_wait -1
	global_inv scope:SCOPE_SE
	ds_load_2addr_b64 v[25:28], v44 offset1:32
	ds_load_2addr_b64 v[68:71], v44 offset0:64 offset1:96
	ds_load_b128 v[76:79], v41
	ds_load_b128 v[80:83], v41 offset:16
	ds_load_2addr_b64 v[84:87], v44 offset0:128 offset1:160
	ds_load_2addr_b64 v[88:91], v44 offset0:192 offset1:224
	ds_load_2addr_b64 v[92:95], v49 offset1:32
	ds_load_2addr_b64 v[96:99], v49 offset0:64 offset1:96
	ds_load_2addr_b64 v[100:103], v49 offset0:128 offset1:160
	ds_load_2addr_b64 v[104:107], v49 offset0:192 offset1:224
	ds_load_2addr_b64 v[108:111], v50 offset1:32
	ds_load_2addr_b64 v[112:115], v50 offset0:64 offset1:96
	;; [unrolled: 4-line block ×3, first 2 shown]
	ds_load_2addr_b64 v[132:135], v51 offset0:128 offset1:160
	ds_load_2addr_b64 v[136:139], v51 offset0:192 offset1:224
	s_wait_loadcnt_dscnt 0x0
	s_barrier_signal -1
	s_barrier_wait -1
	global_inv scope:SCOPE_SE
	s_clause 0x1
	global_load_b128 v[140:143], v[21:22], off
	global_load_b128 v[144:147], v[21:22], off offset:512
	v_mul_u32_u24_e32 v21, 0x10001, v73
	v_fmac_f32_e32 v23, v75, v72
	v_lshrrev_b32_e32 v72, 16, v76
	v_and_b32_e32 v73, 0xffff, v76
	v_mul_u32_u24_e32 v22, 0x10001, v148
	v_pk_mul_f16 v67, v67, v21
	v_pk_mul_f16 v65, v65, v21
	v_mul_u32_u24_e32 v72, 0x10001, v72
	v_mul_u32_u24_e32 v73, 0x10001, v73
	v_pk_mul_f16 v66, v66, v21
	v_pk_mul_f16 v62, v62, v21
	v_pk_mul_f16 v64, v64, v21
	v_pk_mul_f16 v60, v60, v21
	v_pk_mul_f16 v61, v61, v21
	v_pk_mul_f16 v59, v59, v22
	v_pk_mul_f16 v57, v57, v22
	v_pk_mul_f16 v58, v58, v22
	v_pk_mul_f16 v54, v54, v22
	v_pk_mul_f16 v56, v56, v22
	v_pk_mul_f16 v53, v53, v22
	v_pk_mul_f16 v52, v52, v22
	v_lshrrev_b32_e32 v74, 16, v77
	v_and_b32_e32 v75, 0xffff, v77
	v_pk_mul_f16 v152, v25, v73
	v_pk_mul_f16 v25, v25, v72
	v_lshrrev_b32_e32 v76, 16, v78
	v_and_b32_e32 v77, 0xffff, v78
	v_mul_u32_u24_e32 v75, 0x10001, v75
	v_mul_u32_u24_e32 v74, 0x10001, v74
	v_pk_fma_f16 v67, v26, v73, v67
	v_pk_fma_f16 v26, v26, v72, v59
	v_pk_fma_f16 v59, v27, v73, v65
	v_pk_fma_f16 v27, v27, v72, v57
	v_pk_fma_f16 v57, v28, v73, v66
	v_pk_fma_f16 v28, v28, v72, v58
	v_pk_fma_f16 v58, v68, v73, v62
	v_pk_fma_f16 v54, v68, v72, v54
	v_pk_fma_f16 v62, v69, v73, v64
	v_pk_fma_f16 v56, v69, v72, v56
	v_pk_fma_f16 v60, v70, v73, v60
	v_pk_fma_f16 v53, v70, v72, v53
	v_pk_fma_f16 v61, v71, v73, v61
	v_pk_fma_f16 v52, v71, v72, v52
	v_pk_fma_f16 v21, v63, v21, v152
	v_pk_fma_f16 v22, v55, v22, v25
	v_lshrrev_b32_e32 v78, 16, v79
	v_and_b32_e32 v79, 0xffff, v79
	v_mul_u32_u24_e32 v77, 0x10001, v77
	v_mul_u32_u24_e32 v76, 0x10001, v76
	v_pk_fma_f16 v25, v85, v75, v67
	v_pk_fma_f16 v26, v85, v74, v26
	v_pk_fma_f16 v55, v86, v75, v59
	v_pk_fma_f16 v27, v86, v74, v27
	v_pk_fma_f16 v57, v87, v75, v57
	v_pk_fma_f16 v28, v87, v74, v28
	v_pk_fma_f16 v58, v88, v75, v58
	v_pk_fma_f16 v54, v88, v74, v54
	v_pk_fma_f16 v59, v89, v75, v62
	v_pk_fma_f16 v56, v89, v74, v56
	v_pk_fma_f16 v60, v90, v75, v60
	v_pk_fma_f16 v53, v90, v74, v53
	v_pk_fma_f16 v61, v91, v75, v61
	v_pk_fma_f16 v52, v91, v74, v52
	v_pk_fma_f16 v21, v84, v75, v21
	v_pk_fma_f16 v22, v84, v74, v22
	v_lshrrev_b32_e32 v148, 16, v80
	v_and_b32_e32 v80, 0xffff, v80
	v_mul_u32_u24_e32 v79, 0x10001, v79
	v_mul_u32_u24_e32 v78, 0x10001, v78
	v_pk_fma_f16 v25, v93, v77, v25
	v_pk_fma_f16 v26, v93, v76, v26
	v_pk_fma_f16 v55, v94, v77, v55
	v_pk_fma_f16 v27, v94, v76, v27
	v_pk_fma_f16 v57, v95, v77, v57
	v_pk_fma_f16 v28, v95, v76, v28
	v_pk_fma_f16 v58, v96, v77, v58
	v_pk_fma_f16 v54, v96, v76, v54
	v_pk_fma_f16 v59, v97, v77, v59
	v_pk_fma_f16 v56, v97, v76, v56
	v_pk_fma_f16 v60, v98, v77, v60
	v_pk_fma_f16 v53, v98, v76, v53
	v_pk_fma_f16 v61, v99, v77, v61
	v_pk_fma_f16 v52, v99, v76, v52
	v_pk_fma_f16 v21, v92, v77, v21
	v_pk_fma_f16 v22, v92, v76, v22
	v_lshrrev_b32_e32 v149, 16, v81
	v_and_b32_e32 v81, 0xffff, v81
	v_mul_u32_u24_e32 v80, 0x10001, v80
	v_mul_u32_u24_e32 v148, 0x10001, v148
	v_pk_fma_f16 v25, v101, v79, v25
	v_pk_fma_f16 v26, v101, v78, v26
	v_pk_fma_f16 v55, v102, v79, v55
	v_pk_fma_f16 v27, v102, v78, v27
	v_pk_fma_f16 v57, v103, v79, v57
	v_pk_fma_f16 v28, v103, v78, v28
	v_pk_fma_f16 v58, v104, v79, v58
	v_pk_fma_f16 v54, v104, v78, v54
	v_pk_fma_f16 v59, v105, v79, v59
	v_pk_fma_f16 v56, v105, v78, v56
	v_pk_fma_f16 v60, v106, v79, v60
	v_pk_fma_f16 v53, v106, v78, v53
	v_pk_fma_f16 v61, v107, v79, v61
	v_pk_fma_f16 v52, v107, v78, v52
	v_pk_fma_f16 v21, v100, v79, v21
	v_pk_fma_f16 v22, v100, v78, v22
	v_lshrrev_b32_e32 v150, 16, v82
	v_and_b32_e32 v82, 0xffff, v82
	v_mul_u32_u24_e32 v81, 0x10001, v81
	v_mul_u32_u24_e32 v149, 0x10001, v149
	v_pk_fma_f16 v25, v109, v80, v25
	v_pk_fma_f16 v26, v109, v148, v26
	v_pk_fma_f16 v55, v110, v80, v55
	v_pk_fma_f16 v27, v110, v148, v27
	v_pk_fma_f16 v57, v111, v80, v57
	v_pk_fma_f16 v28, v111, v148, v28
	v_pk_fma_f16 v58, v112, v80, v58
	v_pk_fma_f16 v54, v112, v148, v54
	v_pk_fma_f16 v59, v113, v80, v59
	v_pk_fma_f16 v56, v113, v148, v56
	v_pk_fma_f16 v60, v114, v80, v60
	v_pk_fma_f16 v53, v114, v148, v53
	v_pk_fma_f16 v61, v115, v80, v61
	v_pk_fma_f16 v52, v115, v148, v52
	v_pk_fma_f16 v21, v108, v80, v21
	v_pk_fma_f16 v22, v108, v148, v22
	v_lshrrev_b32_e32 v151, 16, v83
	v_and_b32_e32 v83, 0xffff, v83
	v_mul_u32_u24_e32 v82, 0x10001, v82
	v_mul_u32_u24_e32 v150, 0x10001, v150
	v_pk_fma_f16 v25, v117, v81, v25
	v_pk_fma_f16 v26, v117, v149, v26
	v_pk_fma_f16 v55, v118, v81, v55
	v_pk_fma_f16 v27, v118, v149, v27
	v_pk_fma_f16 v57, v119, v81, v57
	v_pk_fma_f16 v28, v119, v149, v28
	v_pk_fma_f16 v58, v120, v81, v58
	v_pk_fma_f16 v54, v120, v149, v54
	v_pk_fma_f16 v59, v121, v81, v59
	v_pk_fma_f16 v56, v121, v149, v56
	v_pk_fma_f16 v60, v122, v81, v60
	v_pk_fma_f16 v53, v122, v149, v53
	v_pk_fma_f16 v61, v123, v81, v61
	v_pk_fma_f16 v52, v123, v149, v52
	v_pk_fma_f16 v21, v116, v81, v21
	v_pk_fma_f16 v22, v116, v149, v22
	v_mul_u32_u24_e32 v83, 0x10001, v83
	v_mul_u32_u24_e32 v151, 0x10001, v151
	v_pk_fma_f16 v25, v125, v82, v25
	v_pk_fma_f16 v26, v125, v150, v26
	;; [unrolled: 1-line block ×32, first 2 shown]
	s_wait_loadcnt 0x1
	ds_store_b128 v42, v[140:143]
	s_wait_loadcnt 0x0
	ds_store_b128 v43, v[144:147]
	s_wait_dscnt 0x0
	s_barrier_signal -1
	s_barrier_wait -1
	global_inv scope:SCOPE_SE
	ds_load_2addr_b64 v[25:28], v44 offset1:32
	ds_load_2addr_b64 v[52:55], v44 offset0:64 offset1:96
	ds_load_b128 v[56:59], v41 offset:32
	ds_load_b128 v[60:63], v41 offset:48
	ds_load_2addr_b64 v[64:67], v44 offset0:128 offset1:160
	ds_load_2addr_b64 v[68:71], v44 offset0:192 offset1:224
	ds_load_2addr_b64 v[72:75], v49 offset1:32
	ds_load_2addr_b64 v[76:79], v49 offset0:64 offset1:96
	ds_load_2addr_b64 v[80:83], v49 offset0:128 offset1:160
	ds_load_2addr_b64 v[84:87], v49 offset0:192 offset1:224
	ds_load_2addr_b64 v[88:91], v50 offset1:32
	ds_load_2addr_b64 v[92:95], v50 offset0:64 offset1:96
	;; [unrolled: 4-line block ×3, first 2 shown]
	ds_load_2addr_b64 v[112:115], v51 offset0:128 offset1:160
	ds_load_2addr_b64 v[116:119], v51 offset0:192 offset1:224
	s_wait_loadcnt_dscnt 0x0
	s_barrier_signal -1
	s_barrier_wait -1
	global_inv scope:SCOPE_SE
	s_clause 0x1
	global_load_b128 v[120:123], v[19:20], off
	global_load_b128 v[19:22], v[19:20], off offset:512
	v_lshrrev_b32_e32 v140, 16, v56
	v_and_b32_e32 v56, 0xffff, v56
	v_lshrrev_b32_e32 v141, 16, v57
	v_and_b32_e32 v57, 0xffff, v57
	v_lshrrev_b32_e32 v142, 16, v58
	v_mul_u32_u24_e32 v140, 0x10001, v140
	v_mul_u32_u24_e32 v56, 0x10001, v56
	v_and_b32_e32 v58, 0xffff, v58
	v_mul_u32_u24_e32 v57, 0x10001, v57
	v_mul_u32_u24_e32 v141, 0x10001, v141
	v_lshrrev_b32_e32 v143, 16, v59
	v_pk_fma_f16 v139, v25, v56, v139
	v_pk_fma_f16 v25, v25, v140, v132
	v_pk_fma_f16 v124, v26, v56, v124
	v_pk_fma_f16 v26, v26, v140, v125
	v_pk_fma_f16 v125, v27, v56, v126
	v_pk_fma_f16 v27, v27, v140, v127
	v_pk_fma_f16 v126, v28, v56, v128
	v_pk_fma_f16 v28, v28, v140, v129
	v_pk_fma_f16 v127, v52, v56, v130
	v_pk_fma_f16 v52, v52, v140, v131
	v_pk_fma_f16 v128, v53, v56, v133
	v_pk_fma_f16 v53, v53, v140, v134
	v_pk_fma_f16 v129, v54, v56, v135
	v_pk_fma_f16 v54, v54, v140, v136
	v_pk_fma_f16 v56, v55, v56, v137
	v_pk_fma_f16 v55, v55, v140, v138
	v_and_b32_e32 v59, 0xffff, v59
	v_mul_u32_u24_e32 v58, 0x10001, v58
	v_mul_u32_u24_e32 v142, 0x10001, v142
	v_pk_fma_f16 v130, v64, v57, v139
	v_pk_fma_f16 v25, v64, v141, v25
	v_pk_fma_f16 v64, v65, v57, v124
	v_pk_fma_f16 v26, v65, v141, v26
	v_pk_fma_f16 v65, v66, v57, v125
	v_pk_fma_f16 v27, v66, v141, v27
	v_pk_fma_f16 v66, v67, v57, v126
	v_pk_fma_f16 v28, v67, v141, v28
	v_pk_fma_f16 v67, v68, v57, v127
	v_pk_fma_f16 v52, v68, v141, v52
	v_pk_fma_f16 v68, v69, v57, v128
	v_pk_fma_f16 v53, v69, v141, v53
	v_pk_fma_f16 v69, v70, v57, v129
	v_pk_fma_f16 v54, v70, v141, v54
	v_pk_fma_f16 v56, v71, v57, v56
	v_pk_fma_f16 v55, v71, v141, v55
	v_lshrrev_b32_e32 v144, 16, v60
	v_and_b32_e32 v60, 0xffff, v60
	v_mul_u32_u24_e32 v59, 0x10001, v59
	v_mul_u32_u24_e32 v143, 0x10001, v143
	v_pk_fma_f16 v57, v72, v58, v130
	v_pk_fma_f16 v25, v72, v142, v25
	v_pk_fma_f16 v64, v73, v58, v64
	v_pk_fma_f16 v26, v73, v142, v26
	v_pk_fma_f16 v65, v74, v58, v65
	v_pk_fma_f16 v27, v74, v142, v27
	v_pk_fma_f16 v66, v75, v58, v66
	v_pk_fma_f16 v28, v75, v142, v28
	v_pk_fma_f16 v67, v76, v58, v67
	v_pk_fma_f16 v52, v76, v142, v52
	v_pk_fma_f16 v68, v77, v58, v68
	v_pk_fma_f16 v53, v77, v142, v53
	v_pk_fma_f16 v69, v78, v58, v69
	v_pk_fma_f16 v54, v78, v142, v54
	v_pk_fma_f16 v56, v79, v58, v56
	v_pk_fma_f16 v55, v79, v142, v55
	v_lshrrev_b32_e32 v145, 16, v61
	;; [unrolled: 20-line block ×4, first 2 shown]
	v_and_b32_e32 v63, 0xffff, v63
	v_mul_u32_u24_e32 v62, 0x10001, v62
	v_mul_u32_u24_e32 v146, 0x10001, v146
	v_pk_fma_f16 v57, v96, v61, v57
	v_pk_fma_f16 v25, v96, v145, v25
	;; [unrolled: 1-line block ×16, first 2 shown]
	v_mul_u32_u24_e32 v63, 0x10001, v63
	v_mul_u32_u24_e32 v147, 0x10001, v147
	v_pk_fma_f16 v57, v104, v62, v57
	v_pk_fma_f16 v25, v104, v146, v25
	;; [unrolled: 1-line block ×32, first 2 shown]
	s_wait_loadcnt 0x1
	ds_store_b128 v42, v[120:123]
	s_wait_loadcnt 0x0
	ds_store_b128 v43, v[19:22]
	s_wait_dscnt 0x0
	s_barrier_signal -1
	s_barrier_wait -1
	global_inv scope:SCOPE_SE
	ds_load_2addr_b64 v[19:22], v44 offset1:32
	ds_load_2addr_b64 v[25:28], v44 offset0:64 offset1:96
	ds_load_b128 v[52:55], v41 offset:64
	ds_load_b128 v[56:59], v41 offset:80
	ds_load_2addr_b64 v[60:63], v44 offset0:128 offset1:160
	ds_load_2addr_b64 v[64:67], v44 offset0:192 offset1:224
	ds_load_2addr_b64 v[68:71], v49 offset1:32
	ds_load_2addr_b64 v[72:75], v49 offset0:64 offset1:96
	ds_load_2addr_b64 v[76:79], v49 offset0:128 offset1:160
	ds_load_2addr_b64 v[80:83], v49 offset0:192 offset1:224
	ds_load_2addr_b64 v[84:87], v50 offset1:32
	ds_load_2addr_b64 v[88:91], v50 offset0:64 offset1:96
	;; [unrolled: 4-line block ×3, first 2 shown]
	ds_load_2addr_b64 v[108:111], v51 offset0:128 offset1:160
	ds_load_2addr_b64 v[112:115], v51 offset0:192 offset1:224
	s_wait_loadcnt_dscnt 0x0
	s_barrier_signal -1
	s_barrier_wait -1
	global_inv scope:SCOPE_SE
	s_clause 0x1
	global_load_b128 v[116:119], v[17:18], off
	global_load_b128 v[120:123], v[17:18], off offset:512
	v_lshrrev_b32_e32 v17, 16, v52
	v_and_b32_e32 v18, 0xffff, v52
	v_lshrrev_b32_e32 v52, 16, v53
	v_and_b32_e32 v53, 0xffff, v53
	v_lshrrev_b32_e32 v140, 16, v54
	v_mul_u32_u24_e32 v17, 0x10001, v17
	v_mul_u32_u24_e32 v18, 0x10001, v18
	v_and_b32_e32 v54, 0xffff, v54
	v_mul_u32_u24_e32 v53, 0x10001, v53
	v_mul_u32_u24_e32 v52, 0x10001, v52
	v_lshrrev_b32_e32 v141, 16, v55
	v_pk_fma_f16 v124, v19, v18, v124
	v_pk_fma_f16 v19, v19, v17, v125
	;; [unrolled: 1-line block ×16, first 2 shown]
	v_and_b32_e32 v55, 0xffff, v55
	v_mul_u32_u24_e32 v54, 0x10001, v54
	v_mul_u32_u24_e32 v140, 0x10001, v140
	v_pk_fma_f16 v28, v60, v53, v124
	v_pk_fma_f16 v19, v60, v52, v19
	v_pk_fma_f16 v60, v61, v53, v125
	v_pk_fma_f16 v20, v61, v52, v20
	v_pk_fma_f16 v61, v62, v53, v126
	v_pk_fma_f16 v21, v62, v52, v21
	v_pk_fma_f16 v62, v63, v53, v127
	v_pk_fma_f16 v22, v63, v52, v22
	v_pk_fma_f16 v63, v64, v53, v128
	v_pk_fma_f16 v25, v64, v52, v25
	v_pk_fma_f16 v64, v65, v53, v129
	v_pk_fma_f16 v26, v65, v52, v26
	v_pk_fma_f16 v65, v66, v53, v130
	v_pk_fma_f16 v27, v66, v52, v27
	v_pk_fma_f16 v18, v67, v53, v18
	v_pk_fma_f16 v17, v67, v52, v17
	v_lshrrev_b32_e32 v142, 16, v56
	v_and_b32_e32 v56, 0xffff, v56
	v_mul_u32_u24_e32 v55, 0x10001, v55
	v_mul_u32_u24_e32 v141, 0x10001, v141
	v_pk_fma_f16 v28, v68, v54, v28
	v_pk_fma_f16 v19, v68, v140, v19
	v_pk_fma_f16 v52, v69, v54, v60
	v_pk_fma_f16 v20, v69, v140, v20
	v_pk_fma_f16 v53, v70, v54, v61
	v_pk_fma_f16 v21, v70, v140, v21
	v_pk_fma_f16 v60, v71, v54, v62
	v_pk_fma_f16 v22, v71, v140, v22
	v_pk_fma_f16 v61, v72, v54, v63
	v_pk_fma_f16 v25, v72, v140, v25
	v_pk_fma_f16 v62, v73, v54, v64
	v_pk_fma_f16 v26, v73, v140, v26
	v_pk_fma_f16 v63, v74, v54, v65
	v_pk_fma_f16 v27, v74, v140, v27
	v_pk_fma_f16 v18, v75, v54, v18
	v_pk_fma_f16 v17, v75, v140, v17
	v_lshrrev_b32_e32 v143, 16, v57
	;; [unrolled: 20-line block ×4, first 2 shown]
	v_and_b32_e32 v59, 0xffff, v59
	v_mul_u32_u24_e32 v58, 0x10001, v58
	v_mul_u32_u24_e32 v144, 0x10001, v144
	v_pk_fma_f16 v28, v92, v57, v28
	v_pk_fma_f16 v19, v92, v143, v19
	v_pk_fma_f16 v52, v93, v57, v52
	v_pk_fma_f16 v20, v93, v143, v20
	v_pk_fma_f16 v53, v94, v57, v53
	v_pk_fma_f16 v21, v94, v143, v21
	v_pk_fma_f16 v54, v95, v57, v54
	v_pk_fma_f16 v22, v95, v143, v22
	v_pk_fma_f16 v55, v96, v57, v55
	v_pk_fma_f16 v25, v96, v143, v25
	v_pk_fma_f16 v56, v97, v57, v60
	v_pk_fma_f16 v26, v97, v143, v26
	v_pk_fma_f16 v60, v98, v57, v61
	v_pk_fma_f16 v27, v98, v143, v27
	v_pk_fma_f16 v18, v99, v57, v18
	v_pk_fma_f16 v17, v99, v143, v17
	v_mul_u32_u24_e32 v59, 0x10001, v59
	v_mul_u32_u24_e32 v145, 0x10001, v145
	v_pk_fma_f16 v28, v100, v58, v28
	v_pk_fma_f16 v19, v100, v144, v19
	;; [unrolled: 1-line block ×32, first 2 shown]
	s_wait_loadcnt 0x1
	ds_store_b128 v42, v[116:119]
	s_wait_loadcnt 0x0
	ds_store_b128 v43, v[120:123]
	s_wait_dscnt 0x0
	s_barrier_signal -1
	s_barrier_wait -1
	global_inv scope:SCOPE_SE
	ds_load_2addr_b64 v[17:20], v44 offset1:32
	ds_load_2addr_b64 v[25:28], v44 offset0:64 offset1:96
	ds_load_b128 v[52:55], v41 offset:96
	ds_load_b128 v[56:59], v41 offset:112
	ds_load_2addr_b64 v[60:63], v44 offset0:128 offset1:160
	ds_load_2addr_b64 v[64:67], v44 offset0:192 offset1:224
	ds_load_2addr_b64 v[68:71], v49 offset1:32
	ds_load_2addr_b64 v[72:75], v49 offset0:64 offset1:96
	ds_load_2addr_b64 v[76:79], v49 offset0:128 offset1:160
	ds_load_2addr_b64 v[80:83], v49 offset0:192 offset1:224
	ds_load_2addr_b64 v[84:87], v50 offset1:32
	ds_load_2addr_b64 v[88:91], v50 offset0:64 offset1:96
	;; [unrolled: 4-line block ×3, first 2 shown]
	ds_load_2addr_b64 v[108:111], v51 offset0:128 offset1:160
	ds_load_2addr_b64 v[112:115], v51 offset0:192 offset1:224
	s_wait_loadcnt_dscnt 0x0
	s_barrier_signal -1
	s_barrier_wait -1
	global_inv scope:SCOPE_SE
	s_clause 0x1
	global_load_b128 v[116:119], v[15:16], off
	global_load_b128 v[120:123], v[15:16], off offset:512
	v_lshrrev_b32_e32 v15, 16, v52
	v_and_b32_e32 v16, 0xffff, v52
	v_lshrrev_b32_e32 v52, 16, v53
	v_and_b32_e32 v53, 0xffff, v53
	;; [unrolled: 2-line block ×3, first 2 shown]
	v_mul_u32_u24_e32 v16, 0x10001, v16
	v_mul_u32_u24_e32 v15, 0x10001, v15
	v_lshrrev_b32_e32 v138, 16, v54
	v_and_b32_e32 v54, 0xffff, v54
	v_mul_u32_u24_e32 v53, 0x10001, v53
	v_mul_u32_u24_e32 v52, 0x10001, v52
	;; [unrolled: 1-line block ×3, first 2 shown]
	v_pk_fma_f16 v59, v17, v16, v124
	v_pk_fma_f16 v17, v17, v15, v125
	v_pk_fma_f16 v124, v18, v16, v126
	v_pk_fma_f16 v18, v18, v15, v127
	v_pk_fma_f16 v125, v19, v16, v128
	v_pk_fma_f16 v19, v19, v15, v21
	v_pk_fma_f16 v21, v20, v16, v129
	v_pk_fma_f16 v20, v20, v15, v22
	v_pk_fma_f16 v22, v25, v16, v130
	v_pk_fma_f16 v25, v25, v15, v131
	v_lshrrev_b32_e32 v139, 16, v55
	v_and_b32_e32 v55, 0xffff, v55
	v_mul_u32_u24_e32 v54, 0x10001, v54
	v_mul_u32_u24_e32 v138, 0x10001, v138
	v_pk_fma_f16 v126, v26, v16, v132
	v_pk_fma_f16 v26, v26, v15, v133
	v_pk_fma_f16 v127, v27, v16, v134
	v_pk_fma_f16 v27, v27, v15, v135
	v_pk_fma_f16 v16, v28, v16, v136
	v_pk_fma_f16 v15, v28, v15, v137
	v_pk_fma_f16 v28, v60, v53, v59
	v_pk_fma_f16 v17, v60, v52, v17
	v_pk_fma_f16 v59, v61, v53, v124
	v_pk_fma_f16 v18, v61, v52, v18
	v_pk_fma_f16 v60, v62, v53, v125
	v_pk_fma_f16 v19, v62, v52, v19
	v_pk_fma_f16 v21, v63, v53, v21
	v_pk_fma_f16 v20, v63, v52, v20
	v_pk_fma_f16 v22, v64, v53, v22
	v_pk_fma_f16 v25, v64, v52, v25
	v_lshrrev_b32_e32 v140, 16, v56
	v_and_b32_e32 v56, 0xffff, v56
	v_mul_u32_u24_e32 v55, 0x10001, v55
	v_mul_u32_u24_e32 v139, 0x10001, v139
	v_pk_fma_f16 v61, v65, v53, v126
	v_pk_fma_f16 v26, v65, v52, v26
	v_pk_fma_f16 v62, v66, v53, v127
	v_pk_fma_f16 v27, v66, v52, v27
	v_pk_fma_f16 v16, v67, v53, v16
	v_pk_fma_f16 v15, v67, v52, v15
	;; [unrolled: 20-line block ×4, first 2 shown]
	v_pk_fma_f16 v28, v84, v56, v28
	v_pk_fma_f16 v17, v84, v140, v17
	;; [unrolled: 1-line block ×10, first 2 shown]
	v_mul_u32_u24_e32 v58, 0x10001, v58
	v_mul_u32_u24_e32 v142, 0x10001, v142
	v_pk_fma_f16 v54, v89, v56, v54
	v_pk_fma_f16 v26, v89, v140, v26
	v_pk_fma_f16 v55, v90, v56, v59
	v_pk_fma_f16 v27, v90, v140, v27
	v_pk_fma_f16 v16, v91, v56, v16
	v_pk_fma_f16 v15, v91, v140, v15
	v_pk_fma_f16 v28, v92, v57, v28
	v_pk_fma_f16 v17, v92, v141, v17
	v_pk_fma_f16 v52, v93, v57, v52
	v_pk_fma_f16 v18, v93, v141, v18
	v_pk_fma_f16 v53, v94, v57, v53
	v_pk_fma_f16 v19, v94, v141, v19
	v_pk_fma_f16 v21, v95, v57, v21
	v_pk_fma_f16 v20, v95, v141, v20
	v_pk_fma_f16 v22, v96, v57, v22
	v_pk_fma_f16 v25, v96, v141, v25
	v_mul_u32_u24_e32 v143, 0x10001, v143
	v_pk_fma_f16 v54, v97, v57, v54
	v_pk_fma_f16 v26, v97, v141, v26
	;; [unrolled: 1-line block ×32, first 2 shown]
	s_wait_loadcnt 0x1
	ds_store_b128 v42, v[116:119]
	s_wait_loadcnt 0x0
	ds_store_b128 v43, v[120:123]
	s_wait_dscnt 0x0
	s_barrier_signal -1
	s_barrier_wait -1
	global_inv scope:SCOPE_SE
	ds_load_2addr_b64 v[15:18], v44 offset1:32
	ds_load_2addr_b64 v[19:22], v44 offset0:64 offset1:96
	ds_load_b128 v[25:28], v41 offset:128
	ds_load_b128 v[52:55], v41 offset:144
	ds_load_2addr_b64 v[56:59], v44 offset0:128 offset1:160
	ds_load_2addr_b64 v[60:63], v44 offset0:192 offset1:224
	ds_load_2addr_b64 v[64:67], v49 offset1:32
	ds_load_2addr_b64 v[68:71], v49 offset0:64 offset1:96
	ds_load_2addr_b64 v[72:75], v49 offset0:128 offset1:160
	ds_load_2addr_b64 v[76:79], v49 offset0:192 offset1:224
	ds_load_2addr_b64 v[80:83], v50 offset1:32
	ds_load_2addr_b64 v[84:87], v50 offset0:64 offset1:96
	;; [unrolled: 4-line block ×3, first 2 shown]
	ds_load_2addr_b64 v[104:107], v51 offset0:128 offset1:160
	ds_load_2addr_b64 v[108:111], v51 offset0:192 offset1:224
	s_wait_loadcnt_dscnt 0x0
	s_barrier_signal -1
	s_barrier_wait -1
	global_inv scope:SCOPE_SE
	s_clause 0x1
	global_load_b128 v[116:119], v[13:14], off
	global_load_b128 v[120:123], v[13:14], off offset:512
	v_pk_fma_f16 v14, v113, v143, v125
	v_lshrrev_b32_e32 v125, 16, v25
	v_and_b32_e32 v25, 0xffff, v25
	v_pk_fma_f16 v13, v113, v144, v124
	v_pk_fma_f16 v113, v114, v144, v126
	;; [unrolled: 1-line block ×5, first 2 shown]
	v_lshrrev_b32_e32 v126, 16, v26
	v_and_b32_e32 v26, 0xffff, v26
	v_lshrrev_b32_e32 v140, 16, v54
	v_and_b32_e32 v54, 0xffff, v54
	;; [unrolled: 2-line block ×3, first 2 shown]
	v_mul_u32_u24_e32 v25, 0x10001, v25
	v_mul_u32_u24_e32 v125, 0x10001, v125
	v_lshrrev_b32_e32 v127, 16, v27
	v_and_b32_e32 v27, 0xffff, v27
	v_mul_u32_u24_e32 v26, 0x10001, v26
	v_mul_u32_u24_e32 v126, 0x10001, v126
	;; [unrolled: 1-line block ×4, first 2 shown]
	v_pk_fma_f16 v54, v15, v25, v130
	v_pk_fma_f16 v15, v15, v125, v131
	v_pk_fma_f16 v55, v16, v25, v132
	v_pk_fma_f16 v16, v16, v125, v133
	v_pk_fma_f16 v130, v17, v25, v134
	v_pk_fma_f16 v17, v17, v125, v135
	v_pk_fma_f16 v131, v18, v25, v136
	v_pk_fma_f16 v18, v18, v125, v137
	v_pk_fma_f16 v132, v19, v25, v138
	v_pk_fma_f16 v19, v19, v125, v112
	v_pk_fma_f16 v13, v20, v25, v13
	v_pk_fma_f16 v14, v20, v125, v14
	v_pk_fma_f16 v20, v21, v25, v113
	v_pk_fma_f16 v21, v21, v125, v114
	v_pk_fma_f16 v25, v22, v25, v124
	v_pk_fma_f16 v22, v22, v125, v115
	v_lshrrev_b32_e32 v128, 16, v28
	v_and_b32_e32 v28, 0xffff, v28
	v_mul_u32_u24_e32 v27, 0x10001, v27
	v_mul_u32_u24_e32 v127, 0x10001, v127
	v_pk_fma_f16 v54, v56, v26, v54
	v_pk_fma_f16 v15, v56, v126, v15
	v_pk_fma_f16 v55, v57, v26, v55
	v_pk_fma_f16 v16, v57, v126, v16
	v_pk_fma_f16 v56, v58, v26, v130
	v_pk_fma_f16 v17, v58, v126, v17
	v_pk_fma_f16 v57, v59, v26, v131
	v_pk_fma_f16 v18, v59, v126, v18
	v_pk_fma_f16 v58, v60, v26, v132
	v_pk_fma_f16 v19, v60, v126, v19
	v_pk_fma_f16 v13, v61, v26, v13
	v_pk_fma_f16 v14, v61, v126, v14
	v_pk_fma_f16 v20, v62, v26, v20
	v_pk_fma_f16 v21, v62, v126, v21
	v_pk_fma_f16 v25, v63, v26, v25
	v_pk_fma_f16 v22, v63, v126, v22
	v_lshrrev_b32_e32 v129, 16, v52
	v_and_b32_e32 v52, 0xffff, v52
	v_mul_u32_u24_e32 v28, 0x10001, v28
	v_mul_u32_u24_e32 v128, 0x10001, v128
	;; [unrolled: 20-line block ×3, first 2 shown]
	v_pk_fma_f16 v26, v72, v28, v26
	v_pk_fma_f16 v15, v72, v128, v15
	;; [unrolled: 1-line block ×16, first 2 shown]
	v_mul_u32_u24_e32 v53, 0x10001, v53
	v_mul_u32_u24_e32 v139, 0x10001, v139
	v_pk_fma_f16 v26, v80, v52, v26
	v_pk_fma_f16 v15, v80, v129, v15
	;; [unrolled: 1-line block ×32, first 2 shown]
	s_wait_loadcnt 0x1
	ds_store_b128 v42, v[116:119]
	s_wait_loadcnt 0x0
	ds_store_b128 v43, v[120:123]
	s_wait_dscnt 0x0
	s_barrier_signal -1
	s_barrier_wait -1
	global_inv scope:SCOPE_SE
	ds_load_2addr_b64 v[13:16], v44 offset1:32
	ds_load_2addr_b64 v[17:20], v44 offset0:64 offset1:96
	ds_load_b128 v[25:28], v41 offset:160
	ds_load_b128 v[52:55], v41 offset:176
	ds_load_2addr_b64 v[56:59], v44 offset0:128 offset1:160
	ds_load_2addr_b64 v[60:63], v44 offset0:192 offset1:224
	ds_load_2addr_b64 v[64:67], v49 offset1:32
	ds_load_2addr_b64 v[68:71], v49 offset0:64 offset1:96
	ds_load_2addr_b64 v[72:75], v49 offset0:128 offset1:160
	ds_load_2addr_b64 v[76:79], v49 offset0:192 offset1:224
	ds_load_2addr_b64 v[80:83], v50 offset1:32
	ds_load_2addr_b64 v[84:87], v50 offset0:64 offset1:96
	;; [unrolled: 4-line block ×3, first 2 shown]
	ds_load_2addr_b64 v[120:123], v51 offset0:128 offset1:160
	ds_load_2addr_b64 v[124:127], v51 offset0:192 offset1:224
	s_wait_loadcnt_dscnt 0x0
	s_barrier_signal -1
	s_barrier_wait -1
	global_inv scope:SCOPE_SE
	s_clause 0x1
	global_load_b128 v[128:131], v[9:10], off
	global_load_b128 v[132:135], v[9:10], off offset:512
	v_mul_u32_u24_e32 v140, 0x10001, v140
	v_mul_u32_u24_e32 v141, 0x10001, v141
	v_pk_fma_f16 v9, v96, v142, v136
	v_pk_fma_f16 v136, v98, v142, v145
	;; [unrolled: 1-line block ×14, first 2 shown]
	v_lshrrev_b32_e32 v108, 16, v25
	v_and_b32_e32 v25, 0xffff, v25
	v_pk_fma_f16 v137, v99, v142, v147
	v_pk_fma_f16 v99, v99, v140, v148
	;; [unrolled: 1-line block ×12, first 2 shown]
	v_lshrrev_b32_e32 v109, 16, v26
	v_and_b32_e32 v26, 0xffff, v26
	v_mul_u32_u24_e32 v25, 0x10001, v25
	v_mul_u32_u24_e32 v108, 0x10001, v108
	v_pk_fma_f16 v104, v107, v143, v137
	v_pk_fma_f16 v99, v107, v141, v99
	;; [unrolled: 1-line block ×6, first 2 shown]
	v_lshrrev_b32_e32 v110, 16, v27
	v_and_b32_e32 v27, 0xffff, v27
	v_lshrrev_b32_e32 v138, 16, v54
	v_and_b32_e32 v54, 0xffff, v54
	;; [unrolled: 2-line block ×3, first 2 shown]
	v_mul_u32_u24_e32 v26, 0x10001, v26
	v_mul_u32_u24_e32 v109, 0x10001, v109
	v_pk_fma_f16 v9, v13, v25, v9
	v_pk_fma_f16 v10, v13, v108, v10
	v_lshrrev_b32_e32 v111, 16, v28
	v_and_b32_e32 v28, 0xffff, v28
	v_mul_u32_u24_e32 v27, 0x10001, v27
	v_mul_u32_u24_e32 v110, 0x10001, v110
	;; [unrolled: 1-line block ×4, first 2 shown]
	v_pk_fma_f16 v13, v14, v25, v96
	v_pk_fma_f16 v14, v14, v108, v97
	;; [unrolled: 1-line block ×16, first 2 shown]
	v_lshrrev_b32_e32 v136, 16, v52
	v_and_b32_e32 v52, 0xffff, v52
	v_mul_u32_u24_e32 v28, 0x10001, v28
	v_mul_u32_u24_e32 v111, 0x10001, v111
	v_pk_fma_f16 v13, v57, v26, v13
	v_pk_fma_f16 v14, v57, v109, v14
	;; [unrolled: 1-line block ×16, first 2 shown]
	v_lshrrev_b32_e32 v137, 16, v53
	v_and_b32_e32 v53, 0xffff, v53
	v_mul_u32_u24_e32 v52, 0x10001, v52
	v_mul_u32_u24_e32 v136, 0x10001, v136
	v_pk_fma_f16 v13, v65, v27, v13
	v_pk_fma_f16 v14, v65, v110, v14
	;; [unrolled: 1-line block ×16, first 2 shown]
	v_mul_u32_u24_e32 v53, 0x10001, v53
	v_mul_u32_u24_e32 v137, 0x10001, v137
	v_pk_fma_f16 v13, v73, v28, v13
	v_pk_fma_f16 v14, v73, v111, v14
	;; [unrolled: 1-line block ×16, first 2 shown]
	v_mul_u32_u24_e32 v138, 0x10001, v138
	v_pk_fma_f16 v13, v81, v52, v13
	v_pk_fma_f16 v14, v81, v136, v14
	;; [unrolled: 1-line block ×32, first 2 shown]
	s_wait_loadcnt 0x1
	ds_store_b128 v42, v[128:131]
	s_wait_loadcnt 0x0
	ds_store_b128 v43, v[132:135]
	s_wait_dscnt 0x0
	s_barrier_signal -1
	s_barrier_wait -1
	global_inv scope:SCOPE_SE
	ds_load_2addr_b64 v[13:16], v44 offset1:32
	ds_load_2addr_b64 v[17:20], v44 offset0:64 offset1:96
	ds_load_b128 v[25:28], v41 offset:192
	ds_load_b128 v[52:55], v41 offset:208
	ds_load_2addr_b64 v[56:59], v44 offset0:128 offset1:160
	ds_load_2addr_b64 v[60:63], v44 offset0:192 offset1:224
	ds_load_2addr_b64 v[64:67], v49 offset1:32
	ds_load_2addr_b64 v[68:71], v49 offset0:64 offset1:96
	ds_load_2addr_b64 v[72:75], v49 offset0:128 offset1:160
	ds_load_2addr_b64 v[76:79], v49 offset0:192 offset1:224
	ds_load_2addr_b64 v[80:83], v50 offset1:32
	ds_load_2addr_b64 v[84:87], v50 offset0:64 offset1:96
	;; [unrolled: 4-line block ×3, first 2 shown]
	ds_load_2addr_b64 v[104:107], v51 offset0:128 offset1:160
	ds_load_2addr_b64 v[108:111], v51 offset0:192 offset1:224
	s_wait_loadcnt_dscnt 0x0
	s_barrier_signal -1
	s_barrier_wait -1
	global_inv scope:SCOPE_SE
	s_clause 0x1
	global_load_b128 v[128:131], v[7:8], off
	global_load_b128 v[7:10], v[7:8], off offset:512
	v_mul_u32_u24_e32 v139, 0x10001, v139
	v_pk_fma_f16 v132, v113, v140, v136
	v_pk_fma_f16 v113, v113, v138, v142
	;; [unrolled: 1-line block ×22, first 2 shown]
	v_lshrrev_b32_e32 v125, 16, v25
	v_and_b32_e32 v25, 0xffff, v25
	v_pk_fma_f16 v22, v122, v141, v22
	v_pk_fma_f16 v114, v122, v139, v114
	;; [unrolled: 1-line block ×8, first 2 shown]
	v_lshrrev_b32_e32 v126, 16, v26
	v_and_b32_e32 v26, 0xffff, v26
	v_mul_u32_u24_e32 v25, 0x10001, v25
	v_mul_u32_u24_e32 v125, 0x10001, v125
	v_lshrrev_b32_e32 v127, 16, v27
	v_and_b32_e32 v27, 0xffff, v27
	v_mul_u32_u24_e32 v26, 0x10001, v26
	v_mul_u32_u24_e32 v126, 0x10001, v126
	v_pk_fma_f16 v137, v13, v25, v137
	v_pk_fma_f16 v13, v13, v125, v112
	v_pk_fma_f16 v112, v14, v25, v120
	v_pk_fma_f16 v14, v14, v125, v113
	v_pk_fma_f16 v22, v15, v25, v22
	v_pk_fma_f16 v15, v15, v125, v114
	v_pk_fma_f16 v113, v16, v25, v121
	v_pk_fma_f16 v16, v16, v125, v115
	v_pk_fma_f16 v114, v17, v25, v122
	v_pk_fma_f16 v17, v17, v125, v116
	v_pk_fma_f16 v115, v18, v25, v123
	v_pk_fma_f16 v18, v18, v125, v117
	v_pk_fma_f16 v116, v19, v25, v124
	v_pk_fma_f16 v19, v19, v125, v118
	v_pk_fma_f16 v21, v20, v25, v21
	v_pk_fma_f16 v20, v20, v125, v119
	v_lshrrev_b32_e32 v132, 16, v28
	v_and_b32_e32 v28, 0xffff, v28
	v_mul_u32_u24_e32 v27, 0x10001, v27
	v_mul_u32_u24_e32 v127, 0x10001, v127
	v_pk_fma_f16 v25, v56, v26, v137
	v_pk_fma_f16 v13, v56, v126, v13
	v_pk_fma_f16 v56, v57, v26, v112
	v_pk_fma_f16 v14, v57, v126, v14
	v_pk_fma_f16 v22, v58, v26, v22
	v_pk_fma_f16 v15, v58, v126, v15
	v_pk_fma_f16 v57, v59, v26, v113
	v_pk_fma_f16 v16, v59, v126, v16
	v_pk_fma_f16 v58, v60, v26, v114
	v_pk_fma_f16 v17, v60, v126, v17
	v_pk_fma_f16 v59, v61, v26, v115
	v_pk_fma_f16 v18, v61, v126, v18
	v_pk_fma_f16 v60, v62, v26, v116
	v_pk_fma_f16 v19, v62, v126, v19
	v_pk_fma_f16 v21, v63, v26, v21
	v_pk_fma_f16 v20, v63, v126, v20
	;; [unrolled: 20-line block ×6, first 2 shown]
	v_mul_u32_u24_e32 v55, 0x10001, v55
	v_mul_u32_u24_e32 v136, 0x10001, v136
	v_pk_fma_f16 v25, v96, v54, v25
	v_pk_fma_f16 v13, v96, v135, v13
	;; [unrolled: 1-line block ×32, first 2 shown]
	s_wait_loadcnt 0x1
	ds_store_b128 v42, v[128:131]
	s_wait_loadcnt 0x0
	ds_store_b128 v43, v[7:10]
	s_wait_dscnt 0x0
	s_barrier_signal -1
	s_barrier_wait -1
	global_inv scope:SCOPE_SE
	ds_load_2addr_b64 v[7:10], v44 offset1:32
	ds_load_2addr_b64 v[13:16], v44 offset0:64 offset1:96
	ds_load_b128 v[17:20], v41 offset:224
	ds_load_b128 v[25:28], v41 offset:240
	ds_load_2addr_b64 v[52:55], v44 offset0:128 offset1:160
	ds_load_2addr_b64 v[56:59], v44 offset0:192 offset1:224
	ds_load_2addr_b64 v[60:63], v49 offset1:32
	ds_load_2addr_b64 v[64:67], v49 offset0:64 offset1:96
	ds_load_2addr_b64 v[68:71], v49 offset0:128 offset1:160
	ds_load_2addr_b64 v[72:75], v49 offset0:192 offset1:224
	ds_load_2addr_b64 v[76:79], v50 offset1:32
	ds_load_2addr_b64 v[80:83], v50 offset0:64 offset1:96
	;; [unrolled: 4-line block ×3, first 2 shown]
	ds_load_2addr_b64 v[100:103], v51 offset0:128 offset1:160
	ds_load_2addr_b64 v[104:107], v51 offset0:192 offset1:224
	s_wait_loadcnt_dscnt 0x0
	s_barrier_signal -1
	s_barrier_wait -1
	global_inv scope:SCOPE_SE
	v_lshrrev_b32_e32 v122, 16, v17
	v_and_b32_e32 v17, 0xffff, v17
	v_lshrrev_b32_e32 v123, 16, v18
	v_and_b32_e32 v18, 0xffff, v18
	v_lshrrev_b32_e32 v124, 16, v19
	v_mul_u32_u24_e32 v122, 0x10001, v122
	v_mul_u32_u24_e32 v17, 0x10001, v17
	v_and_b32_e32 v19, 0xffff, v19
	v_mul_u32_u24_e32 v18, 0x10001, v18
	v_mul_u32_u24_e32 v123, 0x10001, v123
	v_lshrrev_b32_e32 v125, 16, v20
	v_pk_fma_f16 v112, v7, v17, v112
	v_pk_fma_f16 v7, v7, v122, v113
	;; [unrolled: 1-line block ×16, first 2 shown]
	v_and_b32_e32 v20, 0xffff, v20
	v_mul_u32_u24_e32 v19, 0x10001, v19
	v_mul_u32_u24_e32 v124, 0x10001, v124
	v_pk_fma_f16 v21, v52, v18, v112
	v_pk_fma_f16 v7, v52, v123, v7
	;; [unrolled: 1-line block ×16, first 2 shown]
	v_lshrrev_b32_e32 v126, 16, v25
	v_and_b32_e32 v25, 0xffff, v25
	v_mul_u32_u24_e32 v20, 0x10001, v20
	v_mul_u32_u24_e32 v125, 0x10001, v125
	v_pk_fma_f16 v18, v60, v19, v21
	v_pk_fma_f16 v7, v60, v124, v7
	v_pk_fma_f16 v21, v61, v19, v52
	v_pk_fma_f16 v8, v61, v124, v8
	v_pk_fma_f16 v22, v62, v19, v22
	v_pk_fma_f16 v9, v62, v124, v9
	v_pk_fma_f16 v52, v63, v19, v53
	v_pk_fma_f16 v10, v63, v124, v10
	v_pk_fma_f16 v53, v64, v19, v54
	v_pk_fma_f16 v13, v64, v124, v13
	v_pk_fma_f16 v54, v65, v19, v55
	v_pk_fma_f16 v14, v65, v124, v14
	v_pk_fma_f16 v55, v66, v19, v56
	v_pk_fma_f16 v15, v66, v124, v15
	v_pk_fma_f16 v17, v67, v19, v17
	v_pk_fma_f16 v16, v67, v124, v16
	s_load_b32 s2, s[24:25], 0x4
	v_lshrrev_b32_e32 v127, 16, v26
	v_and_b32_e32 v26, 0xffff, v26
	v_mul_u32_u24_e32 v25, 0x10001, v25
	v_mul_u32_u24_e32 v126, 0x10001, v126
	v_pk_fma_f16 v18, v68, v20, v18
	v_pk_fma_f16 v7, v68, v125, v7
	v_pk_fma_f16 v19, v69, v20, v21
	v_pk_fma_f16 v8, v69, v125, v8
	v_pk_fma_f16 v21, v70, v20, v22
	v_pk_fma_f16 v9, v70, v125, v9
	v_pk_fma_f16 v22, v71, v20, v52
	v_pk_fma_f16 v10, v71, v125, v10
	v_pk_fma_f16 v52, v72, v20, v53
	v_pk_fma_f16 v13, v72, v125, v13
	v_pk_fma_f16 v53, v73, v20, v54
	v_pk_fma_f16 v14, v73, v125, v14
	v_pk_fma_f16 v54, v74, v20, v55
	v_pk_fma_f16 v15, v74, v125, v15
	v_pk_fma_f16 v17, v75, v20, v17
	v_pk_fma_f16 v16, v75, v125, v16
	v_lshrrev_b32_e32 v128, 16, v27
	v_and_b32_e32 v27, 0xffff, v27
	v_mul_u32_u24_e32 v26, 0x10001, v26
	v_mul_u32_u24_e32 v127, 0x10001, v127
	v_pk_fma_f16 v18, v76, v25, v18
	v_pk_fma_f16 v7, v76, v126, v7
	v_pk_fma_f16 v19, v77, v25, v19
	v_pk_fma_f16 v8, v77, v126, v8
	v_pk_fma_f16 v20, v78, v25, v21
	v_pk_fma_f16 v9, v78, v126, v9
	v_pk_fma_f16 v21, v79, v25, v22
	v_pk_fma_f16 v10, v79, v126, v10
	v_pk_fma_f16 v22, v80, v25, v52
	v_pk_fma_f16 v13, v80, v126, v13
	v_pk_fma_f16 v52, v81, v25, v53
	v_pk_fma_f16 v14, v81, v126, v14
	v_pk_fma_f16 v53, v82, v25, v54
	v_pk_fma_f16 v15, v82, v126, v15
	v_pk_fma_f16 v17, v83, v25, v17
	v_pk_fma_f16 v16, v83, v126, v16
	;; [unrolled: 20-line block ×3, first 2 shown]
	v_mul_u32_u24_e32 v28, 0x10001, v28
	v_mul_u32_u24_e32 v129, 0x10001, v129
	v_pk_fma_f16 v18, v92, v27, v18
	v_pk_fma_f16 v7, v92, v128, v7
	;; [unrolled: 1-line block ×16, first 2 shown]
	s_wait_kmcnt 0x0
	s_lshl_b32 s2, s2, 6
	v_pk_fma_f16 v63, v100, v28, v18
	v_pk_fma_f16 v55, v100, v129, v7
	;; [unrolled: 1-line block ×16, first 2 shown]
	s_wait_alu 0xfffe
	s_add_co_i32 s14, s2, s14
	s_wait_alu 0xfffe
	s_cmp_ge_i32 s14, s30
	s_cbranch_scc0 .LBB5_13
; %bb.14:
	v_dual_mov_b32 v2, 32 :: v_dual_mov_b32 v3, v32
.LBB5_15:
	s_delay_alu instid0(VALU_DEP_1)
	v_cmp_lt_i32_e32 vcc_lo, v37, v2
	s_cmp_lg_u64 s[12:13], 0
	s_cselect_b32 s2, -1, 0
	s_cmp_eq_u32 s10, 0
	s_wait_alu 0xfffd
	v_cndmask_b32_e32 v4, v3, v37, vcc_lo
	v_cmp_lt_i32_e32 vcc_lo, v36, v2
	s_cselect_b32 s3, -1, 0
	s_wait_alu 0xfffe
	s_and_b32 s2, s3, s2
	v_lshlrev_b32_e32 v4, 2, v4
	s_wait_alu 0xfffd
	v_cndmask_b32_e32 v6, v3, v36, vcc_lo
	v_cmp_lt_i32_e32 vcc_lo, v35, v2
	ds_bpermute_b32 v5, v4, v24
	v_lshlrev_b32_e32 v6, 2, v6
	s_wait_alu 0xfffd
	v_cndmask_b32_e32 v8, v3, v35, vcc_lo
	v_cmp_lt_i32_e32 vcc_lo, v34, v2
	s_wait_dscnt 0x0
	s_delay_alu instid0(VALU_DEP_2)
	v_dual_add_f32 v5, v24, v5 :: v_dual_lshlrev_b32 v8, 2, v8
	ds_bpermute_b32 v4, v4, v23
	ds_bpermute_b32 v7, v6, v5
	s_wait_dscnt 0x0
	v_dual_add_f32 v5, v5, v7 :: v_dual_add_f32 v4, v23, v4
	ds_bpermute_b32 v6, v6, v4
	s_wait_dscnt 0x0
	v_add_f32_e32 v4, v4, v6
	ds_bpermute_b32 v6, v8, v5
	ds_bpermute_b32 v7, v8, v4
	s_wait_alu 0xfffd
	v_cndmask_b32_e32 v8, v3, v34, vcc_lo
	v_cmp_lt_i32_e32 vcc_lo, v33, v2
	s_delay_alu instid0(VALU_DEP_2)
	v_lshlrev_b32_e32 v8, 2, v8
	s_wait_alu 0xfffd
	v_cndmask_b32_e32 v2, v3, v33, vcc_lo
	s_wait_alu 0xfffe
	s_and_b32 vcc_lo, exec_lo, s2
	s_mov_b32 s2, 0
	s_delay_alu instid0(VALU_DEP_1)
	v_lshlrev_b32_e32 v2, 2, v2
	s_wait_dscnt 0x0
	v_dual_add_f32 v5, v5, v6 :: v_dual_add_f32 v4, v4, v7
	ds_bpermute_b32 v6, v8, v5
	ds_bpermute_b32 v7, v8, v4
	s_wait_dscnt 0x1
	v_add_f32_e32 v3, v5, v6
	s_wait_dscnt 0x0
	v_dual_add_f32 v5, v4, v7 :: v_dual_add_nc_u32 v6, s33, v30
	ds_bpermute_b32 v4, v2, v3
	ds_bpermute_b32 v2, v2, v5
	s_wait_dscnt 0x0
	v_dual_add_f32 v4, v3, v4 :: v_dual_add_f32 v5, v5, v2
	s_wait_alu 0xfffe
	s_cbranch_vccnz .LBB5_18
; %bb.16:
	s_delay_alu instid0(VALU_DEP_1) | instskip(NEXT) | instid1(VALU_DEP_2)
	v_dual_mov_b32 v2, v4 :: v_dual_add_nc_u32 v7, s33, v30
	v_mov_b32_e32 v3, v5
	s_and_not1_b32 vcc_lo, exec_lo, s2
	s_wait_alu 0xfffe
	s_cbranch_vccz .LBB5_19
; %bb.17:
	v_mov_b32_e32 v6, v7
	s_branch .LBB5_20
.LBB5_18:
                                        ; implicit-def: $vgpr7
                                        ; implicit-def: $vgpr2_vgpr3
.LBB5_19:
	v_ashrrev_i32_e32 v7, 31, v6
	s_delay_alu instid0(VALU_DEP_1) | instskip(NEXT) | instid1(VALU_DEP_1)
	v_lshlrev_b64_e32 v[2:3], 2, v[6:7]
	v_add_co_u32 v2, vcc_lo, s12, v2
	s_wait_alu 0xfffd
	s_delay_alu instid0(VALU_DEP_2)
	v_add_co_ci_u32_e64 v3, null, s13, v3, vcc_lo
	global_load_b64 v[2:3], v[2:3], off
	v_max_num_f32_e32 v7, v11, v11
	s_wait_loadcnt 0x0
	v_dual_max_num_f32 v9, v12, v12 :: v_dual_max_num_f32 v10, v3, v3
	v_max_num_f32_e32 v8, v2, v2
	s_delay_alu instid0(VALU_DEP_1) | instskip(NEXT) | instid1(VALU_DEP_1)
	v_dual_max_num_f32 v7, v7, v8 :: v_dual_max_num_f32 v8, v9, v10
	v_dual_sub_f32 v9, v11, v7 :: v_dual_sub_f32 v10, v12, v8
	v_dual_sub_f32 v2, v2, v7 :: v_dual_sub_f32 v3, v3, v8
	s_delay_alu instid0(VALU_DEP_2) | instskip(NEXT) | instid1(VALU_DEP_3)
	v_mul_f32_e32 v11, 0x3fb8aa3b, v9
	v_mul_f32_e32 v13, 0x3fb8aa3b, v10
	s_delay_alu instid0(VALU_DEP_3) | instskip(NEXT) | instid1(VALU_DEP_4)
	v_mul_f32_e32 v12, 0x3fb8aa3b, v2
	v_mul_f32_e32 v14, 0x3fb8aa3b, v3
	v_cmp_ngt_f32_e32 vcc_lo, 0xc2ce8ed0, v9
	v_fma_f32 v15, 0x3fb8aa3b, v9, -v11
	v_rndne_f32_e32 v16, v11
	v_fma_f32 v17, 0x3fb8aa3b, v2, -v12
	v_fma_f32 v21, 0x3fb8aa3b, v3, -v14
	v_rndne_f32_e32 v22, v14
	v_rndne_f32_e32 v18, v12
	v_fma_f32 v19, 0x3fb8aa3b, v10, -v13
	v_rndne_f32_e32 v20, v13
	v_fmac_f32_e32 v15, 0x32a5705f, v9
	v_dual_sub_f32 v11, v11, v16 :: v_dual_sub_f32 v14, v14, v22
	v_fmac_f32_e32 v21, 0x32a5705f, v3
	v_fmac_f32_e32 v17, 0x32a5705f, v2
	v_dual_sub_f32 v12, v12, v18 :: v_dual_sub_f32 v13, v13, v20
	s_delay_alu instid0(VALU_DEP_3) | instskip(NEXT) | instid1(VALU_DEP_2)
	v_dual_add_f32 v11, v11, v15 :: v_dual_add_f32 v14, v14, v21
	v_dual_fmac_f32 v19, 0x32a5705f, v10 :: v_dual_add_f32 v12, v12, v17
	v_cvt_i32_f32_e32 v15, v16
	s_delay_alu instid0(VALU_DEP_3) | instskip(SKIP_1) | instid1(VALU_DEP_3)
	v_exp_f32_e32 v11, v11
	v_cvt_i32_f32_e32 v17, v20
	v_add_f32_e32 v13, v13, v19
	v_exp_f32_e32 v12, v12
	v_cvt_i32_f32_e32 v16, v18
	v_exp_f32_e32 v14, v14
	s_delay_alu instid0(VALU_DEP_2) | instskip(SKIP_2) | instid1(TRANS32_DEP_3)
	v_exp_f32_e32 v13, v13
	v_ldexp_f32 v11, v11, v15
	v_cvt_i32_f32_e32 v15, v22
	v_ldexp_f32 v12, v12, v16
	s_wait_alu 0xfffd
	s_delay_alu instid0(VALU_DEP_3) | instskip(SKIP_1) | instid1(TRANS32_DEP_1)
	v_cndmask_b32_e32 v11, 0, v11, vcc_lo
	v_cmp_ngt_f32_e32 vcc_lo, 0xc2ce8ed0, v10
	v_ldexp_f32 v13, v13, v17
	s_delay_alu instid0(TRANS32_DEP_2) | instskip(SKIP_1) | instid1(VALU_DEP_2)
	v_ldexp_f32 v14, v14, v15
	s_wait_alu 0xfffd
	v_cndmask_b32_e32 v13, 0, v13, vcc_lo
	v_cmp_nlt_f32_e32 vcc_lo, 0x42b17218, v9
	s_wait_alu 0xfffd
	v_cndmask_b32_e32 v9, 0x7f800000, v11, vcc_lo
	v_cmp_ngt_f32_e32 vcc_lo, 0xc2ce8ed0, v2
	s_wait_alu 0xfffd
	v_cndmask_b32_e32 v11, 0, v12, vcc_lo
	v_cmp_nlt_f32_e32 vcc_lo, 0x42b17218, v10
	v_cvt_f16_f32_e32 v12, v9
	s_wait_alu 0xfffd
	v_cndmask_b32_e32 v10, 0x7f800000, v13, vcc_lo
	v_cmp_ngt_f32_e32 vcc_lo, 0xc2ce8ed0, v3
	s_wait_alu 0xfffd
	v_dual_cndmask_b32 v13, 0, v14 :: v_dual_and_b32 v12, 0xffff, v12
	v_cmp_nlt_f32_e32 vcc_lo, 0x42b17218, v2
	s_wait_alu 0xfffd
	v_cndmask_b32_e32 v2, 0x7f800000, v11, vcc_lo
	v_cvt_f16_f32_e32 v11, v10
	v_cmp_nlt_f32_e32 vcc_lo, 0x42b17218, v3
	s_delay_alu instid0(VALU_DEP_2) | instskip(SKIP_4) | instid1(VALU_DEP_3)
	v_dual_fmac_f32 v2, v4, v9 :: v_dual_and_b32 v9, 0xffff, v11
	s_wait_alu 0xfffd
	v_cndmask_b32_e32 v3, 0x7f800000, v13, vcc_lo
	v_mul_u32_u24_e32 v13, 0x10001, v12
	v_dual_mov_b32 v12, v8 :: v_dual_mov_b32 v11, v7
	v_dual_mov_b32 v4, v2 :: v_dual_fmac_f32 v3, v5, v10
	v_mul_u32_u24_e32 v5, 0x10001, v9
	s_delay_alu instid0(VALU_DEP_4)
	v_pk_mul_f16 v63, v63, v13
	v_pk_mul_f16 v67, v67, v13
	;; [unrolled: 1-line block ×16, first 2 shown]
	v_mov_b32_e32 v5, v3
.LBB5_20:
	s_load_b32 s1, s[0:1], 0xd4
	v_mov_b32_e32 v7, 1.0
	s_wait_kmcnt 0x0
	s_cmp_lg_u32 s1, 1
	s_cselect_b32 s3, -1, 0
	s_cmp_eq_u32 s1, 1
	s_cselect_b32 s2, -1, 0
	s_wait_alu 0xfffe
	s_and_b32 vcc_lo, exec_lo, s3
	s_wait_alu 0xfffe
	s_cbranch_vccnz .LBB5_22
; %bb.21:
	v_div_scale_f32 v7, null, v4, v4, 1.0
	s_delay_alu instid0(VALU_DEP_1) | instskip(NEXT) | instid1(TRANS32_DEP_1)
	v_rcp_f32_e32 v8, v7
	v_fma_f32 v9, -v7, v8, 1.0
	s_delay_alu instid0(VALU_DEP_1) | instskip(SKIP_1) | instid1(VALU_DEP_1)
	v_fmac_f32_e32 v8, v9, v8
	v_div_scale_f32 v9, vcc_lo, 1.0, v4, 1.0
	v_mul_f32_e32 v10, v9, v8
	s_delay_alu instid0(VALU_DEP_1) | instskip(NEXT) | instid1(VALU_DEP_1)
	v_fma_f32 v13, -v7, v10, v9
	v_fmac_f32_e32 v10, v13, v8
	s_delay_alu instid0(VALU_DEP_1) | instskip(SKIP_1) | instid1(VALU_DEP_1)
	v_fma_f32 v7, -v7, v10, v9
	s_wait_alu 0xfffd
	v_div_fmas_f32 v7, v7, v8, v10
	s_delay_alu instid0(VALU_DEP_1)
	v_div_fixup_f32 v7, v7, v4, 1.0
.LBB5_22:
	v_mad_co_u64_u32 v[8:9], null, s28, s22, v[1:2]
	v_cmp_eq_u32_e32 vcc_lo, 0, v0
	v_lshrrev_b32_e32 v4, 16, v67
	v_cvt_f32_f16_e32 v10, v67
	v_lshrrev_b32_e32 v13, 16, v63
	v_lshrrev_b32_e32 v16, 16, v65
	v_cvt_f32_f16_e32 v14, v66
	v_mad_co_u64_u32 v[0:1], null, v8, s23, v[6:7]
	v_cvt_f32_f16_e32 v6, v63
	v_lshrrev_b32_e32 v8, 16, v66
	v_cvt_f32_f16_e32 v4, v4
	v_mov_b32_e32 v9, 0
	v_cvt_f32_f16_e32 v18, v16
	v_cvt_f32_f16_e32 v17, v65
	v_mad_co_u64_u32 v[0:1], null, s1, v0, s[10:11]
	v_mul_f32_e32 v16, v7, v4
	v_dual_mul_f32 v15, v7, v10 :: v_dual_mov_b32 v22, v9
	v_cvt_f32_f16_e32 v10, v13
	v_mul_f32_e32 v13, v7, v6
	v_cvt_f32_f16_e32 v6, v8
	v_lshl_add_u32 v8, v0, 9, v29
	v_mul_f32_e32 v19, v7, v14
	v_lshrrev_b32_e32 v1, 16, v64
	v_lshrrev_b32_e32 v4, 16, v62
	s_delay_alu instid0(VALU_DEP_4)
	v_dual_mul_f32 v20, v7, v6 :: v_dual_add_nc_u32 v21, 0x80, v8
	v_mul_f32_e32 v14, v7, v10
	v_lshlrev_b64_e32 v[23:24], 2, v[8:9]
	v_cvt_f32_f16_e32 v1, v1
	v_cvt_f32_f16_e32 v4, v4
	v_lshlrev_b64_e32 v[21:22], 2, v[21:22]
	v_cvt_f32_f16_e32 v6, v64
	v_cvt_f32_f16_e32 v10, v62
	v_add_co_u32 v25, s0, s16, v23
	s_wait_alu 0xf1ff
	v_add_co_ci_u32_e64 v26, null, s17, v24, s0
	v_add_co_u32 v27, s0, s16, v21
	s_wait_alu 0xf1ff
	v_add_co_ci_u32_e64 v28, null, s17, v22, s0
	v_dual_mov_b32 v22, v9 :: v_dual_add_nc_u32 v21, 0x100, v8
	v_add_nc_u32_e32 v8, 0x180, v8
	v_mul_f32_e32 v24, v7, v1
	v_lshrrev_b32_e32 v1, 16, v61
	v_mul_f32_e32 v23, v7, v6
	v_lshlrev_b64_e32 v[30:31], 2, v[21:22]
	v_mul_f32_e32 v22, v7, v4
	v_lshrrev_b32_e32 v4, 16, v60
	v_lshlrev_b64_e32 v[32:33], 2, v[8:9]
	v_cvt_f32_f16_e32 v1, v1
	v_cvt_f32_f16_e32 v6, v61
	;; [unrolled: 1-line block ×4, first 2 shown]
	v_add_co_u32 v30, s0, s16, v30
	v_mul_f32_e32 v17, v7, v17
	v_mul_f32_e32 v18, v7, v18
	s_wait_alu 0xf1ff
	v_add_co_ci_u32_e64 v31, null, s17, v31, s0
	v_add_co_u32 v32, s0, s16, v32
	v_mul_f32_e32 v21, v7, v10
	v_mul_f32_e32 v10, v7, v1
	;; [unrolled: 1-line block ×5, first 2 shown]
	s_wait_alu 0xf1ff
	v_add_co_ci_u32_e64 v33, null, s17, v33, s0
	s_and_b32 s0, vcc_lo, s3
	s_clause 0x3
	global_store_b128 v[25:26], v[13:16], off
	global_store_b128 v[27:28], v[17:20], off
	;; [unrolled: 1-line block ×4, first 2 shown]
	s_wait_alu 0xfffe
	s_and_saveexec_b32 s3, s0
	s_cbranch_execz .LBB5_24
; %bb.23:
	v_ashrrev_i32_e32 v1, 31, v0
	s_delay_alu instid0(VALU_DEP_1) | instskip(SKIP_1) | instid1(VALU_DEP_2)
	v_lshlrev_b64_e32 v[6:7], 3, v[0:1]
	v_mov_b32_e32 v1, v11
	v_add_co_u32 v6, vcc_lo, s18, v6
	s_wait_alu 0xfffd
	s_delay_alu instid0(VALU_DEP_3)
	v_add_co_ci_u32_e64 v7, null, s19, v7, vcc_lo
	global_store_b64 v[6:7], v[1:2], off
.LBB5_24:
	s_wait_alu 0xfffe
	s_or_b32 exec_lo, exec_lo, s3
	v_mov_b32_e32 v1, 1.0
	s_and_not1_b32 vcc_lo, exec_lo, s2
	s_wait_alu 0xfffe
	s_cbranch_vccnz .LBB5_26
; %bb.25:
	v_div_scale_f32 v1, null, v5, v5, 1.0
	s_delay_alu instid0(VALU_DEP_1) | instskip(NEXT) | instid1(TRANS32_DEP_1)
	v_rcp_f32_e32 v2, v1
	v_fma_f32 v4, -v1, v2, 1.0
	s_delay_alu instid0(VALU_DEP_1) | instskip(SKIP_1) | instid1(VALU_DEP_1)
	v_fmac_f32_e32 v2, v4, v2
	v_div_scale_f32 v4, vcc_lo, 1.0, v5, 1.0
	v_mul_f32_e32 v6, v4, v2
	s_delay_alu instid0(VALU_DEP_1) | instskip(NEXT) | instid1(VALU_DEP_1)
	v_fma_f32 v7, -v1, v6, v4
	v_fmac_f32_e32 v6, v7, v2
	s_delay_alu instid0(VALU_DEP_1) | instskip(SKIP_1) | instid1(VALU_DEP_1)
	v_fma_f32 v1, -v1, v6, v4
	s_wait_alu 0xfffd
	v_div_fmas_f32 v1, v1, v2, v6
	s_delay_alu instid0(VALU_DEP_1)
	v_div_fixup_f32 v1, v1, v5, 1.0
.LBB5_26:
	v_lshrrev_b32_e32 v2, 16, v59
	v_lshrrev_b32_e32 v5, 16, v55
	v_cvt_f32_f16_e32 v4, v59
	v_cvt_f32_f16_e32 v7, v55
	v_lshrrev_b32_e32 v10, 16, v58
	v_cvt_f32_f16_e32 v2, v2
	v_add_nc_u32_e32 v0, s1, v0
	v_cvt_f32_f16_e32 v5, v5
	v_mov_b32_e32 v18, 0
	v_cvt_f32_f16_e32 v10, v10
	v_cvt_f32_f16_e32 v15, v58
	;; [unrolled: 1-line block ×3, first 2 shown]
	v_mul_f32_e32 v5, v1, v5
	v_mul_f32_e32 v6, v1, v4
	;; [unrolled: 1-line block ×4, first 2 shown]
	v_lshl_add_u32 v17, v0, 9, v29
	v_lshrrev_b32_e32 v2, 16, v57
	v_cvt_f32_f16_e32 v16, v57
	v_lshrrev_b32_e32 v27, 16, v53
	v_cvt_f32_f16_e32 v26, v54
	v_lshlrev_b64_e32 v[8:9], 2, v[17:18]
	v_cvt_f32_f16_e32 v2, v2
	v_mul_f32_e32 v11, v1, v10
	v_mul_f32_e32 v10, v1, v15
	v_lshrrev_b32_e32 v15, 16, v54
	v_cvt_f32_f16_e32 v29, v27
	v_add_co_u32 v21, vcc_lo, s16, v8
	s_wait_alu 0xfffd
	v_add_co_ci_u32_e64 v22, null, s17, v9, vcc_lo
	v_dual_mov_b32 v9, v18 :: v_dual_add_nc_u32 v8, 0x80, v17
	v_cvt_f32_f16_e32 v25, v15
	v_mul_f32_e32 v15, v1, v19
	v_cvt_f32_f16_e32 v30, v53
	s_delay_alu instid0(VALU_DEP_4) | instskip(SKIP_3) | instid1(VALU_DEP_4)
	v_lshlrev_b64_e32 v[13:14], 2, v[8:9]
	v_mul_f32_e32 v9, v1, v2
	v_lshrrev_b32_e32 v2, 16, v56
	v_mul_f32_e32 v8, v1, v16
	v_add_co_u32 v23, vcc_lo, s16, v13
	s_wait_alu 0xfffd
	v_add_co_ci_u32_e64 v24, null, s17, v14, vcc_lo
	v_dual_mov_b32 v14, v18 :: v_dual_add_nc_u32 v13, 0x100, v17
	v_cvt_f32_f16_e32 v2, v2
	v_add_nc_u32_e32 v17, 0x180, v17
	s_delay_alu instid0(VALU_DEP_3) | instskip(NEXT) | instid1(VALU_DEP_3)
	v_lshlrev_b64_e32 v[19:20], 2, v[13:14]
	v_mul_f32_e32 v16, v1, v2
	v_lshrrev_b32_e32 v2, 16, v52
	s_delay_alu instid0(VALU_DEP_4)
	v_lshlrev_b64_e32 v[27:28], 2, v[17:18]
	v_mul_f32_e32 v14, v1, v25
	v_mul_f32_e32 v13, v1, v26
	v_add_co_u32 v25, vcc_lo, s16, v19
	v_cvt_f32_f16_e32 v2, v2
	v_cvt_f32_f16_e32 v19, v52
	s_wait_alu 0xfffd
	v_add_co_ci_u32_e64 v26, null, s17, v20, vcc_lo
	v_mul_f32_e32 v18, v1, v29
	v_mul_f32_e32 v20, v1, v2
	;; [unrolled: 1-line block ×4, first 2 shown]
	v_add_co_u32 v1, vcc_lo, s16, v27
	s_wait_alu 0xfffd
	v_add_co_ci_u32_e64 v2, null, s17, v28, vcc_lo
	s_clause 0x3
	global_store_b128 v[21:22], v[4:7], off
	global_store_b128 v[23:24], v[8:11], off
	;; [unrolled: 1-line block ×4, first 2 shown]
	s_and_saveexec_b32 s1, s0
	s_cbranch_execz .LBB5_28
; %bb.27:
	v_ashrrev_i32_e32 v1, 31, v0
	v_mov_b32_e32 v2, v12
	s_delay_alu instid0(VALU_DEP_2) | instskip(NEXT) | instid1(VALU_DEP_1)
	v_lshlrev_b64_e32 v[0:1], 3, v[0:1]
	v_add_co_u32 v0, vcc_lo, s18, v0
	s_wait_alu 0xfffd
	s_delay_alu instid0(VALU_DEP_2)
	v_add_co_ci_u32_e64 v1, null, s19, v1, vcc_lo
	global_store_b64 v[0:1], v[2:3], off
.LBB5_28:
	s_nop 0
	s_sendmsg sendmsg(MSG_DEALLOC_VGPRS)
	s_endpgm
	.section	.rodata,"a",@progbits
	.p2align	6, 0x0
	.amdhsa_kernel _ZL15flash_attn_tileILi576ELi512ELi1ELi16ELb0EEvPKcS1_S1_S1_S1_PKiPfP15HIP_vector_typeIfLj2EEffffjfiS5_IjLj3EEiiiiiiiiiiiliiliiiiil
		.amdhsa_group_segment_fixed_size 29696
		.amdhsa_private_segment_fixed_size 0
		.amdhsa_kernarg_size 464
		.amdhsa_user_sgpr_count 2
		.amdhsa_user_sgpr_dispatch_ptr 0
		.amdhsa_user_sgpr_queue_ptr 0
		.amdhsa_user_sgpr_kernarg_segment_ptr 1
		.amdhsa_user_sgpr_dispatch_id 0
		.amdhsa_user_sgpr_private_segment_size 0
		.amdhsa_wavefront_size32 1
		.amdhsa_uses_dynamic_stack 0
		.amdhsa_enable_private_segment 0
		.amdhsa_system_sgpr_workgroup_id_x 1
		.amdhsa_system_sgpr_workgroup_id_y 1
		.amdhsa_system_sgpr_workgroup_id_z 1
		.amdhsa_system_sgpr_workgroup_info 0
		.amdhsa_system_vgpr_workitem_id 1
		.amdhsa_next_free_vgpr 169
		.amdhsa_next_free_sgpr 48
		.amdhsa_reserve_vcc 1
		.amdhsa_float_round_mode_32 0
		.amdhsa_float_round_mode_16_64 0
		.amdhsa_float_denorm_mode_32 3
		.amdhsa_float_denorm_mode_16_64 3
		.amdhsa_fp16_overflow 0
		.amdhsa_workgroup_processor_mode 1
		.amdhsa_memory_ordered 1
		.amdhsa_forward_progress 1
		.amdhsa_inst_pref_size 179
		.amdhsa_round_robin_scheduling 0
		.amdhsa_exception_fp_ieee_invalid_op 0
		.amdhsa_exception_fp_denorm_src 0
		.amdhsa_exception_fp_ieee_div_zero 0
		.amdhsa_exception_fp_ieee_overflow 0
		.amdhsa_exception_fp_ieee_underflow 0
		.amdhsa_exception_fp_ieee_inexact 0
		.amdhsa_exception_int_div_zero 0
	.end_amdhsa_kernel
	.section	.text._ZL15flash_attn_tileILi576ELi512ELi1ELi16ELb0EEvPKcS1_S1_S1_S1_PKiPfP15HIP_vector_typeIfLj2EEffffjfiS5_IjLj3EEiiiiiiiiiiiliiliiiiil,"axG",@progbits,_ZL15flash_attn_tileILi576ELi512ELi1ELi16ELb0EEvPKcS1_S1_S1_S1_PKiPfP15HIP_vector_typeIfLj2EEffffjfiS5_IjLj3EEiiiiiiiiiiiliiliiiiil,comdat
.Lfunc_end5:
	.size	_ZL15flash_attn_tileILi576ELi512ELi1ELi16ELb0EEvPKcS1_S1_S1_S1_PKiPfP15HIP_vector_typeIfLj2EEffffjfiS5_IjLj3EEiiiiiiiiiiiliiliiiiil, .Lfunc_end5-_ZL15flash_attn_tileILi576ELi512ELi1ELi16ELb0EEvPKcS1_S1_S1_S1_PKiPfP15HIP_vector_typeIfLj2EEffffjfiS5_IjLj3EEiiiiiiiiiiiliiliiiiil
                                        ; -- End function
	.set _ZL15flash_attn_tileILi576ELi512ELi1ELi16ELb0EEvPKcS1_S1_S1_S1_PKiPfP15HIP_vector_typeIfLj2EEffffjfiS5_IjLj3EEiiiiiiiiiiiliiliiiiil.num_vgpr, 155
	.set _ZL15flash_attn_tileILi576ELi512ELi1ELi16ELb0EEvPKcS1_S1_S1_S1_PKiPfP15HIP_vector_typeIfLj2EEffffjfiS5_IjLj3EEiiiiiiiiiiiliiliiiiil.num_agpr, 0
	.set _ZL15flash_attn_tileILi576ELi512ELi1ELi16ELb0EEvPKcS1_S1_S1_S1_PKiPfP15HIP_vector_typeIfLj2EEffffjfiS5_IjLj3EEiiiiiiiiiiiliiliiiiil.numbered_sgpr, 48
	.set _ZL15flash_attn_tileILi576ELi512ELi1ELi16ELb0EEvPKcS1_S1_S1_S1_PKiPfP15HIP_vector_typeIfLj2EEffffjfiS5_IjLj3EEiiiiiiiiiiiliiliiiiil.num_named_barrier, 0
	.set _ZL15flash_attn_tileILi576ELi512ELi1ELi16ELb0EEvPKcS1_S1_S1_S1_PKiPfP15HIP_vector_typeIfLj2EEffffjfiS5_IjLj3EEiiiiiiiiiiiliiliiiiil.private_seg_size, 0
	.set _ZL15flash_attn_tileILi576ELi512ELi1ELi16ELb0EEvPKcS1_S1_S1_S1_PKiPfP15HIP_vector_typeIfLj2EEffffjfiS5_IjLj3EEiiiiiiiiiiiliiliiiiil.uses_vcc, 1
	.set _ZL15flash_attn_tileILi576ELi512ELi1ELi16ELb0EEvPKcS1_S1_S1_S1_PKiPfP15HIP_vector_typeIfLj2EEffffjfiS5_IjLj3EEiiiiiiiiiiiliiliiiiil.uses_flat_scratch, 0
	.set _ZL15flash_attn_tileILi576ELi512ELi1ELi16ELb0EEvPKcS1_S1_S1_S1_PKiPfP15HIP_vector_typeIfLj2EEffffjfiS5_IjLj3EEiiiiiiiiiiiliiliiiiil.has_dyn_sized_stack, 0
	.set _ZL15flash_attn_tileILi576ELi512ELi1ELi16ELb0EEvPKcS1_S1_S1_S1_PKiPfP15HIP_vector_typeIfLj2EEffffjfiS5_IjLj3EEiiiiiiiiiiiliiliiiiil.has_recursion, 0
	.set _ZL15flash_attn_tileILi576ELi512ELi1ELi16ELb0EEvPKcS1_S1_S1_S1_PKiPfP15HIP_vector_typeIfLj2EEffffjfiS5_IjLj3EEiiiiiiiiiiiliiliiiiil.has_indirect_call, 0
	.section	.AMDGPU.csdata,"",@progbits
; Kernel info:
; codeLenInByte = 22864
; TotalNumSgprs: 50
; NumVgprs: 155
; ScratchSize: 0
; MemoryBound: 0
; FloatMode: 240
; IeeeMode: 1
; LDSByteSize: 29696 bytes/workgroup (compile time only)
; SGPRBlocks: 0
; VGPRBlocks: 21
; NumSGPRsForWavesPerEU: 50
; NumVGPRsForWavesPerEU: 169
; Occupancy: 8
; WaveLimiterHint : 1
; COMPUTE_PGM_RSRC2:SCRATCH_EN: 0
; COMPUTE_PGM_RSRC2:USER_SGPR: 2
; COMPUTE_PGM_RSRC2:TRAP_HANDLER: 0
; COMPUTE_PGM_RSRC2:TGID_X_EN: 1
; COMPUTE_PGM_RSRC2:TGID_Y_EN: 1
; COMPUTE_PGM_RSRC2:TGID_Z_EN: 1
; COMPUTE_PGM_RSRC2:TIDIG_COMP_CNT: 1
	.section	.text._ZL25flash_attn_mask_to_KV_maxILi1EEvPK7__half2Piiii,"axG",@progbits,_ZL25flash_attn_mask_to_KV_maxILi1EEvPK7__half2Piiii,comdat
	.globl	_ZL25flash_attn_mask_to_KV_maxILi1EEvPK7__half2Piiii ; -- Begin function _ZL25flash_attn_mask_to_KV_maxILi1EEvPK7__half2Piiii
	.p2align	8
	.type	_ZL25flash_attn_mask_to_KV_maxILi1EEvPK7__half2Piiii,@function
_ZL25flash_attn_mask_to_KV_maxILi1EEvPK7__half2Piiii: ; @_ZL25flash_attn_mask_to_KV_maxILi1EEvPK7__half2Piiii
; %bb.0:
	s_load_b64 s[4:5], s[0:1], 0x0
	s_mov_b32 s2, exec_lo
	v_cmpx_gt_u32_e32 32, v0
; %bb.1:
	v_dual_mov_b32 v2, 1 :: v_dual_lshlrev_b32 v1, 2, v0
	ds_store_b32 v1, v2
; %bb.2:
	s_or_b32 exec_lo, exec_lo, s2
	s_clause 0x2
	s_load_b96 s[8:10], s[0:1], 0x10
	s_load_b64 s[2:3], s[0:1], 0x8
	s_load_b32 s1, s[0:1], 0x20
	v_dual_mov_b32 v2, 0 :: v_dual_and_b32 v1, 31, v0
	v_lshrrev_b32_e32 v3, 3, v0
	s_wait_dscnt 0x0
	s_barrier_signal -1
	s_delay_alu instid0(VALU_DEP_2)
	v_lshlrev_b32_e32 v4, 2, v1
	s_barrier_wait -1
	global_inv scope:SCOPE_SE
	s_wait_kmcnt 0x0
	s_mul_i32 s0, s10, ttmp7
	s_mul_i32 s6, s9, ttmp9
	s_delay_alu instid0(SALU_CYCLE_1) | instskip(SKIP_2) | instid1(SALU_CYCLE_1)
	s_add_co_i32 s6, s0, s6
	v_cmp_eq_u32_e64 s0, 0, v1
	s_ashr_i32 s7, s6, 31
	s_lshl_b64 s[6:7], s[6:7], 2
	s_delay_alu instid0(SALU_CYCLE_1)
	s_add_nc_u64 s[4:5], s[4:5], s[6:7]
	s_lshl_b32 s7, s8, 8
	s_branch .LBB6_4
.LBB6_3:                                ;   in Loop: Header=BB6_4 Depth=1
	s_wait_alu 0xfffe
	s_or_b32 exec_lo, exec_lo, s9
	s_wait_dscnt 0x0
	s_barrier_signal -1
	s_barrier_wait -1
	global_inv scope:SCOPE_SE
	ds_load_b32 v1, v4
	s_wait_loadcnt_dscnt 0x0
	s_barrier_signal -1
	s_barrier_wait -1
	global_inv scope:SCOPE_SE
	v_cmp_ne_u32_e32 vcc_lo, 0, v1
	s_cmp_lg_u32 vcc_lo, exec_lo
	s_cselect_b32 s8, -1, 0
	s_wait_alu 0xfffe
	s_and_b32 vcc_lo, exec_lo, s8
	s_wait_alu 0xfffe
	s_cbranch_vccnz .LBB6_8
.LBB6_4:                                ; =>This Inner Loop Header: Depth=1
	s_mov_b32 s6, s7
	s_addk_co_i32 s7, 0xff00
	s_delay_alu instid0(SALU_CYCLE_1)
	s_cmp_lt_i32 s7, 0
	s_cbranch_scc1 .LBB6_7
; %bb.5:                                ;   in Loop: Header=BB6_4 Depth=1
	s_lshr_b32 s9, s7, 1
	s_mov_b32 s8, exec_lo
	s_wait_alu 0xfffe
	v_add_nc_u32_e32 v1, s9, v0
	s_delay_alu instid0(VALU_DEP_1) | instskip(NEXT) | instid1(VALU_DEP_1)
	v_lshlrev_b64_e32 v[5:6], 2, v[1:2]
	v_add_co_u32 v5, vcc_lo, s4, v5
	s_wait_alu 0xfffd
	s_delay_alu instid0(VALU_DEP_2) | instskip(SKIP_4) | instid1(VALU_DEP_2)
	v_add_co_ci_u32_e64 v6, null, s5, v6, vcc_lo
	global_load_b32 v1, v[5:6], off
	s_wait_loadcnt 0x0
	v_lshrrev_b32_e32 v5, 16, v1
	v_cmp_class_f16_e64 s9, v1, 0x204
	v_cmp_class_f16_e64 s10, v5, 0x204
	s_and_b32 s9, s9, s10
	s_wait_alu 0xfffe
	v_cndmask_b32_e64 v1, 0, 1, s9
	s_delay_alu instid0(VALU_DEP_1)
	v_cmp_ne_u32_e32 vcc_lo, 0, v1
	s_and_saveexec_b32 s9, s0
	s_cbranch_execz .LBB6_3
; %bb.6:                                ;   in Loop: Header=BB6_4 Depth=1
	s_cmp_eq_u32 vcc_lo, s8
	s_cselect_b32 s8, -1, 0
	s_wait_alu 0xfffe
	v_cndmask_b32_e64 v1, 0, 1, s8
	ds_store_b32 v3, v1
	s_branch .LBB6_3
.LBB6_7:                                ;   in Loop: Header=BB6_4 Depth=1
	s_cbranch_execz .LBB6_4
.LBB6_8:
	s_mov_b32 s0, exec_lo
	v_cmpx_eq_u32_e32 0, v0
	s_cbranch_execz .LBB6_10
; %bb.9:
	s_mul_i32 s0, s1, ttmp7
	v_dual_mov_b32 v0, 0 :: v_dual_mov_b32 v1, s6
	s_add_co_i32 s0, s0, ttmp9
	s_delay_alu instid0(SALU_CYCLE_1) | instskip(NEXT) | instid1(SALU_CYCLE_1)
	s_ashr_i32 s1, s0, 31
	s_lshl_b64 s[0:1], s[0:1], 2
	s_delay_alu instid0(SALU_CYCLE_1)
	s_add_nc_u64 s[0:1], s[2:3], s[0:1]
	global_store_b32 v0, v1, s[0:1]
.LBB6_10:
	s_endpgm
	.section	.rodata,"a",@progbits
	.p2align	6, 0x0
	.amdhsa_kernel _ZL25flash_attn_mask_to_KV_maxILi1EEvPK7__half2Piiii
		.amdhsa_group_segment_fixed_size 128
		.amdhsa_private_segment_fixed_size 0
		.amdhsa_kernarg_size 288
		.amdhsa_user_sgpr_count 2
		.amdhsa_user_sgpr_dispatch_ptr 0
		.amdhsa_user_sgpr_queue_ptr 0
		.amdhsa_user_sgpr_kernarg_segment_ptr 1
		.amdhsa_user_sgpr_dispatch_id 0
		.amdhsa_user_sgpr_private_segment_size 0
		.amdhsa_wavefront_size32 1
		.amdhsa_uses_dynamic_stack 0
		.amdhsa_enable_private_segment 0
		.amdhsa_system_sgpr_workgroup_id_x 1
		.amdhsa_system_sgpr_workgroup_id_y 1
		.amdhsa_system_sgpr_workgroup_id_z 0
		.amdhsa_system_sgpr_workgroup_info 0
		.amdhsa_system_vgpr_workitem_id 0
		.amdhsa_next_free_vgpr 7
		.amdhsa_next_free_sgpr 11
		.amdhsa_reserve_vcc 1
		.amdhsa_float_round_mode_32 0
		.amdhsa_float_round_mode_16_64 0
		.amdhsa_float_denorm_mode_32 3
		.amdhsa_float_denorm_mode_16_64 3
		.amdhsa_fp16_overflow 0
		.amdhsa_workgroup_processor_mode 1
		.amdhsa_memory_ordered 1
		.amdhsa_forward_progress 1
		.amdhsa_inst_pref_size 4
		.amdhsa_round_robin_scheduling 0
		.amdhsa_exception_fp_ieee_invalid_op 0
		.amdhsa_exception_fp_denorm_src 0
		.amdhsa_exception_fp_ieee_div_zero 0
		.amdhsa_exception_fp_ieee_overflow 0
		.amdhsa_exception_fp_ieee_underflow 0
		.amdhsa_exception_fp_ieee_inexact 0
		.amdhsa_exception_int_div_zero 0
	.end_amdhsa_kernel
	.section	.text._ZL25flash_attn_mask_to_KV_maxILi1EEvPK7__half2Piiii,"axG",@progbits,_ZL25flash_attn_mask_to_KV_maxILi1EEvPK7__half2Piiii,comdat
.Lfunc_end6:
	.size	_ZL25flash_attn_mask_to_KV_maxILi1EEvPK7__half2Piiii, .Lfunc_end6-_ZL25flash_attn_mask_to_KV_maxILi1EEvPK7__half2Piiii
                                        ; -- End function
	.set _ZL25flash_attn_mask_to_KV_maxILi1EEvPK7__half2Piiii.num_vgpr, 7
	.set _ZL25flash_attn_mask_to_KV_maxILi1EEvPK7__half2Piiii.num_agpr, 0
	.set _ZL25flash_attn_mask_to_KV_maxILi1EEvPK7__half2Piiii.numbered_sgpr, 11
	.set _ZL25flash_attn_mask_to_KV_maxILi1EEvPK7__half2Piiii.num_named_barrier, 0
	.set _ZL25flash_attn_mask_to_KV_maxILi1EEvPK7__half2Piiii.private_seg_size, 0
	.set _ZL25flash_attn_mask_to_KV_maxILi1EEvPK7__half2Piiii.uses_vcc, 1
	.set _ZL25flash_attn_mask_to_KV_maxILi1EEvPK7__half2Piiii.uses_flat_scratch, 0
	.set _ZL25flash_attn_mask_to_KV_maxILi1EEvPK7__half2Piiii.has_dyn_sized_stack, 0
	.set _ZL25flash_attn_mask_to_KV_maxILi1EEvPK7__half2Piiii.has_recursion, 0
	.set _ZL25flash_attn_mask_to_KV_maxILi1EEvPK7__half2Piiii.has_indirect_call, 0
	.section	.AMDGPU.csdata,"",@progbits
; Kernel info:
; codeLenInByte = 496
; TotalNumSgprs: 13
; NumVgprs: 7
; ScratchSize: 0
; MemoryBound: 0
; FloatMode: 240
; IeeeMode: 1
; LDSByteSize: 128 bytes/workgroup (compile time only)
; SGPRBlocks: 0
; VGPRBlocks: 0
; NumSGPRsForWavesPerEU: 13
; NumVGPRsForWavesPerEU: 7
; Occupancy: 16
; WaveLimiterHint : 0
; COMPUTE_PGM_RSRC2:SCRATCH_EN: 0
; COMPUTE_PGM_RSRC2:USER_SGPR: 2
; COMPUTE_PGM_RSRC2:TRAP_HANDLER: 0
; COMPUTE_PGM_RSRC2:TGID_X_EN: 1
; COMPUTE_PGM_RSRC2:TGID_Y_EN: 1
; COMPUTE_PGM_RSRC2:TGID_Z_EN: 0
; COMPUTE_PGM_RSRC2:TIDIG_COMP_CNT: 0
	.section	.text._ZL33flash_attn_stream_k_fixup_uniformILi512ELi1ELi16EEvPfPK15HIP_vector_typeIfLj2EEiiiiiiS1_IjLj3EES5_S5_,"axG",@progbits,_ZL33flash_attn_stream_k_fixup_uniformILi512ELi1ELi16EEvPfPK15HIP_vector_typeIfLj2EEiiiiiiS1_IjLj3EES5_S5_,comdat
	.globl	_ZL33flash_attn_stream_k_fixup_uniformILi512ELi1ELi16EEvPfPK15HIP_vector_typeIfLj2EEiiiiiiS1_IjLj3EES5_S5_ ; -- Begin function _ZL33flash_attn_stream_k_fixup_uniformILi512ELi1ELi16EEvPfPK15HIP_vector_typeIfLj2EEiiiiiiS1_IjLj3EES5_S5_
	.p2align	8
	.type	_ZL33flash_attn_stream_k_fixup_uniformILi512ELi1ELi16EEvPfPK15HIP_vector_typeIfLj2EEiiiiiiS1_IjLj3EES5_S5_,@function
_ZL33flash_attn_stream_k_fixup_uniformILi512ELi1ELi16EEvPfPK15HIP_vector_typeIfLj2EEiiiiiiS1_IjLj3EES5_S5_: ; @_ZL33flash_attn_stream_k_fixup_uniformILi512ELi1ELi16EEvPfPK15HIP_vector_typeIfLj2EEiiiiiiS1_IjLj3EES5_S5_
; %bb.0:
	s_clause 0x1
	s_load_b256 s[4:11], s[0:1], 0x1c
	s_load_b128 s[16:19], s[0:1], 0x3c
	s_wait_kmcnt 0x0
	s_mul_hi_u32 s2, s7, ttmp9
	s_delay_alu instid0(SALU_CYCLE_1) | instskip(NEXT) | instid1(SALU_CYCLE_1)
	s_add_co_i32 s2, ttmp9, s2
	s_lshr_b32 s12, s2, s8
	s_delay_alu instid0(SALU_CYCLE_1) | instskip(SKIP_2) | instid1(SALU_CYCLE_1)
	s_mul_i32 s2, s12, s9
	s_load_b64 s[8:9], s[0:1], 0x10
	s_sub_co_i32 s2, ttmp9, s2
	s_mul_hi_u32 s3, s2, s10
	s_and_b32 s10, ttmp7, 0xffff
	s_add_co_i32 s3, s2, s3
	s_delay_alu instid0(SALU_CYCLE_1) | instskip(NEXT) | instid1(SALU_CYCLE_1)
	s_lshr_b32 s11, s3, s11
	s_mul_i32 s3, s11, s16
	s_delay_alu instid0(SALU_CYCLE_1) | instskip(NEXT) | instid1(SALU_CYCLE_1)
	s_sub_co_i32 s2, s2, s3
	s_mul_hi_u32 s3, s2, s17
	s_delay_alu instid0(SALU_CYCLE_1) | instskip(NEXT) | instid1(SALU_CYCLE_1)
	s_add_co_i32 s3, s2, s3
	s_lshr_b32 s3, s3, s18
	s_delay_alu instid0(SALU_CYCLE_1)
	s_mul_i32 s7, s3, s19
	s_lshl_b32 s14, s3, 4
	s_sub_co_i32 s13, s2, s7
	s_lshr_b32 s7, ttmp7, 16
	s_add_co_i32 s13, s13, s10
	s_wait_kmcnt 0x0
	s_cmp_lt_i32 s13, s8
	s_cselect_b32 s2, -1, 0
	s_add_co_i32 s14, s14, s7
	s_delay_alu instid0(SALU_CYCLE_1) | instskip(SKIP_1) | instid1(SALU_CYCLE_1)
	s_cmp_lt_i32 s14, s5
	s_cselect_b32 s3, -1, 0
	s_and_b32 s2, s2, s3
	s_delay_alu instid0(SALU_CYCLE_1)
	s_and_not1_b32 vcc_lo, exec_lo, s2
	s_cbranch_vccnz .LBB7_6
; %bb.1:
	s_mul_i32 s12, s12, s8
	s_mul_i32 s11, s11, s5
	s_add_co_i32 s5, s13, s12
	s_load_b128 s[0:3], s[0:1], 0x0
	s_add_co_i32 s8, s14, s11
	s_mul_i32 s5, s5, s9
	s_delay_alu instid0(SALU_CYCLE_1) | instskip(NEXT) | instid1(SALU_CYCLE_1)
	s_add_co_i32 s8, s8, s5
	v_lshl_or_b32 v1, s8, 9, v0
	s_mul_i32 s8, s6, ttmp9
	s_wait_alu 0xfffe
	s_add_co_i32 s9, s8, s6
	s_delay_alu instid0(VALU_DEP_1) | instskip(SKIP_2) | instid1(VALU_DEP_1)
	v_ashrrev_i32_e32 v2, 31, v1
	s_wait_alu 0xfffe
	s_add_co_i32 s5, s9, -2
	v_lshlrev_b64_e32 v[1:2], 2, v[1:2]
	s_wait_kmcnt 0x0
	s_delay_alu instid0(VALU_DEP_1) | instskip(NEXT) | instid1(VALU_DEP_1)
	v_add_co_u32 v1, vcc_lo, s0, v1
	v_add_co_ci_u32_e64 v2, null, s1, v2, vcc_lo
	s_add_co_i32 s0, s10, s9
	s_wait_alu 0xfffe
	s_lshl_b32 s0, s0, 4
	global_load_b32 v5, v[1:2], off
	s_wait_alu 0xfffe
	s_add_co_i32 s0, s0, s7
	s_wait_alu 0xfffe
	s_add_co_i32 s0, s0, -16
	s_wait_alu 0xfffe
	s_ashr_i32 s1, s0, 31
	s_wait_alu 0xfffe
	s_lshl_b64 s[0:1], s[0:1], 3
	s_cmp_lt_i32 s5, s8
	s_wait_alu 0xfffe
	s_add_nc_u64 s[0:1], s[2:3], s[0:1]
	s_load_b32 s11, s[0:1], 0x4
	s_cbranch_scc1 .LBB7_4
; %bb.2:
	s_load_b32 s0, s[0:1], 0x0
	s_add_co_i32 s1, ttmp9, 1
	s_lshl_b32 s5, s7, 9
	s_wait_alu 0xfffe
	s_mul_i32 s1, s6, s1
	s_lshl_b32 s6, s10, 13
	s_wait_alu 0xfffe
	s_lshl_b32 s1, s1, 13
	s_add_co_i32 s5, s5, s6
	s_lshl_b32 s12, s4, 6
	s_wait_alu 0xfffe
	s_add_co_i32 s5, s5, s1
	s_add_co_i32 s1, s10, s4
	v_or_b32_e32 v0, s5, v0
	s_wait_alu 0xfffe
	s_add_co_i32 s1, s1, s9
	s_ashr_i32 s13, s12, 31
	s_wait_alu 0xfffe
	s_lshl_b32 s1, s1, 4
	s_wait_kmcnt 0x0
	v_dual_mov_b32 v6, s11 :: v_dual_add_nc_u32 v3, 0xffffc000, v0
	s_lshl_b64 s[4:5], s[12:13], 2
	s_wait_alu 0xfffe
	s_add_co_i32 s7, s7, s1
	s_add_nc_u64 s[4:5], s[2:3], s[4:5]
	s_add_co_i32 s1, s9, -1
	s_sub_co_i32 s6, s7, 32
.LBB7_3:                                ; =>This Inner Loop Header: Depth=1
	v_ashrrev_i32_e32 v4, 31, v3
	s_ashr_i32 s7, s6, 31
	v_mov_b32_e32 v10, v6
	s_lshl_b64 s[10:11], s[6:7], 3
	s_wait_loadcnt 0x0
	v_mov_b32_e32 v9, v5
	v_lshlrev_b64_e32 v[7:8], 2, v[3:4]
	s_wait_alu 0xfffe
	s_add_nc_u64 s[10:11], s[2:3], s[10:11]
	v_max_num_f32_e64 v4, s0, s0
	s_load_b64 s[10:11], s[10:11], 0x0
	v_add_nc_u32_e32 v3, 0xffffe000, v3
	v_add_co_u32 v7, vcc_lo, s4, v7
	s_wait_alu 0xfffd
	v_add_co_ci_u32_e64 v8, null, s5, v8, vcc_lo
	v_readfirstlane_b32 s7, v4
	global_load_b32 v0, v[7:8], off
	s_wait_kmcnt 0x0
	v_max_num_f32_e64 v4, s10, s10
	s_delay_alu instid0(VALU_DEP_1) | instskip(SKIP_1) | instid1(SALU_CYCLE_3)
	v_readfirstlane_b32 s9, v4
	s_max_num_f32 s7, s7, s9
	s_sub_f32 s0, s0, s7
	s_sub_f32 s9, s10, s7
	s_wait_alu 0xfffe
	s_delay_alu instid0(SALU_CYCLE_1) | instskip(NEXT) | instid1(SALU_CYCLE_1)
	s_mul_f32 s10, s0, 0x3fb8aa3b
	s_mul_f32 s12, s9, 0x3fb8aa3b
	s_wait_alu 0xfffe
	s_delay_alu instid0(SALU_CYCLE_1)
	s_xor_b32 s13, s10, 0x80000000
	s_rndne_f32 s14, s10
	s_fmamk_f32 s13, s0, 0x3fb8aa3b, s13
	s_cmp_nlt_f32 s0, 0xc2ce8ed0
	s_rndne_f32 s15, s12
	s_wait_alu 0xfffe
	s_sub_f32 s10, s10, s14
	s_fmamk_f32 s13, s0, 0x32a5705f, s13
	s_cvt_i32_f32 s14, s14
	s_cselect_b32 vcc_lo, -1, 0
	s_cmp_ngt_f32 s0, 0x42b17218
	s_wait_alu 0xfffe
	s_add_f32 s10, s10, s13
	s_sub_f32 s13, s12, s15
	s_wait_alu 0xfffe
	s_delay_alu instid0(SALU_CYCLE_1) | instskip(SKIP_1) | instid1(TRANS32_DEP_1)
	v_s_exp_f32 s10, s10
	s_wait_alu 0xf1ff
	v_ldexp_f32 v4, s10, s14
	s_cvt_i32_f32 s10, s15
	s_delay_alu instid0(VALU_DEP_1) | instskip(SKIP_3) | instid1(VALU_DEP_1)
	v_cndmask_b32_e32 v4, 0, v4, vcc_lo
	s_cselect_b32 vcc_lo, -1, 0
	s_cmp_ge_f32 s0, 0xc1a00000
	s_wait_alu 0xfffe
	v_cndmask_b32_e32 v4, 0x7f800000, v4, vcc_lo
	s_cselect_b32 vcc_lo, -1, 0
	s_xor_b32 s0, s12, 0x80000000
	s_cmp_nlt_f32 s9, 0xc2ce8ed0
	s_wait_alu 0xfffe
	s_fmamk_f32 s0, s9, 0x3fb8aa3b, s0
	s_wait_alu 0xfffe
	s_delay_alu instid0(SALU_CYCLE_2) | instskip(SKIP_1) | instid1(SALU_CYCLE_2)
	s_fmamk_f32 s0, s9, 0x32a5705f, s0
	s_wait_alu 0xfffe
	s_add_f32 s0, s13, s0
	s_wait_alu 0xfffe
	s_delay_alu instid0(SALU_CYCLE_2) | instskip(SKIP_1) | instid1(TRANS32_DEP_1)
	v_s_exp_f32 s0, s0
	s_wait_alu 0xf1ff
	v_ldexp_f32 v7, s0, s10
	s_cselect_b32 s0, -1, 0
	s_cmp_ngt_f32 s9, 0x42b17218
	s_wait_alu 0xfffe
	s_delay_alu instid0(VALU_DEP_1) | instskip(SKIP_3) | instid1(VALU_DEP_1)
	v_cndmask_b32_e64 v7, 0, v7, s0
	s_cselect_b32 s0, -1, 0
	s_cmp_ge_f32 s9, 0xc1a00000
	s_wait_alu 0xfffe
	v_cndmask_b32_e64 v7, 0x7f800000, v7, s0
	s_cselect_b32 s0, -1, 0
	s_add_co_i32 s1, s1, -1
	s_add_co_i32 s6, s6, -16
	s_wait_alu 0xfffe
	s_cmp_le_i32 s1, s8
	v_cndmask_b32_e64 v7, 0, v7, s0
	s_mov_b32 s0, s7
	s_wait_loadcnt 0x0
	s_delay_alu instid0(VALU_DEP_1) | instskip(NEXT) | instid1(VALU_DEP_1)
	v_dual_mul_f32 v5, v0, v7 :: v_dual_cndmask_b32 v4, 0, v4
	v_dual_mul_f32 v8, s11, v7 :: v_dual_fmac_f32 v5, v9, v4
	s_delay_alu instid0(VALU_DEP_1) | instskip(NEXT) | instid1(VALU_DEP_1)
	v_mov_b32_e32 v6, v8
	v_fmac_f32_e32 v6, v10, v4
	s_cbranch_scc0 .LBB7_3
	s_branch .LBB7_5
.LBB7_4:
	s_wait_kmcnt 0x0
	v_mov_b32_e32 v6, s11
.LBB7_5:
	s_wait_loadcnt 0x0
	s_delay_alu instid0(VALU_DEP_1) | instskip(NEXT) | instid1(VALU_DEP_1)
	v_div_scale_f32 v0, null, v6, v6, v5
	v_rcp_f32_e32 v3, v0
	s_delay_alu instid0(TRANS32_DEP_1) | instskip(NEXT) | instid1(VALU_DEP_1)
	v_fma_f32 v4, -v0, v3, 1.0
	v_fmac_f32_e32 v3, v4, v3
	v_div_scale_f32 v4, vcc_lo, v5, v6, v5
	s_delay_alu instid0(VALU_DEP_1) | instskip(NEXT) | instid1(VALU_DEP_1)
	v_mul_f32_e32 v7, v4, v3
	v_fma_f32 v8, -v0, v7, v4
	s_delay_alu instid0(VALU_DEP_1) | instskip(NEXT) | instid1(VALU_DEP_1)
	v_fmac_f32_e32 v7, v8, v3
	v_fma_f32 v0, -v0, v7, v4
	s_wait_alu 0xfffd
	s_delay_alu instid0(VALU_DEP_1) | instskip(NEXT) | instid1(VALU_DEP_1)
	v_div_fmas_f32 v0, v0, v3, v7
	v_div_fixup_f32 v0, v0, v6, v5
	global_store_b32 v[1:2], v0, off
.LBB7_6:
	s_endpgm
	.section	.rodata,"a",@progbits
	.p2align	6, 0x0
	.amdhsa_kernel _ZL33flash_attn_stream_k_fixup_uniformILi512ELi1ELi16EEvPfPK15HIP_vector_typeIfLj2EEiiiiiiS1_IjLj3EES5_S5_
		.amdhsa_group_segment_fixed_size 0
		.amdhsa_private_segment_fixed_size 0
		.amdhsa_kernarg_size 76
		.amdhsa_user_sgpr_count 2
		.amdhsa_user_sgpr_dispatch_ptr 0
		.amdhsa_user_sgpr_queue_ptr 0
		.amdhsa_user_sgpr_kernarg_segment_ptr 1
		.amdhsa_user_sgpr_dispatch_id 0
		.amdhsa_user_sgpr_private_segment_size 0
		.amdhsa_wavefront_size32 1
		.amdhsa_uses_dynamic_stack 0
		.amdhsa_enable_private_segment 0
		.amdhsa_system_sgpr_workgroup_id_x 1
		.amdhsa_system_sgpr_workgroup_id_y 1
		.amdhsa_system_sgpr_workgroup_id_z 1
		.amdhsa_system_sgpr_workgroup_info 0
		.amdhsa_system_vgpr_workitem_id 0
		.amdhsa_next_free_vgpr 11
		.amdhsa_next_free_sgpr 20
		.amdhsa_reserve_vcc 1
		.amdhsa_float_round_mode_32 0
		.amdhsa_float_round_mode_16_64 0
		.amdhsa_float_denorm_mode_32 3
		.amdhsa_float_denorm_mode_16_64 3
		.amdhsa_fp16_overflow 0
		.amdhsa_workgroup_processor_mode 1
		.amdhsa_memory_ordered 1
		.amdhsa_forward_progress 1
		.amdhsa_inst_pref_size 9
		.amdhsa_round_robin_scheduling 0
		.amdhsa_exception_fp_ieee_invalid_op 0
		.amdhsa_exception_fp_denorm_src 0
		.amdhsa_exception_fp_ieee_div_zero 0
		.amdhsa_exception_fp_ieee_overflow 0
		.amdhsa_exception_fp_ieee_underflow 0
		.amdhsa_exception_fp_ieee_inexact 0
		.amdhsa_exception_int_div_zero 0
	.end_amdhsa_kernel
	.section	.text._ZL33flash_attn_stream_k_fixup_uniformILi512ELi1ELi16EEvPfPK15HIP_vector_typeIfLj2EEiiiiiiS1_IjLj3EES5_S5_,"axG",@progbits,_ZL33flash_attn_stream_k_fixup_uniformILi512ELi1ELi16EEvPfPK15HIP_vector_typeIfLj2EEiiiiiiS1_IjLj3EES5_S5_,comdat
.Lfunc_end7:
	.size	_ZL33flash_attn_stream_k_fixup_uniformILi512ELi1ELi16EEvPfPK15HIP_vector_typeIfLj2EEiiiiiiS1_IjLj3EES5_S5_, .Lfunc_end7-_ZL33flash_attn_stream_k_fixup_uniformILi512ELi1ELi16EEvPfPK15HIP_vector_typeIfLj2EEiiiiiiS1_IjLj3EES5_S5_
                                        ; -- End function
	.set _ZL33flash_attn_stream_k_fixup_uniformILi512ELi1ELi16EEvPfPK15HIP_vector_typeIfLj2EEiiiiiiS1_IjLj3EES5_S5_.num_vgpr, 11
	.set _ZL33flash_attn_stream_k_fixup_uniformILi512ELi1ELi16EEvPfPK15HIP_vector_typeIfLj2EEiiiiiiS1_IjLj3EES5_S5_.num_agpr, 0
	.set _ZL33flash_attn_stream_k_fixup_uniformILi512ELi1ELi16EEvPfPK15HIP_vector_typeIfLj2EEiiiiiiS1_IjLj3EES5_S5_.numbered_sgpr, 20
	.set _ZL33flash_attn_stream_k_fixup_uniformILi512ELi1ELi16EEvPfPK15HIP_vector_typeIfLj2EEiiiiiiS1_IjLj3EES5_S5_.num_named_barrier, 0
	.set _ZL33flash_attn_stream_k_fixup_uniformILi512ELi1ELi16EEvPfPK15HIP_vector_typeIfLj2EEiiiiiiS1_IjLj3EES5_S5_.private_seg_size, 0
	.set _ZL33flash_attn_stream_k_fixup_uniformILi512ELi1ELi16EEvPfPK15HIP_vector_typeIfLj2EEiiiiiiS1_IjLj3EES5_S5_.uses_vcc, 1
	.set _ZL33flash_attn_stream_k_fixup_uniformILi512ELi1ELi16EEvPfPK15HIP_vector_typeIfLj2EEiiiiiiS1_IjLj3EES5_S5_.uses_flat_scratch, 0
	.set _ZL33flash_attn_stream_k_fixup_uniformILi512ELi1ELi16EEvPfPK15HIP_vector_typeIfLj2EEiiiiiiS1_IjLj3EES5_S5_.has_dyn_sized_stack, 0
	.set _ZL33flash_attn_stream_k_fixup_uniformILi512ELi1ELi16EEvPfPK15HIP_vector_typeIfLj2EEiiiiiiS1_IjLj3EES5_S5_.has_recursion, 0
	.set _ZL33flash_attn_stream_k_fixup_uniformILi512ELi1ELi16EEvPfPK15HIP_vector_typeIfLj2EEiiiiiiS1_IjLj3EES5_S5_.has_indirect_call, 0
	.section	.AMDGPU.csdata,"",@progbits
; Kernel info:
; codeLenInByte = 1120
; TotalNumSgprs: 22
; NumVgprs: 11
; ScratchSize: 0
; MemoryBound: 0
; FloatMode: 240
; IeeeMode: 1
; LDSByteSize: 0 bytes/workgroup (compile time only)
; SGPRBlocks: 0
; VGPRBlocks: 1
; NumSGPRsForWavesPerEU: 22
; NumVGPRsForWavesPerEU: 11
; Occupancy: 16
; WaveLimiterHint : 0
; COMPUTE_PGM_RSRC2:SCRATCH_EN: 0
; COMPUTE_PGM_RSRC2:USER_SGPR: 2
; COMPUTE_PGM_RSRC2:TRAP_HANDLER: 0
; COMPUTE_PGM_RSRC2:TGID_X_EN: 1
; COMPUTE_PGM_RSRC2:TGID_Y_EN: 1
; COMPUTE_PGM_RSRC2:TGID_Z_EN: 1
; COMPUTE_PGM_RSRC2:TIDIG_COMP_CNT: 0
	.section	.text._ZL33flash_attn_stream_k_fixup_generalILi512ELi1ELi16EEvPfPK15HIP_vector_typeIfLj2EEiiiiS1_IjLj3EES5_S5_S5_,"axG",@progbits,_ZL33flash_attn_stream_k_fixup_generalILi512ELi1ELi16EEvPfPK15HIP_vector_typeIfLj2EEiiiiS1_IjLj3EES5_S5_S5_,comdat
	.globl	_ZL33flash_attn_stream_k_fixup_generalILi512ELi1ELi16EEvPfPK15HIP_vector_typeIfLj2EEiiiiS1_IjLj3EES5_S5_S5_ ; -- Begin function _ZL33flash_attn_stream_k_fixup_generalILi512ELi1ELi16EEvPfPK15HIP_vector_typeIfLj2EEiiiiS1_IjLj3EES5_S5_S5_
	.p2align	8
	.type	_ZL33flash_attn_stream_k_fixup_generalILi512ELi1ELi16EEvPfPK15HIP_vector_typeIfLj2EEiiiiS1_IjLj3EES5_S5_S5_,@function
_ZL33flash_attn_stream_k_fixup_generalILi512ELi1ELi16EEvPfPK15HIP_vector_typeIfLj2EEiiiiS1_IjLj3EES5_S5_S5_: ; @_ZL33flash_attn_stream_k_fixup_generalILi512ELi1ELi16EEvPfPK15HIP_vector_typeIfLj2EEiiiiS1_IjLj3EES5_S5_S5_
; %bb.0:
	s_clause 0x1
	s_load_b128 s[4:7], s[0:1], 0x10
	s_load_b32 s16, s[0:1], 0x50
	s_mov_b32 s2, ttmp9
	s_ashr_i32 s3, ttmp9, 31
	s_mov_b32 s17, 0
	s_delay_alu instid0(SALU_CYCLE_1) | instskip(SKIP_3) | instid1(SALU_CYCLE_1)
	s_mov_b32 s8, s17
	s_wait_kmcnt 0x0
	s_ashr_i32 s19, s7, 31
	s_mov_b32 s18, s7
	s_mul_u64 s[2:3], s[18:19], s[2:3]
	s_delay_alu instid0(SALU_CYCLE_1) | instskip(NEXT) | instid1(SALU_CYCLE_1)
	s_mov_b32 s9, s3
	s_cmp_lg_u64 s[8:9], 0
	s_cbranch_scc0 .LBB8_21
; %bb.1:
	s_add_nc_u64 s[8:9], s[16:17], 0
	s_mov_b32 s15, s17
	s_xor_b64 s[8:9], s[8:9], 0
	s_mov_b32 s23, s17
	s_cvt_f32_u32 s7, s8
	s_cvt_f32_u32 s10, s9
	s_sub_nc_u64 s[12:13], 0, s[8:9]
	s_delay_alu instid0(SALU_CYCLE_2) | instskip(NEXT) | instid1(SALU_CYCLE_3)
	s_fmamk_f32 s7, s10, 0x4f800000, s7
	v_s_rcp_f32 s7, s7
	s_delay_alu instid0(TRANS32_DEP_1) | instskip(SKIP_1) | instid1(SALU_CYCLE_2)
	s_mul_f32 s7, s7, 0x5f7ffffc
	s_wait_alu 0xfffe
	s_mul_f32 s10, s7, 0x2f800000
	s_delay_alu instid0(SALU_CYCLE_3) | instskip(NEXT) | instid1(SALU_CYCLE_3)
	s_trunc_f32 s10, s10
	s_fmamk_f32 s7, s10, 0xcf800000, s7
	s_cvt_u32_f32 s11, s10
	s_wait_alu 0xfffe
	s_delay_alu instid0(SALU_CYCLE_1) | instskip(NEXT) | instid1(SALU_CYCLE_3)
	s_cvt_u32_f32 s10, s7
	s_mul_u64 s[20:21], s[12:13], s[10:11]
	s_delay_alu instid0(SALU_CYCLE_1)
	s_mul_hi_u32 s25, s10, s21
	s_mul_i32 s24, s10, s21
	s_mul_hi_u32 s14, s10, s20
	s_mul_i32 s22, s11, s20
	s_add_nc_u64 s[14:15], s[14:15], s[24:25]
	s_mul_hi_u32 s7, s11, s20
	s_mul_hi_u32 s26, s11, s21
	s_add_co_u32 s14, s14, s22
	s_wait_alu 0xfffe
	s_add_co_ci_u32 s22, s15, s7
	s_mul_i32 s20, s11, s21
	s_add_co_ci_u32 s21, s26, 0
	s_delay_alu instid0(SALU_CYCLE_1)
	s_add_nc_u64 s[14:15], s[22:23], s[20:21]
	s_mov_b32 s21, s17
	s_add_co_u32 s10, s10, s14
	s_cselect_b32 s7, -1, 0
	s_wait_alu 0xfffe
	s_cmp_lg_u32 s7, 0
	s_add_co_ci_u32 s11, s11, s15
	s_mov_b32 s15, s17
	s_mul_u64 s[12:13], s[12:13], s[10:11]
	s_delay_alu instid0(SALU_CYCLE_1)
	s_mul_hi_u32 s23, s10, s13
	s_mul_i32 s22, s10, s13
	s_mul_hi_u32 s14, s10, s12
	s_mul_i32 s20, s11, s12
	s_add_nc_u64 s[14:15], s[14:15], s[22:23]
	s_mul_hi_u32 s7, s11, s12
	s_mul_hi_u32 s24, s11, s13
	s_mul_i32 s12, s11, s13
	s_add_co_u32 s13, s14, s20
	s_wait_alu 0xfffe
	s_add_co_ci_u32 s20, s15, s7
	s_add_co_ci_u32 s13, s24, 0
	s_mov_b32 s15, s17
	s_add_nc_u64 s[12:13], s[20:21], s[12:13]
	s_delay_alu instid0(SALU_CYCLE_1) | instskip(SKIP_1) | instid1(SALU_CYCLE_1)
	s_add_co_u32 s7, s10, s12
	s_cselect_b32 s10, -1, 0
	s_cmp_lg_u32 s10, 0
	s_add_co_ci_u32 s20, s11, s13
	s_ashr_i32 s10, s3, 31
	s_delay_alu instid0(SALU_CYCLE_1) | instskip(NEXT) | instid1(SALU_CYCLE_1)
	s_mov_b32 s11, s10
	s_add_nc_u64 s[12:13], s[2:3], s[10:11]
	s_delay_alu instid0(SALU_CYCLE_1) | instskip(NEXT) | instid1(SALU_CYCLE_1)
	s_xor_b64 s[12:13], s[12:13], s[10:11]
	s_mul_hi_u32 s23, s12, s20
	s_mul_i32 s22, s12, s20
	s_wait_alu 0xfffe
	s_mul_hi_u32 s14, s12, s7
	s_mul_hi_u32 s24, s13, s7
	s_mul_i32 s7, s13, s7
	s_add_nc_u64 s[14:15], s[14:15], s[22:23]
	s_mul_hi_u32 s3, s13, s20
	s_wait_alu 0xfffe
	s_add_co_u32 s7, s14, s7
	s_mul_i32 s22, s13, s20
	s_add_co_ci_u32 s20, s15, s24
	s_add_co_ci_u32 s23, s3, 0
	s_delay_alu instid0(SALU_CYCLE_1) | instskip(NEXT) | instid1(SALU_CYCLE_1)
	s_add_nc_u64 s[14:15], s[20:21], s[22:23]
	s_mul_u64 s[20:21], s[8:9], s[14:15]
	s_delay_alu instid0(SALU_CYCLE_1)
	s_sub_co_u32 s3, s12, s20
	s_cselect_b32 s7, -1, 0
	s_sub_co_i32 s12, s13, s21
	s_wait_alu 0xfffe
	s_cmp_lg_u32 s7, 0
	s_sub_co_ci_u32 s12, s12, s9
	s_sub_co_u32 s20, s3, s8
	s_cselect_b32 s22, -1, 0
	s_delay_alu instid0(SALU_CYCLE_1) | instskip(SKIP_2) | instid1(SALU_CYCLE_1)
	s_cmp_lg_u32 s22, 0
	s_add_nc_u64 s[22:23], s[14:15], 1
	s_sub_co_ci_u32 s12, s12, 0
	s_cmp_ge_u32 s12, s9
	s_cselect_b32 s24, -1, 0
	s_cmp_ge_u32 s20, s8
	s_cselect_b32 s20, -1, 0
	s_cmp_eq_u32 s12, s9
	s_cselect_b32 s12, s20, s24
	s_add_nc_u64 s[24:25], s[14:15], 2
	s_cmp_lg_u32 s12, 0
	s_cselect_b32 s12, s24, s22
	s_cselect_b32 s20, s25, s23
	s_cmp_lg_u32 s7, 0
	s_sub_co_ci_u32 s7, s13, s21
	s_wait_alu 0xfffe
	s_cmp_ge_u32 s7, s9
	s_cselect_b32 s13, -1, 0
	s_cmp_ge_u32 s3, s8
	s_cselect_b32 s3, -1, 0
	s_cmp_eq_u32 s7, s9
	s_cselect_b32 s3, s3, s13
	s_delay_alu instid0(SALU_CYCLE_1) | instskip(SKIP_4) | instid1(SALU_CYCLE_1)
	s_cmp_lg_u32 s3, 0
	s_mov_b32 s3, s17
	s_cselect_b32 s9, s20, s15
	s_cselect_b32 s8, s12, s14
	s_xor_b64 s[10:11], s[10:11], 0
	s_xor_b64 s[8:9], s[8:9], s[10:11]
	s_delay_alu instid0(SALU_CYCLE_1)
	s_sub_nc_u64 s[20:21], s[8:9], s[10:11]
	s_and_not1_b32 vcc_lo, exec_lo, s3
	s_cbranch_vccnz .LBB8_3
.LBB8_2:
	v_cvt_f32_u32_e32 v1, s16
	s_sub_co_i32 s7, 0, s16
	s_delay_alu instid0(VALU_DEP_1) | instskip(NEXT) | instid1(TRANS32_DEP_1)
	v_rcp_iflag_f32_e32 v1, v1
	v_mul_f32_e32 v1, 0x4f7ffffe, v1
	s_delay_alu instid0(VALU_DEP_1) | instskip(NEXT) | instid1(VALU_DEP_1)
	v_cvt_u32_f32_e32 v1, v1
	v_readfirstlane_b32 s3, v1
	s_wait_alu 0xfffe
	s_mul_i32 s7, s7, s3
	s_wait_alu 0xfffe
	s_mul_hi_u32 s7, s3, s7
	s_wait_alu 0xfffe
	s_add_co_i32 s3, s3, s7
	s_delay_alu instid0(SALU_CYCLE_1) | instskip(NEXT) | instid1(SALU_CYCLE_1)
	s_mul_hi_u32 s3, s2, s3
	s_mul_i32 s7, s3, s16
	s_wait_alu 0xfffe
	s_sub_co_i32 s2, s2, s7
	s_add_co_i32 s7, s3, 1
	s_sub_co_i32 s8, s2, s16
	s_cmp_ge_u32 s2, s16
	s_wait_alu 0xfffe
	s_cselect_b32 s3, s7, s3
	s_cselect_b32 s2, s8, s2
	s_add_co_i32 s7, s3, 1
	s_cmp_ge_u32 s2, s16
	s_wait_alu 0xfffe
	s_cselect_b32 s20, s7, s3
.LBB8_3:
	s_add_co_i32 s2, ttmp9, 1
	s_mov_b32 s8, 0
	s_ashr_i32 s3, s2, 31
	s_delay_alu instid0(SALU_CYCLE_1) | instskip(NEXT) | instid1(SALU_CYCLE_1)
	s_mul_u64 s[2:3], s[18:19], s[2:3]
	s_mov_b32 s9, s3
	s_delay_alu instid0(SALU_CYCLE_1)
	s_cmp_lg_u64 s[8:9], 0
	s_cbranch_scc0 .LBB8_22
; %bb.4:
	s_add_nc_u64 s[10:11], s[16:17], 0
	s_mov_b32 s23, s8
	s_xor_b64 s[10:11], s[10:11], 0
	s_mov_b32 s27, s8
	s_cvt_f32_u32 s7, s10
	s_cvt_f32_u32 s9, s11
	s_sub_nc_u64 s[14:15], 0, s[10:11]
	s_wait_alu 0xfffe
	s_delay_alu instid0(SALU_CYCLE_1) | instskip(SKIP_1) | instid1(SALU_CYCLE_2)
	s_fmamk_f32 s7, s9, 0x4f800000, s7
	s_wait_alu 0xfffe
	v_s_rcp_f32 s7, s7
	s_delay_alu instid0(TRANS32_DEP_1) | instskip(SKIP_1) | instid1(SALU_CYCLE_2)
	s_mul_f32 s7, s7, 0x5f7ffffc
	s_wait_alu 0xfffe
	s_mul_f32 s9, s7, 0x2f800000
	s_delay_alu instid0(SALU_CYCLE_3) | instskip(NEXT) | instid1(SALU_CYCLE_3)
	s_trunc_f32 s9, s9
	s_fmamk_f32 s7, s9, 0xcf800000, s7
	s_cvt_u32_f32 s13, s9
	s_wait_alu 0xfffe
	s_delay_alu instid0(SALU_CYCLE_1) | instskip(NEXT) | instid1(SALU_CYCLE_3)
	s_cvt_u32_f32 s12, s7
	s_mul_u64 s[24:25], s[14:15], s[12:13]
	s_delay_alu instid0(SALU_CYCLE_1)
	s_mul_hi_u32 s29, s12, s25
	s_mul_i32 s28, s12, s25
	s_mul_hi_u32 s22, s12, s24
	s_mul_i32 s9, s13, s24
	s_add_nc_u64 s[22:23], s[22:23], s[28:29]
	s_mul_hi_u32 s7, s13, s24
	s_mul_hi_u32 s21, s13, s25
	s_add_co_u32 s9, s22, s9
	s_wait_alu 0xfffe
	s_add_co_ci_u32 s26, s23, s7
	s_mul_i32 s24, s13, s25
	s_add_co_ci_u32 s25, s21, 0
	s_delay_alu instid0(SALU_CYCLE_1)
	s_add_nc_u64 s[22:23], s[26:27], s[24:25]
	s_mov_b32 s25, s8
	s_add_co_u32 s12, s12, s22
	s_cselect_b32 s7, -1, 0
	s_wait_alu 0xfffe
	s_cmp_lg_u32 s7, 0
	s_add_co_ci_u32 s13, s13, s23
	s_mov_b32 s23, s8
	s_mul_u64 s[14:15], s[14:15], s[12:13]
	s_delay_alu instid0(SALU_CYCLE_1)
	s_mul_hi_u32 s27, s12, s15
	s_mul_i32 s26, s12, s15
	s_mul_hi_u32 s22, s12, s14
	s_mul_i32 s9, s13, s14
	s_add_nc_u64 s[22:23], s[22:23], s[26:27]
	s_mul_hi_u32 s7, s13, s14
	s_mul_hi_u32 s21, s13, s15
	s_add_co_u32 s9, s22, s9
	s_wait_alu 0xfffe
	s_add_co_ci_u32 s24, s23, s7
	s_mul_i32 s14, s13, s15
	s_add_co_ci_u32 s15, s21, 0
	s_mov_b32 s23, s8
	s_add_nc_u64 s[14:15], s[24:25], s[14:15]
	s_delay_alu instid0(SALU_CYCLE_1) | instskip(SKIP_1) | instid1(SALU_CYCLE_1)
	s_add_co_u32 s7, s12, s14
	s_cselect_b32 s9, -1, 0
	s_cmp_lg_u32 s9, 0
	s_add_co_ci_u32 s9, s13, s15
	s_ashr_i32 s12, s3, 31
	s_delay_alu instid0(SALU_CYCLE_1) | instskip(NEXT) | instid1(SALU_CYCLE_1)
	s_mov_b32 s13, s12
	s_add_nc_u64 s[14:15], s[2:3], s[12:13]
	s_delay_alu instid0(SALU_CYCLE_1) | instskip(NEXT) | instid1(SALU_CYCLE_1)
	s_xor_b64 s[14:15], s[14:15], s[12:13]
	s_mul_hi_u32 s27, s14, s9
	s_mul_i32 s26, s14, s9
	s_wait_alu 0xfffe
	s_mul_hi_u32 s22, s14, s7
	s_mul_hi_u32 s21, s15, s7
	s_mul_i32 s7, s15, s7
	s_add_nc_u64 s[22:23], s[22:23], s[26:27]
	s_mul_hi_u32 s3, s15, s9
	s_wait_alu 0xfffe
	s_add_co_u32 s7, s22, s7
	s_add_co_ci_u32 s24, s23, s21
	s_mul_i32 s26, s15, s9
	s_add_co_ci_u32 s27, s3, 0
	s_delay_alu instid0(SALU_CYCLE_1) | instskip(NEXT) | instid1(SALU_CYCLE_1)
	s_add_nc_u64 s[22:23], s[24:25], s[26:27]
	s_mul_u64 s[24:25], s[10:11], s[22:23]
	s_add_nc_u64 s[26:27], s[22:23], 1
	s_sub_co_u32 s3, s14, s24
	s_cselect_b32 s7, -1, 0
	s_sub_co_i32 s9, s15, s25
	s_wait_alu 0xfffe
	s_cmp_lg_u32 s7, 0
	s_add_nc_u64 s[28:29], s[22:23], 2
	s_sub_co_ci_u32 s9, s9, s11
	s_sub_co_u32 s14, s3, s10
	s_cselect_b32 s21, -1, 0
	s_delay_alu instid0(SALU_CYCLE_1) | instskip(SKIP_1) | instid1(SALU_CYCLE_1)
	s_cmp_lg_u32 s21, 0
	s_sub_co_ci_u32 s9, s9, 0
	s_cmp_ge_u32 s9, s11
	s_cselect_b32 s21, -1, 0
	s_cmp_ge_u32 s14, s10
	s_cselect_b32 s14, -1, 0
	s_cmp_eq_u32 s9, s11
	s_cselect_b32 s9, s14, s21
	s_delay_alu instid0(SALU_CYCLE_1)
	s_cmp_lg_u32 s9, 0
	s_cselect_b32 s9, s28, s26
	s_cselect_b32 s14, s29, s27
	s_cmp_lg_u32 s7, 0
	s_sub_co_ci_u32 s7, s15, s25
	s_wait_alu 0xfffe
	s_cmp_ge_u32 s7, s11
	s_cselect_b32 s15, -1, 0
	s_cmp_ge_u32 s3, s10
	s_cselect_b32 s3, -1, 0
	s_cmp_eq_u32 s7, s11
	s_cselect_b32 s3, s3, s15
	s_delay_alu instid0(SALU_CYCLE_1) | instskip(SKIP_3) | instid1(SALU_CYCLE_1)
	s_cmp_lg_u32 s3, 0
	s_cselect_b32 s11, s14, s23
	s_cselect_b32 s10, s9, s22
	s_xor_b64 s[12:13], s[12:13], 0
	s_xor_b64 s[10:11], s[10:11], s[12:13]
	s_delay_alu instid0(SALU_CYCLE_1)
	s_sub_nc_u64 s[10:11], s[10:11], s[12:13]
	s_load_b96 s[12:14], s[0:1], 0x44
	s_and_not1_b32 vcc_lo, exec_lo, s8
	s_cbranch_vccnz .LBB8_6
.LBB8_5:
	v_cvt_f32_u32_e32 v1, s16
	s_sub_co_i32 s7, 0, s16
	s_delay_alu instid0(VALU_DEP_1) | instskip(NEXT) | instid1(TRANS32_DEP_1)
	v_rcp_iflag_f32_e32 v1, v1
	v_mul_f32_e32 v1, 0x4f7ffffe, v1
	s_delay_alu instid0(VALU_DEP_1) | instskip(NEXT) | instid1(VALU_DEP_1)
	v_cvt_u32_f32_e32 v1, v1
	v_readfirstlane_b32 s3, v1
	s_wait_alu 0xfffe
	s_mul_i32 s7, s7, s3
	s_wait_alu 0xfffe
	s_mul_hi_u32 s7, s3, s7
	s_wait_alu 0xfffe
	s_add_co_i32 s3, s3, s7
	s_delay_alu instid0(SALU_CYCLE_1) | instskip(NEXT) | instid1(SALU_CYCLE_1)
	s_mul_hi_u32 s3, s2, s3
	s_mul_i32 s7, s3, s16
	s_wait_alu 0xfffe
	s_sub_co_i32 s2, s2, s7
	s_add_co_i32 s7, s3, 1
	s_sub_co_i32 s8, s2, s16
	s_cmp_ge_u32 s2, s16
	s_wait_alu 0xfffe
	s_cselect_b32 s3, s7, s3
	s_cselect_b32 s2, s8, s2
	s_add_co_i32 s7, s3, 1
	s_cmp_ge_u32 s2, s16
	s_wait_alu 0xfffe
	s_cselect_b32 s10, s7, s3
.LBB8_6:
	s_mov_b32 s21, 0
	s_wait_kmcnt 0x0
	s_mov_b32 s22, s12
	s_mov_b32 s23, s21
	s_cmp_eq_u32 s20, s10
	s_mul_u64 s[2:3], s[20:21], s[22:23]
	s_cselect_b32 s7, -1, 0
	s_add_co_i32 s2, s3, s20
	s_mov_b32 s11, s21
	s_lshr_b32 s12, s2, s13
	s_mul_u64 s[2:3], s[10:11], s[22:23]
	s_mul_i32 s2, s12, s14
	s_delay_alu instid0(SALU_CYCLE_1) | instskip(SKIP_2) | instid1(SALU_CYCLE_1)
	s_cmp_eq_u32 s2, s20
	s_cselect_b32 s2, -1, 0
	s_add_co_i32 s3, s3, s10
	s_lshr_b32 s3, s3, s13
	s_delay_alu instid0(SALU_CYCLE_1)
	s_cmp_eq_u32 s12, s3
	s_mul_i32 s3, s3, s14
	s_cselect_b32 s8, -1, 0
	s_cmp_lg_u32 s3, s10
	s_cselect_b32 s3, -1, 0
	s_wait_alu 0xfffe
	s_or_b32 s2, s7, s2
	s_and_b32 s3, s8, s3
	s_delay_alu instid0(SALU_CYCLE_1) | instskip(NEXT) | instid1(SALU_CYCLE_1)
	s_or_b32 s2, s2, s3
	s_and_b32 vcc_lo, exec_lo, s2
	s_cbranch_vccnz .LBB8_24
; %bb.7:
	s_load_b256 s[24:31], s[0:1], 0x20
	s_mov_b32 s3, s21
	s_load_b32 s7, s[0:1], 0x40
	s_and_b32 s15, ttmp7, 0xffff
	s_wait_kmcnt 0x0
	s_mov_b32 s2, s24
	s_delay_alu instid0(SALU_CYCLE_1) | instskip(NEXT) | instid1(SALU_CYCLE_1)
	s_mul_u64 s[2:3], s[20:21], s[2:3]
	s_add_co_i32 s2, s3, s20
	s_delay_alu instid0(SALU_CYCLE_1) | instskip(NEXT) | instid1(SALU_CYCLE_1)
	s_lshr_b32 s2, s2, s25
	s_mul_i32 s3, s2, s26
	s_delay_alu instid0(SALU_CYCLE_1) | instskip(NEXT) | instid1(SALU_CYCLE_1)
	s_sub_co_i32 s8, s20, s3
	s_mul_hi_u32 s3, s8, s27
	s_delay_alu instid0(SALU_CYCLE_1) | instskip(NEXT) | instid1(SALU_CYCLE_1)
	s_add_co_i32 s3, s8, s3
	s_lshr_b32 s3, s3, s28
	s_delay_alu instid0(SALU_CYCLE_1) | instskip(NEXT) | instid1(SALU_CYCLE_1)
	s_mul_i32 s9, s3, s29
	s_sub_co_i32 s8, s8, s9
	s_delay_alu instid0(SALU_CYCLE_1) | instskip(NEXT) | instid1(SALU_CYCLE_1)
	s_mul_hi_u32 s9, s8, s30
	s_add_co_i32 s9, s8, s9
	s_delay_alu instid0(SALU_CYCLE_1)
	s_lshr_b32 s24, s9, s31
	s_mov_b32 s9, s21
	s_mul_i32 s7, s24, s7
	s_lshr_b32 s21, ttmp7, 16
	s_wait_alu 0xfffe
	s_sub_co_i32 s8, s8, s7
	s_lshl_b32 s24, s24, 4
	s_mul_u64 s[10:11], s[8:9], s[22:23]
	s_delay_alu instid0(SALU_CYCLE_1)
	s_add_co_i32 s7, s8, s11
	s_wait_alu 0xfffe
	s_lshr_b32 s7, s7, s13
	s_wait_alu 0xfffe
	s_add_co_i32 s7, s7, s15
	s_wait_alu 0xfffe
	s_cmp_lt_i32 s7, s4
	s_cselect_b32 s8, -1, 0
	s_add_co_i32 s24, s24, s21
	s_delay_alu instid0(SALU_CYCLE_1) | instskip(SKIP_1) | instid1(SALU_CYCLE_1)
	s_cmp_lt_i32 s24, s6
	s_cselect_b32 s9, -1, 0
	s_and_b32 s8, s8, s9
	s_delay_alu instid0(SALU_CYCLE_1)
	s_and_not1_b32 vcc_lo, exec_lo, s8
	s_cbranch_vccnz .LBB8_24
; %bb.8:
	s_mul_i32 s2, s2, s4
	s_load_b128 s[8:11], s[0:1], 0x0
	s_mul_i32 s3, s3, s6
	s_add_co_i32 s0, s7, s2
	s_add_co_i32 s1, s24, s3
	s_mul_i32 s0, s0, s5
	v_cvt_f32_u32_e32 v4, s16
	s_add_co_i32 s1, s1, s0
	s_add_co_i32 s34, ttmp9, -1
	v_lshl_or_b32 v1, s1, 9, v0
	s_add_nc_u64 s[0:1], s[16:17], 0
	v_rcp_iflag_f32_e32 v4, v4
	s_wait_alu 0xfffe
	s_xor_b64 s[6:7], s[0:1], 0
	s_add_co_i32 s0, s15, ttmp9
	v_ashrrev_i32_e32 v2, 31, v1
	s_wait_alu 0xfffe
	s_cvt_f32_u32 s1, s6
	s_cvt_f32_u32 s2, s7
	s_lshl_b32 s0, s0, 4
	v_lshl_or_b32 v0, s21, 9, v0
	v_lshlrev_b64_e32 v[1:2], 2, v[1:2]
	s_wait_alu 0xfffe
	s_add_co_i32 s0, s0, s21
	s_fmamk_f32 s2, s2, 0x4f800000, s1
	s_wait_alu 0xfffe
	s_ashr_i32 s1, s0, 31
	s_sub_nc_u64 s[30:31], 0, s[6:7]
	s_wait_alu 0xfffe
	s_lshl_b64 s[0:1], s[0:1], 3
	s_wait_kmcnt 0x0
	v_add_co_u32 v1, vcc_lo, s8, v1
	s_delay_alu instid0(VALU_DEP_1)
	v_add_co_ci_u32_e64 v2, null, s9, v2, vcc_lo
	v_s_rcp_f32 s2, s2
	s_wait_alu 0xfffe
	s_add_nc_u64 s[0:1], s[10:11], s[0:1]
	s_mov_b32 s8, 0
	global_load_b32 v3, v[1:2], off
	s_load_b64 s[26:27], s[0:1], 0x0
	v_mul_f32_e32 v4, 0x4f7ffffe, v4
	s_lshl_b32 s0, s16, 6
	s_mul_f32 s2, s2, 0x5f7ffffc
	s_wait_alu 0xfffe
	s_delay_alu instid0(SALU_CYCLE_2) | instskip(SKIP_1) | instid1(SALU_CYCLE_2)
	s_mul_f32 s1, s2, 0x2f800000
	s_wait_alu 0xfffe
	s_trunc_f32 s3, s1
	s_mov_b32 s1, s8
	s_wait_alu 0xfffe
	s_lshl_b64 s[0:1], s[0:1], 2
	s_fmamk_f32 s2, s3, 0xcf800000, s2
	s_cvt_u32_f32 s29, s3
	s_wait_alu 0xfffe
	s_add_nc_u64 s[24:25], s[10:11], s[0:1]
	s_cvt_u32_f32 s28, s2
	s_wait_kmcnt 0x0
	v_mov_b32_e32 v5, s27
	v_cvt_u32_f32_e32 v4, v4
.LBB8_9:                                ; =>This Inner Loop Header: Depth=1
	s_wait_alu 0xfffe
	s_ashr_i32 s35, s34, 31
	s_mov_b32 s2, -1
	s_wait_alu 0xfffe
	s_mul_u64 s[0:1], s[34:35], s[18:19]
                                        ; implicit-def: $sgpr38_sgpr39
	s_wait_alu 0xfffe
	s_mov_b32 s9, s1
	s_wait_alu 0xfffe
	s_cmp_lg_u64 s[8:9], 0
	s_cbranch_scc0 .LBB8_11
; %bb.10:                               ;   in Loop: Header=BB8_9 Depth=1
	s_mul_u64 s[2:3], s[30:31], s[28:29]
	s_mov_b32 s37, s8
	s_wait_alu 0xfffe
	s_mul_hi_u32 s5, s28, s3
	s_mul_i32 s4, s28, s3
	s_mul_hi_u32 s36, s28, s2
	s_mul_hi_u32 s9, s29, s2
	s_wait_alu 0xfffe
	s_add_nc_u64 s[4:5], s[36:37], s[4:5]
	s_mul_i32 s2, s29, s2
	s_mul_hi_u32 s17, s29, s3
	s_wait_alu 0xfffe
	s_add_co_u32 s2, s4, s2
	s_add_co_ci_u32 s2, s5, s9
	s_add_co_ci_u32 s5, s17, 0
	s_mul_i32 s4, s29, s3
	s_mov_b32 s3, s8
	s_mov_b32 s39, s8
	s_wait_alu 0xfffe
	s_add_nc_u64 s[2:3], s[2:3], s[4:5]
	s_wait_alu 0xfffe
	s_add_co_u32 s2, s28, s2
	s_cselect_b32 s4, -1, 0
	s_wait_alu 0xfffe
	s_cmp_lg_u32 s4, 0
	s_add_co_ci_u32 s3, s29, s3
	s_wait_alu 0xfffe
	s_mul_u64 s[4:5], s[30:31], s[2:3]
	s_wait_alu 0xfffe
	s_mul_hi_u32 s37, s2, s5
	s_mul_i32 s36, s2, s5
	s_mul_hi_u32 s38, s2, s4
	s_mul_hi_u32 s9, s3, s4
	s_mul_i32 s4, s3, s4
	s_wait_alu 0xfffe
	s_add_nc_u64 s[36:37], s[38:39], s[36:37]
	s_mul_hi_u32 s17, s3, s5
	s_wait_alu 0xfffe
	s_add_co_u32 s4, s36, s4
	s_add_co_ci_u32 s4, s37, s9
	s_add_co_ci_u32 s37, s17, 0
	s_mul_i32 s36, s3, s5
	s_mov_b32 s5, s8
	s_wait_alu 0xfffe
	s_add_nc_u64 s[4:5], s[4:5], s[36:37]
	s_mov_b32 s37, s8
	s_wait_alu 0xfffe
	s_add_co_u32 s9, s2, s4
	s_cselect_b32 s2, -1, 0
	s_wait_alu 0xfffe
	s_cmp_lg_u32 s2, 0
	s_add_co_ci_u32 s17, s3, s5
	s_ashr_i32 s2, s1, 31
	s_wait_alu 0xfffe
	s_mov_b32 s3, s2
	s_wait_alu 0xfffe
	s_add_nc_u64 s[4:5], s[0:1], s[2:3]
	s_wait_alu 0xfffe
	s_xor_b64 s[4:5], s[4:5], s[2:3]
	s_wait_alu 0xfffe
	s_mul_hi_u32 s39, s4, s17
	s_mul_i32 s38, s4, s17
	s_mul_hi_u32 s36, s4, s9
	s_mul_i32 s27, s5, s9
	s_wait_alu 0xfffe
	s_add_nc_u64 s[36:37], s[36:37], s[38:39]
	s_mul_hi_u32 s9, s5, s9
	s_mul_hi_u32 s1, s5, s17
	s_wait_alu 0xfffe
	s_add_co_u32 s27, s36, s27
	s_add_co_ci_u32 s36, s37, s9
	s_add_co_ci_u32 s39, s1, 0
	s_mul_i32 s38, s5, s17
	s_mov_b32 s37, s8
	s_wait_alu 0xfffe
	s_add_nc_u64 s[36:37], s[36:37], s[38:39]
	s_wait_alu 0xfffe
	s_mul_u64 s[38:39], s[6:7], s[36:37]
	s_add_nc_u64 s[40:41], s[36:37], 1
	s_wait_alu 0xfffe
	s_sub_co_u32 s1, s4, s38
	s_cselect_b32 s4, -1, 0
	s_sub_co_i32 s9, s5, s39
	s_wait_alu 0xfffe
	s_cmp_lg_u32 s4, 0
	s_add_nc_u64 s[42:43], s[36:37], 2
	s_sub_co_ci_u32 s9, s9, s7
	s_sub_co_u32 s17, s1, s6
	s_cselect_b32 s27, -1, 0
	s_wait_alu 0xfffe
	s_cmp_lg_u32 s27, 0
	s_sub_co_ci_u32 s9, s9, 0
	s_wait_alu 0xfffe
	s_cmp_ge_u32 s9, s7
	s_cselect_b32 s27, -1, 0
	s_cmp_ge_u32 s17, s6
	s_cselect_b32 s17, -1, 0
	s_cmp_eq_u32 s9, s7
	s_wait_alu 0xfffe
	s_cselect_b32 s9, s17, s27
	s_wait_alu 0xfffe
	s_cmp_lg_u32 s9, 0
	s_cselect_b32 s9, s42, s40
	s_cselect_b32 s17, s43, s41
	s_cmp_lg_u32 s4, 0
	s_sub_co_ci_u32 s4, s5, s39
	s_wait_alu 0xfffe
	s_cmp_ge_u32 s4, s7
	s_cselect_b32 s5, -1, 0
	s_cmp_ge_u32 s1, s6
	s_cselect_b32 s1, -1, 0
	s_cmp_eq_u32 s4, s7
	s_wait_alu 0xfffe
	s_cselect_b32 s1, s1, s5
	s_wait_alu 0xfffe
	s_cmp_lg_u32 s1, 0
	s_cselect_b32 s5, s17, s37
	s_cselect_b32 s4, s9, s36
	s_xor_b64 s[2:3], s[2:3], 0
	s_wait_alu 0xfffe
	s_xor_b64 s[4:5], s[4:5], s[2:3]
	s_wait_alu 0xfffe
	s_sub_nc_u64 s[38:39], s[4:5], s[2:3]
	s_mov_b32 s2, 0
.LBB8_11:                               ;   in Loop: Header=BB8_9 Depth=1
	s_wait_alu 0xfffe
	s_and_not1_b32 vcc_lo, exec_lo, s2
	s_wait_alu 0xfffe
	s_cbranch_vccnz .LBB8_13
; %bb.12:                               ;   in Loop: Header=BB8_9 Depth=1
	v_readfirstlane_b32 s1, v4
	s_sub_co_i32 s2, 0, s16
	s_wait_alu 0xfffe
	s_mul_i32 s2, s2, s1
	s_wait_alu 0xfffe
	s_mul_hi_u32 s2, s1, s2
	s_wait_alu 0xfffe
	s_add_co_i32 s1, s1, s2
	s_wait_alu 0xfffe
	s_mul_hi_u32 s1, s0, s1
	s_wait_alu 0xfffe
	s_mul_i32 s2, s1, s16
	s_wait_alu 0xfffe
	s_sub_co_i32 s0, s0, s2
	s_add_co_i32 s2, s1, 1
	s_wait_alu 0xfffe
	s_sub_co_i32 s3, s0, s16
	s_cmp_ge_u32 s0, s16
	s_cselect_b32 s1, s2, s1
	s_wait_alu 0xfffe
	s_cselect_b32 s0, s3, s0
	s_add_co_i32 s2, s1, 1
	s_wait_alu 0xfffe
	s_cmp_ge_u32 s0, s16
	s_cselect_b32 s38, s2, s1
.LBB8_13:                               ;   in Loop: Header=BB8_9 Depth=1
	v_readfirstlane_b32 s9, v0
	s_wait_alu 0xfffe
	s_cmp_lg_u32 s20, s38
	s_mov_b32 s0, -1
                                        ; implicit-def: $sgpr27
                                        ; implicit-def: $vgpr6
                                        ; implicit-def: $vgpr7
                                        ; implicit-def: $sgpr17
                                        ; implicit-def: $sgpr33
	s_cbranch_scc1 .LBB8_16
; %bb.14:                               ;   in Loop: Header=BB8_9 Depth=1
	s_wait_alu 0xfffe
	s_and_not1_b32 vcc_lo, exec_lo, s0
	s_wait_alu 0xfffe
	s_cbranch_vccz .LBB8_19
.LBB8_15:                               ;   in Loop: Header=BB8_9 Depth=1
	s_and_not1_b32 vcc_lo, exec_lo, s27
	s_wait_alu 0xfffe
	s_cbranch_vccnz .LBB8_20
	s_branch .LBB8_23
.LBB8_16:                               ;   in Loop: Header=BB8_9 Depth=1
	s_add_co_i32 s40, s34, s15
	s_mov_b32 s1, s8
	s_wait_alu 0xfffe
	s_add_co_i32 s0, s40, s16
	v_max_num_f32_e64 v6, s26, s26
	s_wait_alu 0xfffe
	s_lshl_b32 s0, s0, 4
	s_mov_b32 s39, s8
	s_wait_alu 0xfffe
	s_add_co_i32 s0, s0, s21
	s_mul_u64 s[42:43], s[38:39], s[22:23]
	s_wait_alu 0xfffe
	s_lshl_b64 s[0:1], s[0:1], 3
	s_mov_b32 s33, s20
	s_wait_alu 0xfffe
	s_add_nc_u64 s[0:1], s[10:11], s[0:1]
	s_load_b64 s[36:37], s[0:1], 0x0
	v_readfirstlane_b32 s0, v6
	s_wait_kmcnt 0x0
	v_max_num_f32_e64 v7, s36, s36
	s_delay_alu instid0(VALU_DEP_1) | instskip(SKIP_2) | instid1(SALU_CYCLE_2)
	v_readfirstlane_b32 s1, v7
	s_max_num_f32 s9, s0, s1
	s_wait_alu 0xfffe
	s_sub_f32 s35, s26, s9
	s_sub_f32 s36, s36, s9
	s_wait_alu 0xfffe
	s_delay_alu instid0(SALU_CYCLE_1)
	s_cmp_nlt_f32 s35, 0xc2ce8ed0
	s_cselect_b32 s0, -1, 0
	s_cmp_ngt_f32 s35, 0x42b17218
	s_cselect_b32 s1, -1, 0
	s_cmp_ge_f32 s35, 0xc1a00000
	s_cselect_b32 s2, -1, 0
	s_cmp_nlt_f32 s36, 0xc2ce8ed0
	s_cselect_b32 s3, -1, 0
	s_cmp_ngt_f32 s36, 0x42b17218
	s_cselect_b32 s4, -1, 0
	s_cmp_ge_f32 s36, 0xc1a00000
	s_cselect_b32 s5, -1, 0
	s_add_co_i32 s17, s43, s38
	s_wait_alu 0xfffe
	s_lshr_b32 s17, s17, s13
	s_wait_alu 0xfffe
	s_mul_i32 s27, s17, s14
	s_wait_alu 0xfffe
	s_cmp_eq_u32 s27, s38
	s_cselect_b32 s27, -1, 0
	s_cmp_lt_u32 s17, s12
	s_cselect_b32 s17, -1, 0
	s_wait_alu 0xfffe
	s_or_b32 s17, s17, s27
	s_mov_b32 s27, -1
	s_wait_alu 0xfffe
	s_and_b32 vcc_lo, exec_lo, s17
	s_mov_b32 s17, s34
	s_wait_alu 0xfffe
	s_cbranch_vccnz .LBB8_18
; %bb.17:                               ;   in Loop: Header=BB8_9 Depth=1
	s_add_co_i32 s17, s34, -1
	s_mov_b32 s27, 0
	s_mov_b32 s33, s38
.LBB8_18:                               ;   in Loop: Header=BB8_9 Depth=1
	v_lshl_add_u32 v6, s40, 13, v0
	s_mul_f32 s38, s36, 0x3fb8aa3b
	s_mul_f32 s39, s35, 0x3fb8aa3b
	s_wait_alu 0xfffe
	s_delay_alu instid0(SALU_CYCLE_1)
	s_xor_b32 s40, s38, 0x80000000
	v_ashrrev_i32_e32 v7, 31, v6
	s_rndne_f32 s41, s38
	s_wait_alu 0xfffe
	s_fmamk_f32 s40, s36, 0x3fb8aa3b, s40
	s_xor_b32 s42, s39, 0x80000000
	s_rndne_f32 s43, s39
	v_lshlrev_b64_e32 v[6:7], 2, v[6:7]
	s_sub_f32 s38, s38, s41
	s_wait_alu 0xfffe
	s_fmamk_f32 s36, s36, 0x32a5705f, s40
	s_fmamk_f32 s40, s35, 0x3fb8aa3b, s42
	s_sub_f32 s39, s39, s43
	v_add_co_u32 v6, vcc_lo, s24, v6
	s_wait_alu 0xfffd
	v_add_co_ci_u32_e64 v7, null, s25, v7, vcc_lo
	s_wait_alu 0xfffe
	s_add_f32 s36, s38, s36
	s_fmamk_f32 s35, s35, 0x32a5705f, s40
	s_cvt_i32_f32 s38, s41
	global_load_b32 v6, v[6:7], off
	s_wait_alu 0xfffe
	v_s_exp_f32 s36, s36
	s_add_f32 s35, s39, s35
	s_wait_alu 0xfffe
	s_delay_alu instid0(SALU_CYCLE_2) | instskip(NEXT) | instid1(TRANS32_DEP_2)
	v_s_exp_f32 s35, s35
	v_ldexp_f32 v7, s36, s38
	s_cvt_i32_f32 s36, s43
	s_wait_alu 0xf1fe
	s_delay_alu instid0(TRANS32_DEP_1) | instid1(SALU_CYCLE_2)
	v_ldexp_f32 v8, s35, s36
	s_delay_alu instid0(VALU_DEP_2) | instskip(NEXT) | instid1(VALU_DEP_2)
	v_cndmask_b32_e64 v7, 0, v7, s3
	v_cndmask_b32_e64 v8, 0, v8, s0
	s_delay_alu instid0(VALU_DEP_2) | instskip(NEXT) | instid1(VALU_DEP_2)
	v_cndmask_b32_e64 v7, 0x7f800000, v7, s4
	v_cndmask_b32_e64 v8, 0x7f800000, v8, s1
	;; [unrolled: 3-line block ×3, first 2 shown]
	s_wait_loadcnt 0x0
	s_delay_alu instid0(VALU_DEP_2) | instskip(SKIP_1) | instid1(VALU_DEP_1)
	v_mul_f32_e32 v6, v6, v7
	v_mul_f32_e32 v7, s37, v7
	v_fmac_f32_e32 v7, v5, v8
	s_delay_alu instid0(VALU_DEP_3)
	v_fmac_f32_e32 v6, v3, v8
	s_cbranch_execnz .LBB8_15
.LBB8_19:                               ;   in Loop: Header=BB8_9 Depth=1
	s_wait_loadcnt 0x0
	v_dual_mov_b32 v7, v5 :: v_dual_mov_b32 v6, v3
	s_add_co_i32 s17, s34, -1
	s_mov_b32 s33, s20
	s_mov_b32 s9, s26
	s_cbranch_execz .LBB8_23
.LBB8_20:                               ;   in Loop: Header=BB8_9 Depth=1
	v_mov_b32_e32 v5, v7
	s_wait_loadcnt 0x0
	v_mov_b32_e32 v3, v6
	s_mov_b32 s20, s33
	s_wait_alu 0xfffe
	s_mov_b32 s34, s17
	s_mov_b32 s26, s9
	s_branch .LBB8_9
.LBB8_21:
                                        ; implicit-def: $sgpr20_sgpr21
	s_branch .LBB8_2
.LBB8_22:
                                        ; implicit-def: $sgpr10_sgpr11
	s_load_b96 s[12:14], s[0:1], 0x44
	s_branch .LBB8_5
.LBB8_23:
	v_div_scale_f32 v0, null, v7, v7, v6
	s_wait_loadcnt 0x0
	s_delay_alu instid0(VALU_DEP_1) | instskip(NEXT) | instid1(TRANS32_DEP_1)
	v_rcp_f32_e32 v3, v0
	v_fma_f32 v4, -v0, v3, 1.0
	s_delay_alu instid0(VALU_DEP_1) | instskip(SKIP_1) | instid1(VALU_DEP_1)
	v_fmac_f32_e32 v3, v4, v3
	v_div_scale_f32 v4, vcc_lo, v6, v7, v6
	v_mul_f32_e32 v5, v4, v3
	s_delay_alu instid0(VALU_DEP_1) | instskip(NEXT) | instid1(VALU_DEP_1)
	v_fma_f32 v8, -v0, v5, v4
	v_fmac_f32_e32 v5, v8, v3
	s_delay_alu instid0(VALU_DEP_1) | instskip(SKIP_1) | instid1(VALU_DEP_1)
	v_fma_f32 v0, -v0, v5, v4
	s_wait_alu 0xfffd
	v_div_fmas_f32 v0, v0, v3, v5
	s_delay_alu instid0(VALU_DEP_1)
	v_div_fixup_f32 v0, v0, v7, v6
	global_store_b32 v[1:2], v0, off
.LBB8_24:
	s_endpgm
	.section	.rodata,"a",@progbits
	.p2align	6, 0x0
	.amdhsa_kernel _ZL33flash_attn_stream_k_fixup_generalILi512ELi1ELi16EEvPfPK15HIP_vector_typeIfLj2EEiiiiS1_IjLj3EES5_S5_S5_
		.amdhsa_group_segment_fixed_size 0
		.amdhsa_private_segment_fixed_size 0
		.amdhsa_kernarg_size 336
		.amdhsa_user_sgpr_count 2
		.amdhsa_user_sgpr_dispatch_ptr 0
		.amdhsa_user_sgpr_queue_ptr 0
		.amdhsa_user_sgpr_kernarg_segment_ptr 1
		.amdhsa_user_sgpr_dispatch_id 0
		.amdhsa_user_sgpr_private_segment_size 0
		.amdhsa_wavefront_size32 1
		.amdhsa_uses_dynamic_stack 0
		.amdhsa_enable_private_segment 0
		.amdhsa_system_sgpr_workgroup_id_x 1
		.amdhsa_system_sgpr_workgroup_id_y 1
		.amdhsa_system_sgpr_workgroup_id_z 1
		.amdhsa_system_sgpr_workgroup_info 0
		.amdhsa_system_vgpr_workitem_id 0
		.amdhsa_next_free_vgpr 9
		.amdhsa_next_free_sgpr 44
		.amdhsa_reserve_vcc 1
		.amdhsa_float_round_mode_32 0
		.amdhsa_float_round_mode_16_64 0
		.amdhsa_float_denorm_mode_32 3
		.amdhsa_float_denorm_mode_16_64 3
		.amdhsa_fp16_overflow 0
		.amdhsa_workgroup_processor_mode 1
		.amdhsa_memory_ordered 1
		.amdhsa_forward_progress 1
		.amdhsa_inst_pref_size 28
		.amdhsa_round_robin_scheduling 0
		.amdhsa_exception_fp_ieee_invalid_op 0
		.amdhsa_exception_fp_denorm_src 0
		.amdhsa_exception_fp_ieee_div_zero 0
		.amdhsa_exception_fp_ieee_overflow 0
		.amdhsa_exception_fp_ieee_underflow 0
		.amdhsa_exception_fp_ieee_inexact 0
		.amdhsa_exception_int_div_zero 0
	.end_amdhsa_kernel
	.section	.text._ZL33flash_attn_stream_k_fixup_generalILi512ELi1ELi16EEvPfPK15HIP_vector_typeIfLj2EEiiiiS1_IjLj3EES5_S5_S5_,"axG",@progbits,_ZL33flash_attn_stream_k_fixup_generalILi512ELi1ELi16EEvPfPK15HIP_vector_typeIfLj2EEiiiiS1_IjLj3EES5_S5_S5_,comdat
.Lfunc_end8:
	.size	_ZL33flash_attn_stream_k_fixup_generalILi512ELi1ELi16EEvPfPK15HIP_vector_typeIfLj2EEiiiiS1_IjLj3EES5_S5_S5_, .Lfunc_end8-_ZL33flash_attn_stream_k_fixup_generalILi512ELi1ELi16EEvPfPK15HIP_vector_typeIfLj2EEiiiiS1_IjLj3EES5_S5_S5_
                                        ; -- End function
	.set _ZL33flash_attn_stream_k_fixup_generalILi512ELi1ELi16EEvPfPK15HIP_vector_typeIfLj2EEiiiiS1_IjLj3EES5_S5_S5_.num_vgpr, 9
	.set _ZL33flash_attn_stream_k_fixup_generalILi512ELi1ELi16EEvPfPK15HIP_vector_typeIfLj2EEiiiiS1_IjLj3EES5_S5_S5_.num_agpr, 0
	.set _ZL33flash_attn_stream_k_fixup_generalILi512ELi1ELi16EEvPfPK15HIP_vector_typeIfLj2EEiiiiS1_IjLj3EES5_S5_S5_.numbered_sgpr, 44
	.set _ZL33flash_attn_stream_k_fixup_generalILi512ELi1ELi16EEvPfPK15HIP_vector_typeIfLj2EEiiiiS1_IjLj3EES5_S5_S5_.num_named_barrier, 0
	.set _ZL33flash_attn_stream_k_fixup_generalILi512ELi1ELi16EEvPfPK15HIP_vector_typeIfLj2EEiiiiS1_IjLj3EES5_S5_S5_.private_seg_size, 0
	.set _ZL33flash_attn_stream_k_fixup_generalILi512ELi1ELi16EEvPfPK15HIP_vector_typeIfLj2EEiiiiS1_IjLj3EES5_S5_S5_.uses_vcc, 1
	.set _ZL33flash_attn_stream_k_fixup_generalILi512ELi1ELi16EEvPfPK15HIP_vector_typeIfLj2EEiiiiS1_IjLj3EES5_S5_S5_.uses_flat_scratch, 0
	.set _ZL33flash_attn_stream_k_fixup_generalILi512ELi1ELi16EEvPfPK15HIP_vector_typeIfLj2EEiiiiS1_IjLj3EES5_S5_S5_.has_dyn_sized_stack, 0
	.set _ZL33flash_attn_stream_k_fixup_generalILi512ELi1ELi16EEvPfPK15HIP_vector_typeIfLj2EEiiiiS1_IjLj3EES5_S5_S5_.has_recursion, 0
	.set _ZL33flash_attn_stream_k_fixup_generalILi512ELi1ELi16EEvPfPK15HIP_vector_typeIfLj2EEiiiiS1_IjLj3EES5_S5_S5_.has_indirect_call, 0
	.section	.AMDGPU.csdata,"",@progbits
; Kernel info:
; codeLenInByte = 3556
; TotalNumSgprs: 46
; NumVgprs: 9
; ScratchSize: 0
; MemoryBound: 0
; FloatMode: 240
; IeeeMode: 1
; LDSByteSize: 0 bytes/workgroup (compile time only)
; SGPRBlocks: 0
; VGPRBlocks: 1
; NumSGPRsForWavesPerEU: 46
; NumVGPRsForWavesPerEU: 9
; Occupancy: 16
; WaveLimiterHint : 0
; COMPUTE_PGM_RSRC2:SCRATCH_EN: 0
; COMPUTE_PGM_RSRC2:USER_SGPR: 2
; COMPUTE_PGM_RSRC2:TRAP_HANDLER: 0
; COMPUTE_PGM_RSRC2:TGID_X_EN: 1
; COMPUTE_PGM_RSRC2:TGID_Y_EN: 1
; COMPUTE_PGM_RSRC2:TGID_Z_EN: 1
; COMPUTE_PGM_RSRC2:TIDIG_COMP_CNT: 0
	.section	.text._ZL15flash_attn_tileILi576ELi512ELi8ELi4ELb0EEvPKcS1_S1_S1_S1_PKiPfP15HIP_vector_typeIfLj2EEffffjfiS5_IjLj3EEiiiiiiiiiiiliiliiiiil,"axG",@progbits,_ZL15flash_attn_tileILi576ELi512ELi8ELi4ELb0EEvPKcS1_S1_S1_S1_PKiPfP15HIP_vector_typeIfLj2EEffffjfiS5_IjLj3EEiiiiiiiiiiiliiliiiiil,comdat
	.globl	_ZL15flash_attn_tileILi576ELi512ELi8ELi4ELb0EEvPKcS1_S1_S1_S1_PKiPfP15HIP_vector_typeIfLj2EEffffjfiS5_IjLj3EEiiiiiiiiiiiliiliiiiil ; -- Begin function _ZL15flash_attn_tileILi576ELi512ELi8ELi4ELb0EEvPKcS1_S1_S1_S1_PKiPfP15HIP_vector_typeIfLj2EEffffjfiS5_IjLj3EEiiiiiiiiiiiliiliiiiil
	.p2align	8
	.type	_ZL15flash_attn_tileILi576ELi512ELi8ELi4ELb0EEvPKcS1_S1_S1_S1_PKiPfP15HIP_vector_typeIfLj2EEffffjfiS5_IjLj3EEiiiiiiiiiiiliiliiiiil,@function
_ZL15flash_attn_tileILi576ELi512ELi8ELi4ELb0EEvPKcS1_S1_S1_S1_PKiPfP15HIP_vector_typeIfLj2EEffffjfiS5_IjLj3EEiiiiiiiiiiiliiliiiiil: ; @_ZL15flash_attn_tileILi576ELi512ELi8ELi4ELb0EEvPKcS1_S1_S1_S1_PKiPfP15HIP_vector_typeIfLj2EEffffjfiS5_IjLj3EEiiiiiiiiiiiliiliiiiil
; %bb.0:
	s_clause 0x1
	s_load_b128 s[20:23], s[0:1], 0x5c
	s_load_b64 s[34:35], s[0:1], 0x80
	s_lshr_b32 s5, ttmp7, 16
	s_mov_b32 s39, 0
	s_mov_b64 s[36:37], 0
	s_wait_kmcnt 0x0
	s_ashr_i32 s2, s23, 31
	s_delay_alu instid0(SALU_CYCLE_1) | instskip(NEXT) | instid1(SALU_CYCLE_1)
	s_lshr_b32 s2, s2, 30
	s_add_co_i32 s2, s23, s2
	s_delay_alu instid0(SALU_CYCLE_1) | instskip(NEXT) | instid1(SALU_CYCLE_1)
	s_ashr_i32 s2, s2, 2
	s_cvt_f32_u32 s3, s2
	s_sub_co_i32 s4, 0, s2
	s_delay_alu instid0(SALU_CYCLE_2) | instskip(NEXT) | instid1(TRANS32_DEP_1)
	v_rcp_iflag_f32_e32 v1, s3
	v_readfirstlane_b32 s3, v1
	s_mul_f32 s3, s3, 0x4f7ffffe
	s_wait_alu 0xfffe
	s_delay_alu instid0(SALU_CYCLE_2) | instskip(SKIP_1) | instid1(SALU_CYCLE_2)
	s_cvt_u32_f32 s3, s3
	s_wait_alu 0xfffe
	s_mul_i32 s4, s4, s3
	s_delay_alu instid0(SALU_CYCLE_1) | instskip(NEXT) | instid1(SALU_CYCLE_1)
	s_mul_hi_u32 s4, s3, s4
	s_add_co_i32 s3, s3, s4
	s_wait_alu 0xfffe
	s_mul_hi_u32 s3, s5, s3
	s_wait_alu 0xfffe
	s_mul_i32 s4, s3, s2
	s_add_co_i32 s6, s3, 1
	s_sub_co_i32 s4, s5, s4
	s_delay_alu instid0(SALU_CYCLE_1)
	s_sub_co_i32 s7, s4, s2
	s_cmp_ge_u32 s4, s2
	s_cselect_b32 s3, s6, s3
	s_cselect_b32 s4, s7, s4
	s_wait_alu 0xfffe
	s_add_co_i32 s6, s3, 1
	s_cmp_ge_u32 s4, s2
	s_cselect_b32 s28, s6, s3
	s_abs_i32 s2, s35
	s_abs_i32 s7, s23
	s_wait_alu 0xfffe
	s_cvt_f32_u32 s3, s2
	s_sub_co_i32 s4, 0, s2
	s_lshl_b32 s5, s5, 2
	s_mul_i32 s6, s28, s23
	s_wait_alu 0xfffe
	v_rcp_iflag_f32_e32 v1, s3
	s_sub_co_i32 s30, s5, s6
	s_delay_alu instid0(TRANS32_DEP_1) | instskip(SKIP_2) | instid1(SALU_CYCLE_2)
	v_readfirstlane_b32 s3, v1
	s_mul_f32 s3, s3, 0x4f7ffffe
	s_wait_alu 0xfffe
	s_cvt_u32_f32 s3, s3
	s_wait_alu 0xfffe
	s_delay_alu instid0(SALU_CYCLE_2) | instskip(NEXT) | instid1(SALU_CYCLE_1)
	s_mul_i32 s4, s4, s3
	s_mul_hi_u32 s4, s3, s4
	s_delay_alu instid0(SALU_CYCLE_1)
	s_add_co_i32 s3, s3, s4
	s_xor_b32 s4, s23, s35
	s_wait_alu 0xfffe
	s_mul_hi_u32 s3, s7, s3
	s_ashr_i32 s24, s4, 31
	s_wait_alu 0xfffe
	s_mul_i32 s5, s3, s2
	s_delay_alu instid0(SALU_CYCLE_1)
	s_sub_co_i32 s4, s7, s5
	s_add_co_i32 s5, s3, 1
	s_sub_co_i32 s6, s4, s2
	s_cmp_ge_u32 s4, s2
	s_cselect_b32 s3, s5, s3
	s_cselect_b32 s4, s6, s4
	s_wait_alu 0xfffe
	s_add_co_i32 s5, s3, 1
	s_cmp_ge_u32 s4, s2
	s_cselect_b32 s2, s5, s3
	s_load_b512 s[4:19], s[0:1], 0x0
	s_xor_b32 s2, s2, s24
	s_wait_alu 0xfffe
	s_sub_co_i32 s29, s2, s24
	s_load_b64 s[2:3], s[0:1], 0xb8
	s_abs_i32 s31, s29
	s_delay_alu instid0(SALU_CYCLE_1) | instskip(NEXT) | instid1(SALU_CYCLE_3)
	s_cvt_f32_u32 s24, s31
	v_rcp_iflag_f32_e32 v1, s24
	s_wait_kmcnt 0x0
	s_cmp_eq_u64 s[10:11], 0
	s_delay_alu instid0(TRANS32_DEP_1)
	v_readfirstlane_b32 s27, v1
	s_cbranch_scc1 .LBB9_2
; %bb.1:
	s_abs_i32 s2, s2
	s_wait_alu 0xfffe
	s_cvt_f32_u32 s24, s2
	s_wait_alu 0xfffe
	s_delay_alu instid0(SALU_CYCLE_2) | instskip(NEXT) | instid1(TRANS32_DEP_1)
	v_rcp_iflag_f32_e32 v1, s24
	v_readfirstlane_b32 s24, v1
	s_mul_f32 s24, s24, 0x4f7ffffe
	s_wait_alu 0xfffe
	s_delay_alu instid0(SALU_CYCLE_2) | instskip(SKIP_2) | instid1(SALU_CYCLE_1)
	s_cvt_u32_f32 s26, s24
	s_sub_co_i32 s24, 0, s2
	s_wait_alu 0xfffe
	s_mul_i32 s24, s24, s26
	s_wait_alu 0xfffe
	s_mul_hi_u32 s33, s26, s24
	s_load_b64 s[24:25], s[0:1], 0xc8
	s_add_co_i32 s26, s26, s33
	s_delay_alu instid0(SALU_CYCLE_1) | instskip(NEXT) | instid1(SALU_CYCLE_1)
	s_mul_hi_u32 s26, s28, s26
	s_mul_i32 s26, s26, s2
	s_delay_alu instid0(SALU_CYCLE_1) | instskip(NEXT) | instid1(SALU_CYCLE_1)
	s_sub_co_i32 s26, s28, s26
	s_sub_co_i32 s33, s26, s2
	s_cmp_ge_u32 s26, s2
	s_cselect_b32 s26, s33, s26
	s_delay_alu instid0(SALU_CYCLE_1) | instskip(SKIP_2) | instid1(SALU_CYCLE_1)
	s_sub_co_i32 s33, s26, s2
	s_cmp_ge_u32 s26, s2
	s_cselect_b32 s36, s33, s26
	s_ashr_i32 s37, s36, 31
	s_wait_kmcnt 0x0
	s_mul_u64 s[24:25], s[24:25], s[36:37]
	s_wait_alu 0xfffe
	s_add_nc_u64 s[36:37], s[10:11], s[24:25]
.LBB9_2:
	v_bfe_u32 v9, v0, 10, 10
	s_load_b96 s[24:26], s[0:1], 0x70
	v_and_b32_e32 v17, 0x3ff, v0
	s_delay_alu instid0(VALU_DEP_2) | instskip(SKIP_1) | instid1(VALU_DEP_3)
	v_lshl_add_u32 v16, ttmp9, 3, v9
	v_mul_u32_u24_e32 v33, 0x1200, v9
	v_lshlrev_b32_e32 v32, 3, v17
	s_delay_alu instid0(VALU_DEP_3) | instskip(NEXT) | instid1(VALU_DEP_2)
	v_mul_hi_u32 v1, s20, v16
	v_mad_u32_u24 v15, 0x1200, v9, v32
	s_delay_alu instid0(VALU_DEP_2) | instskip(SKIP_3) | instid1(VALU_DEP_1)
	v_add_nc_u32_e32 v1, v16, v1
	s_wait_kmcnt 0x0
	s_ashr_i32 s11, s24, 31
	s_mov_b32 s10, s24
	v_lshrrev_b32_e32 v1, s21, v1
	s_lshr_b64 s[20:21], s[10:11], 2
	s_lshr_b32 s2, s11, 2
	s_mul_i32 s10, s28, s26
	s_delay_alu instid0(SALU_CYCLE_1) | instskip(SKIP_3) | instid1(VALU_DEP_1)
	s_ashr_i32 s11, s10, 31
	v_mul_lo_u32 v1, v1, s22
	s_add_nc_u64 s[4:5], s[4:5], s[10:11]
	s_load_b32 s10, s[0:1], 0x40
	v_sub_nc_u32_e32 v10, v16, v1
	s_delay_alu instid0(VALU_DEP_1)
	v_mad_co_u64_u32 v[1:2], null, s20, v10, 0
	s_mul_i32 s20, s30, s25
	s_wait_alu 0xfffe
	s_ashr_i32 s21, s20, 31
	s_wait_alu 0xfffe
	s_add_nc_u64 s[4:5], s[4:5], s[20:21]
	v_mad_co_u64_u32 v[2:3], null, s2, v10, v[2:3]
	s_delay_alu instid0(VALU_DEP_1) | instskip(SKIP_1) | instid1(VALU_DEP_2)
	v_lshlrev_b64_e32 v[0:1], 2, v[1:2]
	v_lshlrev_b32_e32 v2, 4, v17
	v_add_co_u32 v0, vcc_lo, s4, v0
	s_delay_alu instid0(VALU_DEP_1) | instskip(NEXT) | instid1(VALU_DEP_2)
	v_add_co_ci_u32_e64 v1, null, s5, v1, vcc_lo
	v_add_co_u32 v0, vcc_lo, v0, v2
	s_wait_alu 0xfffd
	s_delay_alu instid0(VALU_DEP_2)
	v_add_co_ci_u32_e64 v1, null, 0, v1, vcc_lo
	v_cmp_gt_u32_e32 vcc_lo, 16, v17
	s_clause 0x3
	global_load_b128 v[2:5], v[0:1], off
	global_load_b128 v[11:14], v[0:1], off offset:512
	global_load_b128 v[18:21], v[0:1], off offset:1024
	;; [unrolled: 1-line block ×3, first 2 shown]
	s_wait_loadcnt 0x3
	s_wait_kmcnt 0x0
	v_fma_mixlo_f16 v2, s10, v2, 0
	v_fma_mixlo_f16 v3, s10, v3, 0
	;; [unrolled: 1-line block ×4, first 2 shown]
	s_wait_loadcnt 0x2
	v_fma_mixlo_f16 v6, s10, v11, 0
	v_fma_mixlo_f16 v7, s10, v12, 0
	;; [unrolled: 1-line block ×4, first 2 shown]
	s_wait_loadcnt 0x1
	v_fma_mixlo_f16 v12, s10, v18, 0
	v_fma_mixlo_f16 v13, s10, v19, 0
	v_fma_mixlo_f16 v14, s10, v20, 0
	s_wait_loadcnt 0x0
	v_fma_mixlo_f16 v19, s10, v22, 0
	v_fma_mixlo_f16 v20, s10, v23, 0
	v_lshlrev_b32_e32 v3, 16, v3
	v_and_b32_e32 v2, 0xffff, v2
	v_lshlrev_b32_e32 v5, 16, v5
	v_and_b32_e32 v4, 0xffff, v4
	;; [unrolled: 2-line block ×3, first 2 shown]
	v_fma_mixlo_f16 v18, s10, v21, 0
	v_fma_mixlo_f16 v21, s10, v24, 0
	;; [unrolled: 1-line block ×3, first 2 shown]
	v_lshlrev_b32_e32 v11, 16, v11
	v_and_b32_e32 v8, 0xffff, v8
	v_lshlrev_b32_e32 v13, 16, v13
	v_and_b32_e32 v12, 0xffff, v12
	;; [unrolled: 2-line block ×3, first 2 shown]
	v_or_b32_e32 v2, v3, v2
	v_or3_b32 v3, v5, v4, 0
	v_or_b32_e32 v4, v7, v6
	v_lshlrev_b32_e32 v18, 16, v18
	v_and_b32_e32 v14, 0xffff, v14
	v_lshlrev_b32_e32 v22, 16, v22
	v_and_b32_e32 v21, 0xffff, v21
	v_or3_b32 v6, v11, v8, 0
	v_or_b32_e32 v7, v13, v12
	v_or_b32_e32 v11, v20, v19
	v_or3_b32 v2, 0, 0, v2
	v_or3_b32 v5, 0, 0, v4
	v_add_nc_u32_e32 v4, v32, v33
	v_or3_b32 v8, v18, v14, 0
	v_or3_b32 v12, v22, v21, 0
	v_or3_b32 v7, 0, 0, v7
	v_or3_b32 v11, 0, 0, v11
	ds_store_2addr_b64 v15, v[2:3], v[5:6] offset1:32
	ds_store_2addr_b64 v15, v[7:8], v[11:12] offset0:64 offset1:96
	s_and_saveexec_b32 s2, vcc_lo
	s_cbranch_execz .LBB9_4
; %bb.3:
	global_load_b128 v[5:8], v[0:1], off offset:2048
	s_wait_loadcnt 0x0
	v_fma_mixlo_f16 v2, s10, v6, 0
	v_fma_mixlo_f16 v3, s10, v5, 0
	;; [unrolled: 1-line block ×4, first 2 shown]
	s_delay_alu instid0(VALU_DEP_4) | instskip(NEXT) | instid1(VALU_DEP_4)
	v_lshlrev_b32_e32 v2, 16, v2
	v_and_b32_e32 v3, 0xffff, v3
	s_delay_alu instid0(VALU_DEP_4) | instskip(NEXT) | instid1(VALU_DEP_4)
	v_and_b32_e32 v5, 0xffff, v5
	v_lshlrev_b32_e32 v6, 16, v6
	s_delay_alu instid0(VALU_DEP_3) | instskip(NEXT) | instid1(VALU_DEP_2)
	v_or_b32_e32 v2, v2, v3
	v_or3_b32 v3, v6, v5, 0
	s_delay_alu instid0(VALU_DEP_2)
	v_or3_b32 v2, 0, 0, v2
	ds_store_b64 v4, v[2:3] offset:1024
.LBB9_4:
	s_wait_alu 0xfffe
	s_or_b32 exec_lo, exec_lo, s2
	s_and_b32 s2, s25, -4
	s_ashr_i32 s5, s25, 31
	s_wait_alu 0xfffe
	v_add_co_u32 v2, s2, v0, s2
	s_wait_alu 0xf1ff
	v_add_co_ci_u32_e64 v3, null, s5, v1, s2
	s_mov_b32 s4, s25
	s_clause 0x3
	global_load_b128 v[5:8], v[2:3], off
	global_load_b128 v[11:14], v[2:3], off offset:512
	global_load_b128 v[18:21], v[2:3], off offset:1024
	;; [unrolled: 1-line block ×3, first 2 shown]
	s_wait_alu 0xfffe
	s_lshr_b64 s[4:5], s[4:5], 2
	s_wait_loadcnt 0x3
	v_fma_mixlo_f16 v5, s10, v5, 0
	v_fma_mixlo_f16 v6, s10, v6, 0
	v_fma_mixlo_f16 v7, s10, v7, 0
	v_fma_mixlo_f16 v8, s10, v8, 0
	s_wait_loadcnt 0x2
	v_fma_mixlo_f16 v11, s10, v11, 0
	v_fma_mixlo_f16 v12, s10, v12, 0
	v_fma_mixlo_f16 v13, s10, v13, 0
	v_fma_mixlo_f16 v14, s10, v14, 0
	;; [unrolled: 5-line block ×3, first 2 shown]
	s_wait_loadcnt 0x0
	v_fma_mixlo_f16 v21, s10, v22, 0
	v_fma_mixlo_f16 v22, s10, v23, 0
	v_lshlrev_b32_e32 v6, 16, v6
	v_and_b32_e32 v5, 0xffff, v5
	v_lshlrev_b32_e32 v8, 16, v8
	v_and_b32_e32 v7, 0xffff, v7
	v_lshlrev_b32_e32 v12, 16, v12
	v_and_b32_e32 v11, 0xffff, v11
	v_fma_mixlo_f16 v23, s10, v24, 0
	v_fma_mixlo_f16 v24, s10, v25, 0
	v_lshlrev_b32_e32 v14, 16, v14
	v_and_b32_e32 v13, 0xffff, v13
	v_lshlrev_b32_e32 v18, 16, v18
	v_and_b32_e32 v15, 0xffff, v15
	;; [unrolled: 2-line block ×3, first 2 shown]
	v_or_b32_e32 v5, v6, v5
	v_or3_b32 v6, v8, v7, 0
	v_or_b32_e32 v7, v12, v11
	v_lshlrev_b32_e32 v20, 16, v20
	v_and_b32_e32 v19, 0xffff, v19
	v_lshlrev_b32_e32 v24, 16, v24
	v_and_b32_e32 v23, 0xffff, v23
	v_or3_b32 v8, v14, v13, 0
	v_or_b32_e32 v11, v18, v15
	v_or_b32_e32 v13, v22, v21
	v_or3_b32 v5, 0, 0, v5
	v_or3_b32 v7, 0, 0, v7
	;; [unrolled: 1-line block ×6, first 2 shown]
	ds_store_2addr_b64 v4, v[5:6], v[7:8] offset0:144 offset1:176
	ds_store_2addr_b64 v4, v[11:12], v[13:14] offset0:208 offset1:240
	s_and_saveexec_b32 s2, vcc_lo
	s_cbranch_execz .LBB9_6
; %bb.5:
	global_load_b128 v[5:8], v[2:3], off offset:2048
	s_wait_loadcnt 0x0
	v_fma_mixlo_f16 v2, s10, v6, 0
	v_fma_mixlo_f16 v3, s10, v5, 0
	;; [unrolled: 1-line block ×4, first 2 shown]
	s_delay_alu instid0(VALU_DEP_4) | instskip(NEXT) | instid1(VALU_DEP_4)
	v_lshlrev_b32_e32 v2, 16, v2
	v_and_b32_e32 v3, 0xffff, v3
	s_delay_alu instid0(VALU_DEP_4) | instskip(NEXT) | instid1(VALU_DEP_4)
	v_and_b32_e32 v5, 0xffff, v5
	v_lshlrev_b32_e32 v6, 16, v6
	s_delay_alu instid0(VALU_DEP_3) | instskip(NEXT) | instid1(VALU_DEP_2)
	v_or_b32_e32 v2, v2, v3
	v_or3_b32 v3, v6, v5, 0
	s_delay_alu instid0(VALU_DEP_2)
	v_or3_b32 v2, 0, 0, v2
	ds_store_b64 v4, v[2:3] offset:2176
.LBB9_6:
	s_wait_alu 0xfffe
	s_or_b32 exec_lo, exec_lo, s2
	s_lshl_b64 s[20:21], s[4:5], 3
	v_add_nc_u32_e32 v5, 0x800, v4
	s_wait_alu 0xfffe
	v_add_co_u32 v2, s2, v0, s20
	s_wait_alu 0xf1ff
	v_add_co_ci_u32_e64 v3, null, s21, v1, s2
	s_clause 0x3
	global_load_b128 v[11:14], v[2:3], off
	global_load_b128 v[18:21], v[2:3], off offset:512
	global_load_b128 v[22:25], v[2:3], off offset:1024
	;; [unrolled: 1-line block ×3, first 2 shown]
	s_wait_loadcnt 0x3
	v_fma_mixlo_f16 v6, s10, v11, 0
	v_fma_mixlo_f16 v7, s10, v12, 0
	v_fma_mixlo_f16 v8, s10, v13, 0
	v_fma_mixlo_f16 v11, s10, v14, 0
	s_wait_loadcnt 0x2
	v_fma_mixlo_f16 v12, s10, v18, 0
	v_fma_mixlo_f16 v13, s10, v19, 0
	;; [unrolled: 1-line block ×4, first 2 shown]
	s_wait_loadcnt 0x1
	v_fma_mixlo_f16 v18, s10, v22, 0
	v_fma_mixlo_f16 v19, s10, v23, 0
	s_wait_loadcnt 0x0
	v_fma_mixlo_f16 v22, s10, v26, 0
	v_fma_mixlo_f16 v23, s10, v27, 0
	v_lshlrev_b32_e32 v7, 16, v7
	v_and_b32_e32 v6, 0xffff, v6
	v_lshlrev_b32_e32 v11, 16, v11
	v_and_b32_e32 v8, 0xffff, v8
	;; [unrolled: 2-line block ×3, first 2 shown]
	v_fma_mixlo_f16 v20, s10, v24, 0
	v_fma_mixlo_f16 v21, s10, v25, 0
	;; [unrolled: 1-line block ×4, first 2 shown]
	v_lshlrev_b32_e32 v15, 16, v15
	v_and_b32_e32 v14, 0xffff, v14
	v_lshlrev_b32_e32 v19, 16, v19
	v_and_b32_e32 v18, 0xffff, v18
	;; [unrolled: 2-line block ×3, first 2 shown]
	v_or_b32_e32 v6, v7, v6
	v_or3_b32 v7, v11, v8, 0
	v_or_b32_e32 v8, v13, v12
	v_lshlrev_b32_e32 v21, 16, v21
	v_and_b32_e32 v20, 0xffff, v20
	v_lshlrev_b32_e32 v25, 16, v25
	v_and_b32_e32 v24, 0xffff, v24
	v_or3_b32 v12, v15, v14, 0
	v_or_b32_e32 v13, v19, v18
	v_or_b32_e32 v15, v23, v22
	v_or3_b32 v6, 0, 0, v6
	v_or3_b32 v11, 0, 0, v8
	;; [unrolled: 1-line block ×6, first 2 shown]
	ds_store_2addr_b64 v5, v[6:7], v[11:12] offset0:32 offset1:64
	ds_store_2addr_b64 v5, v[13:14], v[18:19] offset0:96 offset1:128
	s_and_saveexec_b32 s2, vcc_lo
	s_cbranch_execz .LBB9_8
; %bb.7:
	global_load_b128 v[11:14], v[2:3], off offset:2048
	s_wait_loadcnt 0x0
	v_fma_mixlo_f16 v2, s10, v12, 0
	v_fma_mixlo_f16 v3, s10, v11, 0
	;; [unrolled: 1-line block ×4, first 2 shown]
	s_delay_alu instid0(VALU_DEP_4) | instskip(NEXT) | instid1(VALU_DEP_4)
	v_lshlrev_b32_e32 v2, 16, v2
	v_and_b32_e32 v3, 0xffff, v3
	s_delay_alu instid0(VALU_DEP_4) | instskip(NEXT) | instid1(VALU_DEP_4)
	v_and_b32_e32 v6, 0xffff, v6
	v_lshlrev_b32_e32 v7, 16, v7
	s_delay_alu instid0(VALU_DEP_3) | instskip(NEXT) | instid1(VALU_DEP_2)
	v_or_b32_e32 v2, v2, v3
	v_or3_b32 v3, v7, v6, 0
	s_delay_alu instid0(VALU_DEP_2)
	v_or3_b32 v2, 0, 0, v2
	ds_store_b64 v4, v[2:3] offset:3328
.LBB9_8:
	s_wait_alu 0xfffe
	s_or_b32 exec_lo, exec_lo, s2
	v_mad_co_u64_u32 v[0:1], null, s4, 12, v[0:1]
	v_add_nc_u32_e32 v8, 0xc00, v4
	s_delay_alu instid0(VALU_DEP_2)
	v_mad_co_u64_u32 v[1:2], null, s5, 12, v[1:2]
	s_clause 0x3
	global_load_b128 v[11:14], v[0:1], off
	global_load_b128 v[18:21], v[0:1], off offset:512
	global_load_b128 v[22:25], v[0:1], off offset:1024
	;; [unrolled: 1-line block ×3, first 2 shown]
	s_wait_loadcnt 0x3
	v_fma_mixlo_f16 v2, s10, v11, 0
	v_fma_mixlo_f16 v3, s10, v12, 0
	;; [unrolled: 1-line block ×4, first 2 shown]
	s_wait_loadcnt 0x2
	v_fma_mixlo_f16 v11, s10, v18, 0
	v_fma_mixlo_f16 v12, s10, v19, 0
	v_fma_mixlo_f16 v13, s10, v20, 0
	v_fma_mixlo_f16 v14, s10, v21, 0
	s_wait_loadcnt 0x1
	v_fma_mixlo_f16 v15, s10, v22, 0
	v_fma_mixlo_f16 v18, s10, v23, 0
	s_wait_loadcnt 0x0
	v_fma_mixlo_f16 v21, s10, v26, 0
	v_fma_mixlo_f16 v22, s10, v27, 0
	v_lshlrev_b32_e32 v3, 16, v3
	v_and_b32_e32 v2, 0xffff, v2
	v_lshlrev_b32_e32 v7, 16, v7
	v_and_b32_e32 v6, 0xffff, v6
	;; [unrolled: 2-line block ×3, first 2 shown]
	v_fma_mixlo_f16 v19, s10, v24, 0
	v_fma_mixlo_f16 v20, s10, v25, 0
	v_fma_mixlo_f16 v23, s10, v28, 0
	v_fma_mixlo_f16 v24, s10, v29, 0
	v_lshlrev_b32_e32 v14, 16, v14
	v_and_b32_e32 v13, 0xffff, v13
	v_lshlrev_b32_e32 v18, 16, v18
	v_and_b32_e32 v15, 0xffff, v15
	;; [unrolled: 2-line block ×3, first 2 shown]
	v_or_b32_e32 v2, v3, v2
	v_or3_b32 v3, v7, v6, 0
	v_or_b32_e32 v6, v12, v11
	v_lshlrev_b32_e32 v20, 16, v20
	v_and_b32_e32 v19, 0xffff, v19
	v_lshlrev_b32_e32 v24, 16, v24
	v_and_b32_e32 v23, 0xffff, v23
	v_or3_b32 v7, v14, v13, 0
	v_or_b32_e32 v11, v18, v15
	v_or_b32_e32 v13, v22, v21
	v_or3_b32 v2, 0, 0, v2
	v_or3_b32 v6, 0, 0, v6
	;; [unrolled: 1-line block ×6, first 2 shown]
	ds_store_2addr_b64 v5, v[2:3], v[6:7] offset0:176 offset1:208
	ds_store_2addr_b64 v8, v[11:12], v[13:14] offset0:112 offset1:144
	s_and_saveexec_b32 s2, vcc_lo
	s_cbranch_execz .LBB9_10
; %bb.9:
	global_load_b128 v[0:3], v[0:1], off offset:2048
	s_wait_loadcnt 0x0
	v_fma_mixlo_f16 v1, s10, v1, 0
	v_fma_mixlo_f16 v0, s10, v0, 0
	v_fma_mixlo_f16 v2, s10, v2, 0
	v_fma_mixlo_f16 v3, s10, v3, 0
	s_delay_alu instid0(VALU_DEP_4) | instskip(NEXT) | instid1(VALU_DEP_4)
	v_lshlrev_b32_e32 v1, 16, v1
	v_and_b32_e32 v0, 0xffff, v0
	s_delay_alu instid0(VALU_DEP_4) | instskip(NEXT) | instid1(VALU_DEP_4)
	v_and_b32_e32 v2, 0xffff, v2
	v_lshlrev_b32_e32 v3, 16, v3
	s_delay_alu instid0(VALU_DEP_3) | instskip(NEXT) | instid1(VALU_DEP_2)
	v_or_b32_e32 v0, v1, v0
	v_or3_b32 v1, v3, v2, 0
	s_delay_alu instid0(VALU_DEP_2)
	v_or3_b32 v0, 0, 0, v0
	ds_store_b64 v4, v[0:1] offset:4480
.LBB9_10:
	s_wait_alu 0xfffe
	s_or_b32 exec_lo, exec_lo, s2
	s_cmp_eq_u64 s[14:15], 0
	s_wait_dscnt 0x0
	s_barrier_signal -1
	s_barrier_wait -1
	global_inv scope:SCOPE_SE
	s_cbranch_scc1 .LBB9_12
; %bb.11:
	s_load_b32 s2, s[0:1], 0xd0
	s_mov_b32 s5, 0
	s_wait_kmcnt 0x0
	s_mul_i32 s2, s2, s28
	s_wait_alu 0xfffe
	s_add_co_i32 s4, s2, ttmp9
	s_wait_alu 0xfffe
	s_lshl_b64 s[4:5], s[4:5], 2
	s_wait_alu 0xfffe
	s_add_nc_u64 s[4:5], s[14:15], s[4:5]
	s_load_b32 s34, s[4:5], 0x0
.LBB9_12:
	s_and_b32 s2, ttmp7, 0xffff
	v_lshlrev_b32_e32 v31, 2, v17
	v_mbcnt_lo_u32_b32 v34, -1, 0
	s_wait_alu 0xfffe
	s_lshl_b32 s4, s2, 7
	s_wait_kmcnt 0x0
	s_wait_alu 0xfffe
	s_cmp_lt_i32 s4, s34
	s_cbranch_scc1 .LBB9_15
; %bb.13:
	v_mbcnt_lo_u32_b32 v14, -1, 0
	v_mov_b32_e32 v13, 32
	s_delay_alu instid0(VALU_DEP_2)
	v_xor_b32_e32 v4, 16, v14
	v_xor_b32_e32 v5, 8, v14
	;; [unrolled: 1-line block ×5, first 2 shown]
	s_mov_b32 s11, 0
	s_cbranch_execz .LBB9_16
; %bb.14:
	v_dual_mov_b32 v70, 0 :: v_dual_mov_b32 v9, 0
	v_dual_mov_b32 v3, 0xfeffffff :: v_dual_mov_b32 v2, 0xfeffffff
	;; [unrolled: 1-line block ×20, first 2 shown]
	s_branch .LBB9_24
.LBB9_15:
                                        ; implicit-def: $vgpr14
                                        ; implicit-def: $vgpr13
                                        ; implicit-def: $vgpr4
                                        ; implicit-def: $vgpr5
                                        ; implicit-def: $vgpr6
                                        ; implicit-def: $vgpr7
                                        ; implicit-def: $vgpr8
	s_mov_b32 s11, 0
.LBB9_16:
	s_mul_f32 s5, s27, 0x4f7ffffe
	s_clause 0x1
	s_load_b128 s[24:27], s[0:1], 0x98
	s_load_b64 s[20:21], s[0:1], 0x8c
	s_sub_co_i32 s10, 0, s31
	s_abs_i32 s38, s30
	s_cvt_u32_f32 s5, s5
	s_mov_b32 s15, s39
	s_ashr_i32 s33, s30, 31
	s_ashr_i32 s35, s29, 31
	s_wait_alu 0xfffe
	s_mul_i32 s10, s10, s5
	s_ashr_i32 s3, s3, 1
	s_wait_alu 0xfffe
	s_mul_hi_u32 s10, s5, s10
	v_lshrrev_b32_e32 v0, 3, v17
	s_wait_alu 0xfffe
	s_add_co_i32 s14, s5, s10
	s_xor_b32 s5, s33, s35
	s_mul_u64 s[14:15], s[38:39], s[14:15]
	s_mov_b32 s29, s11
	s_mul_i32 s10, s15, s31
	s_add_co_i32 s33, s15, 1
	s_wait_alu 0xfffe
	s_sub_co_i32 s10, s38, s10
	v_lshl_add_u32 v1, v9, 2, v0
	s_wait_kmcnt 0x0
	s_ashr_i32 s14, s26, 2
	s_ashr_i32 s20, s20, 2
	s_wait_alu 0xfffe
	s_sub_co_i32 s26, s10, s31
	s_cmp_ge_u32 s10, s31
	v_dual_mov_b32 v83, 0xfeffffff :: v_dual_and_b32 v12, 28, v31
	s_cselect_b32 s15, s33, s15
	s_cselect_b32 s10, s26, s10
	s_add_co_i32 s26, s15, 1
	s_wait_alu 0xfffe
	s_cmp_ge_u32 s10, s31
	s_mul_u64 s[24:25], s[24:25], s[28:29]
	s_cselect_b32 s10, s26, s15
	v_mul_lo_u32 v0, s20, v1
	s_wait_alu 0xfffe
	s_xor_b32 s10, s10, s5
	s_add_nc_u64 s[6:7], s[6:7], s[24:25]
	s_wait_alu 0xfffe
	s_sub_co_i32 s5, s10, s5
	v_dual_mov_b32 v47, 0 :: v_dual_lshlrev_b32 v2, 2, v12
	s_wait_alu 0xfffe
	s_mul_i32 s24, s5, s21
	s_load_b64 s[40:41], s[0:1], 0xa8
	s_ashr_i32 s25, s24, 31
	v_mad_u32_u24 v7, 0x90, v1, v2
	s_wait_alu 0xfffe
	s_add_nc_u64 s[6:7], s[6:7], s[24:25]
	s_mul_i32 s24, s5, s27
	s_lshl_b32 s5, s20, 5
	v_mul_lo_u32 v8, s14, v9
	s_wait_alu 0xfffe
	v_dual_mov_b32 v51, 0 :: v_dual_add_nc_u32 v2, s5, v0
	v_dual_mov_b32 v48, 0 :: v_dual_lshlrev_b32 v11, 10, v9
	v_mad_co_u64_u32 v[18:19], null, v10, s3, v[17:18]
	s_delay_alu instid0(VALU_DEP_3) | instskip(SKIP_2) | instid1(VALU_DEP_3)
	v_dual_mov_b32 v49, 0 :: v_dual_add_nc_u32 v4, s5, v2
	v_lshl_add_u32 v10, s14, 3, v8
	v_dual_mov_b32 v46, 0 :: v_dual_add_nc_u32 v35, 0x9000, v7
	v_dual_mov_b32 v55, 0 :: v_dual_add_nc_u32 v6, s5, v4
	v_ashrrev_i32_e32 v1, 31, v0
	v_dual_mov_b32 v53, 0 :: v_dual_add_nc_u32 v36, 0xa200, v7
	v_ashrrev_i32_e32 v3, 31, v2
	;; [unrolled: 2-line block ×4, first 2 shown]
	v_lshl_add_u32 v13, v31, 2, v11
	v_dual_mov_b32 v57, 0 :: v_dual_add_nc_u32 v40, 0xd800, v11
	v_ashrrev_i32_e32 v9, 31, v8
	v_ashrrev_i32_e32 v11, 31, v10
	s_mov_b32 s10, 0x9000
	s_wait_kmcnt 0x0
	s_mul_u64 s[38:39], s[40:41], s[28:29]
	v_lshlrev_b64_e32 v[19:20], 2, v[0:1]
	v_lshlrev_b64_e32 v[21:22], 2, v[2:3]
	;; [unrolled: 1-line block ×6, first 2 shown]
	s_wait_alu 0xfffe
	v_mad_u32_u24 v39, 0x90, v17, s10
	v_dual_mov_b32 v52, 0 :: v_dual_add_nc_u32 v41, 0x9000, v13
	v_dual_mov_b32 v61, 0 :: v_dual_add_nc_u32 v42, 0x9200, v13
	;; [unrolled: 1-line block ×4, first 2 shown]
	v_dual_mov_b32 v60, 0 :: v_dual_lshlrev_b32 v45, 2, v12
	v_dual_mov_b32 v58, 0 :: v_dual_mov_b32 v67, 0
	v_dual_mov_b32 v54, 0 :: v_dual_mov_b32 v65, 0
	v_dual_mov_b32 v64, 0 :: v_dual_mov_b32 v69, 0
	v_dual_mov_b32 v68, 0 :: v_dual_mov_b32 v71, 0
	v_dual_mov_b32 v66, 0 :: v_dual_mov_b32 v73, 0
	v_dual_mov_b32 v62, 0 :: v_dual_mov_b32 v77, 0
	v_dual_mov_b32 v72, 0 :: v_dual_mov_b32 v75, 0
	v_dual_mov_b32 v74, 0 :: v_dual_mov_b32 v85, 0xfeffffff
	v_dual_mov_b32 v76, 0 :: v_dual_mov_b32 v81, 0
	v_dual_mov_b32 v70, 0 :: v_dual_mov_b32 v79, 0
	v_mov_b32_e32 v86, 0xfeffffff
	v_mov_b32_e32 v84, 0xfeffffff
	;; [unrolled: 1-line block ×4, first 2 shown]
	s_add_nc_u64 s[8:9], s[8:9], s[38:39]
	s_ashr_i32 s25, s24, 31
	s_ashr_i32 s21, s20, 31
	s_wait_alu 0xfffe
	s_add_nc_u64 s[8:9], s[8:9], s[24:25]
	s_ashr_i32 s15, s14, 31
	s_add_nc_u64 s[24:25], s[0:1], 0xd0
.LBB9_17:                               ; =>This Loop Header: Depth=1
                                        ;     Child Loop BB9_19 Depth 2
	s_ashr_i32 s5, s4, 31
	v_dual_mov_b32 v93, 0 :: v_dual_mov_b32 v90, 0
	s_wait_alu 0xfffe
	s_mul_u64 s[26:27], s[4:5], s[20:21]
	v_dual_mov_b32 v88, 0 :: v_dual_mov_b32 v87, 0
	v_dual_mov_b32 v97, 0 :: v_dual_mov_b32 v94, 0
	;; [unrolled: 1-line block ×7, first 2 shown]
	s_wait_alu 0xfffe
	s_lshl_b64 s[26:27], s[26:27], 2
	s_mov_b32 s3, s11
	s_wait_alu 0xfffe
	s_add_nc_u64 s[26:27], s[6:7], s[26:27]
	s_branch .LBB9_19
.LBB9_18:                               ;   in Loop: Header=BB9_19 Depth=2
	s_wait_alu 0xfffe
	s_and_not1_b32 vcc_lo, exec_lo, s10
	s_wait_alu 0xfffe
	s_cbranch_vccz .LBB9_21
.LBB9_19:                               ;   Parent Loop BB9_17 Depth=1
                                        ; =>  This Inner Loop Header: Depth=2
	s_wait_alu 0xfffe
	s_lshr_b32 s10, s3, 1
	v_lshl_add_u32 v78, s3, 1, v33
	s_wait_alu 0xfffe
	s_lshl_b64 s[38:39], s[10:11], 2
	s_add_co_i32 s29, s3, 64
	s_wait_alu 0xfffe
	s_add_nc_u64 s[38:39], s[26:27], s[38:39]
	s_lshr_b32 s10, s29, 1
	s_wait_alu 0xfffe
	v_add_co_u32 v0, vcc_lo, s38, v19
	s_wait_alu 0xfffd
	v_add_co_ci_u32_e64 v1, null, s39, v20, vcc_lo
	v_add_co_u32 v2, vcc_lo, s38, v21
	s_wait_alu 0xfffd
	v_add_co_ci_u32_e64 v3, null, s39, v22, vcc_lo
	;; [unrolled: 3-line block ×8, first 2 shown]
	s_clause 0x3
	global_load_b128 v[0:3], v[0:1], off
	global_load_b128 v[4:7], v[4:5], off
	;; [unrolled: 1-line block ×4, first 2 shown]
	s_lshl_b64 s[38:39], s[10:11], 2
	s_wait_loadcnt 0x3
	ds_store_b128 v35, v[0:3]
	s_wait_loadcnt 0x2
	ds_store_b128 v36, v[4:7]
	;; [unrolled: 2-line block ×4, first 2 shown]
	s_wait_dscnt 0x0
	s_barrier_signal -1
	s_barrier_wait -1
	global_inv scope:SCOPE_SE
	ds_load_b128 v[0:3], v39
	ds_load_b128 v[4:7], v78
	ds_load_b128 v[8:11], v78 offset:1152
	ds_load_b128 v[12:15], v78 offset:2304
	;; [unrolled: 1-line block ×6, first 2 shown]
	s_wait_dscnt 0x6
	;;#ASMSTART
	v_dot2_f32_f16 v93, v0, v4, v93
	;;#ASMEND
	;;#ASMSTART
	v_dot2_f32_f16 v93, v1, v5, v93
	;;#ASMEND
	;;#ASMSTART
	v_dot2_f32_f16 v93, v2, v6, v93
	;;#ASMEND
	;;#ASMSTART
	v_dot2_f32_f16 v93, v3, v7, v93
	;;#ASMEND
	s_wait_dscnt 0x5
	;;#ASMSTART
	v_dot2_f32_f16 v90, v0, v8, v90
	;;#ASMEND
	;;#ASMSTART
	v_dot2_f32_f16 v90, v1, v9, v90
	;;#ASMEND
	;;#ASMSTART
	v_dot2_f32_f16 v90, v2, v10, v90
	;;#ASMEND
	;;#ASMSTART
	v_dot2_f32_f16 v90, v3, v11, v90
	;;#ASMEND
	;; [unrolled: 13-line block ×5, first 2 shown]
	;;#ASMSTART
	v_dot2_f32_f16 v94, v107, v8, v94
	;;#ASMEND
	;;#ASMSTART
	v_dot2_f32_f16 v94, v108, v9, v94
	;;#ASMEND
	;; [unrolled: 3-line block ×12, first 2 shown]
	s_wait_dscnt 0x1
	;;#ASMSTART
	v_dot2_f32_f16 v100, v111, v4, v100
	;;#ASMEND
	;;#ASMSTART
	v_dot2_f32_f16 v100, v112, v5, v100
	;;#ASMEND
	;; [unrolled: 3-line block ×16, first 2 shown]
	s_wait_dscnt 0x0
	;;#ASMSTART
	v_dot2_f32_f16 v102, v115, v4, v102
	;;#ASMEND
	;;#ASMSTART
	v_dot2_f32_f16 v102, v116, v5, v102
	;;#ASMEND
	;; [unrolled: 3-line block ×16, first 2 shown]
	ds_load_b128 v[0:3], v39 offset:16
	ds_load_b128 v[4:7], v78 offset:16
	;; [unrolled: 1-line block ×8, first 2 shown]
	s_wait_dscnt 0x6
	;;#ASMSTART
	v_dot2_f32_f16 v93, v0, v4, v93
	;;#ASMEND
	;;#ASMSTART
	v_dot2_f32_f16 v93, v1, v5, v93
	;;#ASMEND
	;;#ASMSTART
	v_dot2_f32_f16 v93, v2, v6, v93
	;;#ASMEND
	;;#ASMSTART
	v_dot2_f32_f16 v93, v3, v7, v93
	;;#ASMEND
	s_wait_dscnt 0x5
	;;#ASMSTART
	v_dot2_f32_f16 v90, v0, v8, v90
	;;#ASMEND
	;;#ASMSTART
	v_dot2_f32_f16 v90, v1, v9, v90
	;;#ASMEND
	;;#ASMSTART
	v_dot2_f32_f16 v90, v2, v10, v90
	;;#ASMEND
	;;#ASMSTART
	v_dot2_f32_f16 v90, v3, v11, v90
	;;#ASMEND
	;; [unrolled: 13-line block ×5, first 2 shown]
	;;#ASMSTART
	v_dot2_f32_f16 v94, v107, v8, v94
	;;#ASMEND
	;;#ASMSTART
	v_dot2_f32_f16 v94, v108, v9, v94
	;;#ASMEND
	;; [unrolled: 3-line block ×12, first 2 shown]
	s_wait_dscnt 0x1
	;;#ASMSTART
	v_dot2_f32_f16 v100, v111, v4, v100
	;;#ASMEND
	;;#ASMSTART
	v_dot2_f32_f16 v100, v112, v5, v100
	;;#ASMEND
	;; [unrolled: 3-line block ×16, first 2 shown]
	s_wait_dscnt 0x0
	;;#ASMSTART
	v_dot2_f32_f16 v102, v115, v4, v102
	;;#ASMEND
	;;#ASMSTART
	v_dot2_f32_f16 v102, v116, v5, v102
	;;#ASMEND
	;; [unrolled: 3-line block ×16, first 2 shown]
	ds_load_b128 v[0:3], v39 offset:32
	ds_load_b128 v[4:7], v78 offset:32
	;; [unrolled: 1-line block ×8, first 2 shown]
	s_wait_dscnt 0x6
	;;#ASMSTART
	v_dot2_f32_f16 v93, v0, v4, v93
	;;#ASMEND
	;;#ASMSTART
	v_dot2_f32_f16 v93, v1, v5, v93
	;;#ASMEND
	;;#ASMSTART
	v_dot2_f32_f16 v93, v2, v6, v93
	;;#ASMEND
	;;#ASMSTART
	v_dot2_f32_f16 v93, v3, v7, v93
	;;#ASMEND
	s_wait_dscnt 0x5
	;;#ASMSTART
	v_dot2_f32_f16 v90, v0, v8, v90
	;;#ASMEND
	;;#ASMSTART
	v_dot2_f32_f16 v90, v1, v9, v90
	;;#ASMEND
	;;#ASMSTART
	v_dot2_f32_f16 v90, v2, v10, v90
	;;#ASMEND
	;;#ASMSTART
	v_dot2_f32_f16 v90, v3, v11, v90
	;;#ASMEND
	;; [unrolled: 13-line block ×5, first 2 shown]
	;;#ASMSTART
	v_dot2_f32_f16 v94, v107, v8, v94
	;;#ASMEND
	;;#ASMSTART
	v_dot2_f32_f16 v94, v108, v9, v94
	;;#ASMEND
	;; [unrolled: 3-line block ×12, first 2 shown]
	s_wait_dscnt 0x1
	;;#ASMSTART
	v_dot2_f32_f16 v100, v111, v4, v100
	;;#ASMEND
	;;#ASMSTART
	v_dot2_f32_f16 v100, v112, v5, v100
	;;#ASMEND
	;; [unrolled: 3-line block ×16, first 2 shown]
	s_wait_dscnt 0x0
	;;#ASMSTART
	v_dot2_f32_f16 v102, v115, v4, v102
	;;#ASMEND
	;;#ASMSTART
	v_dot2_f32_f16 v102, v116, v5, v102
	;;#ASMEND
	;; [unrolled: 3-line block ×16, first 2 shown]
	ds_load_b128 v[0:3], v39 offset:48
	ds_load_b128 v[4:7], v78 offset:48
	ds_load_b128 v[8:11], v78 offset:1200
	ds_load_b128 v[12:15], v78 offset:2352
	ds_load_b128 v[103:106], v78 offset:3504
	ds_load_b128 v[107:110], v39 offset:4656
	ds_load_b128 v[111:114], v39 offset:9264
	ds_load_b128 v[115:118], v39 offset:13872
	s_wait_dscnt 0x6
	;;#ASMSTART
	v_dot2_f32_f16 v93, v0, v4, v93
	;;#ASMEND
	;;#ASMSTART
	v_dot2_f32_f16 v93, v1, v5, v93
	;;#ASMEND
	;;#ASMSTART
	v_dot2_f32_f16 v93, v2, v6, v93
	;;#ASMEND
	;;#ASMSTART
	v_dot2_f32_f16 v93, v3, v7, v93
	;;#ASMEND
	s_wait_dscnt 0x5
	;;#ASMSTART
	v_dot2_f32_f16 v90, v0, v8, v90
	;;#ASMEND
	;;#ASMSTART
	v_dot2_f32_f16 v90, v1, v9, v90
	;;#ASMEND
	;;#ASMSTART
	v_dot2_f32_f16 v90, v2, v10, v90
	;;#ASMEND
	;;#ASMSTART
	v_dot2_f32_f16 v90, v3, v11, v90
	;;#ASMEND
	;; [unrolled: 13-line block ×5, first 2 shown]
	;;#ASMSTART
	v_dot2_f32_f16 v94, v107, v8, v94
	;;#ASMEND
	;;#ASMSTART
	v_dot2_f32_f16 v94, v108, v9, v94
	;;#ASMEND
	;; [unrolled: 3-line block ×12, first 2 shown]
	s_wait_dscnt 0x1
	;;#ASMSTART
	v_dot2_f32_f16 v100, v111, v4, v100
	;;#ASMEND
	;;#ASMSTART
	v_dot2_f32_f16 v100, v112, v5, v100
	;;#ASMEND
	;; [unrolled: 3-line block ×16, first 2 shown]
	s_wait_dscnt 0x0
	;;#ASMSTART
	v_dot2_f32_f16 v102, v115, v4, v102
	;;#ASMEND
	;;#ASMSTART
	v_dot2_f32_f16 v102, v116, v5, v102
	;;#ASMEND
	;; [unrolled: 3-line block ×16, first 2 shown]
	ds_load_b128 v[0:3], v39 offset:64
	ds_load_b128 v[4:7], v78 offset:64
	;; [unrolled: 1-line block ×8, first 2 shown]
	s_wait_dscnt 0x6
	;;#ASMSTART
	v_dot2_f32_f16 v93, v0, v4, v93
	;;#ASMEND
	;;#ASMSTART
	v_dot2_f32_f16 v93, v1, v5, v93
	;;#ASMEND
	;;#ASMSTART
	v_dot2_f32_f16 v93, v2, v6, v93
	;;#ASMEND
	;;#ASMSTART
	v_dot2_f32_f16 v93, v3, v7, v93
	;;#ASMEND
	s_wait_dscnt 0x5
	;;#ASMSTART
	v_dot2_f32_f16 v90, v0, v8, v90
	;;#ASMEND
	;;#ASMSTART
	v_dot2_f32_f16 v90, v1, v9, v90
	;;#ASMEND
	;;#ASMSTART
	v_dot2_f32_f16 v90, v2, v10, v90
	;;#ASMEND
	;;#ASMSTART
	v_dot2_f32_f16 v90, v3, v11, v90
	;;#ASMEND
	;; [unrolled: 13-line block ×5, first 2 shown]
	;;#ASMSTART
	v_dot2_f32_f16 v94, v107, v8, v94
	;;#ASMEND
	;;#ASMSTART
	v_dot2_f32_f16 v94, v108, v9, v94
	;;#ASMEND
	;; [unrolled: 3-line block ×12, first 2 shown]
	s_wait_dscnt 0x1
	;;#ASMSTART
	v_dot2_f32_f16 v100, v111, v4, v100
	;;#ASMEND
	;;#ASMSTART
	v_dot2_f32_f16 v100, v112, v5, v100
	;;#ASMEND
	;; [unrolled: 3-line block ×16, first 2 shown]
	s_wait_dscnt 0x0
	;;#ASMSTART
	v_dot2_f32_f16 v102, v115, v4, v102
	;;#ASMEND
	;;#ASMSTART
	v_dot2_f32_f16 v102, v116, v5, v102
	;;#ASMEND
	;; [unrolled: 3-line block ×16, first 2 shown]
	ds_load_b128 v[12:15], v39 offset:80
	ds_load_b128 v[0:3], v78 offset:80
	;; [unrolled: 1-line block ×8, first 2 shown]
	s_wait_dscnt 0x6
	;;#ASMSTART
	v_dot2_f32_f16 v93, v12, v0, v93
	;;#ASMEND
	;;#ASMSTART
	v_dot2_f32_f16 v93, v13, v1, v93
	;;#ASMEND
	;;#ASMSTART
	v_dot2_f32_f16 v93, v14, v2, v93
	;;#ASMEND
	;;#ASMSTART
	v_dot2_f32_f16 v93, v15, v3, v93
	;;#ASMEND
	s_wait_dscnt 0x5
	;;#ASMSTART
	v_dot2_f32_f16 v90, v12, v4, v90
	;;#ASMEND
	;;#ASMSTART
	v_dot2_f32_f16 v90, v13, v5, v90
	;;#ASMEND
	;;#ASMSTART
	v_dot2_f32_f16 v90, v14, v6, v90
	;;#ASMEND
	;;#ASMSTART
	v_dot2_f32_f16 v90, v15, v7, v90
	;;#ASMEND
	;; [unrolled: 13-line block ×5, first 2 shown]
	;;#ASMSTART
	v_dot2_f32_f16 v94, v107, v4, v94
	;;#ASMEND
	;;#ASMSTART
	v_dot2_f32_f16 v94, v108, v5, v94
	;;#ASMEND
	;; [unrolled: 3-line block ×12, first 2 shown]
	s_wait_dscnt 0x1
	;;#ASMSTART
	v_dot2_f32_f16 v100, v111, v0, v100
	;;#ASMEND
	;;#ASMSTART
	v_dot2_f32_f16 v100, v112, v1, v100
	;;#ASMEND
	;; [unrolled: 3-line block ×16, first 2 shown]
	s_wait_dscnt 0x0
	;;#ASMSTART
	v_dot2_f32_f16 v102, v115, v0, v102
	;;#ASMEND
	;;#ASMSTART
	v_dot2_f32_f16 v102, v116, v1, v102
	;;#ASMEND
	;;#ASMSTART
	v_dot2_f32_f16 v102, v117, v2, v102
	;;#ASMEND
	;;#ASMSTART
	v_dot2_f32_f16 v102, v118, v3, v102
	;;#ASMEND
	;;#ASMSTART
	v_dot2_f32_f16 v101, v115, v4, v101
	;;#ASMEND
	;;#ASMSTART
	v_dot2_f32_f16 v101, v116, v5, v101
	;;#ASMEND
	;;#ASMSTART
	v_dot2_f32_f16 v101, v117, v6, v101
	;;#ASMEND
	;;#ASMSTART
	v_dot2_f32_f16 v101, v118, v7, v101
	;;#ASMEND
	;;#ASMSTART
	v_dot2_f32_f16 v99, v115, v8, v99
	;;#ASMEND
	;;#ASMSTART
	v_dot2_f32_f16 v99, v116, v9, v99
	;;#ASMEND
	;;#ASMSTART
	v_dot2_f32_f16 v99, v117, v10, v99
	;;#ASMEND
	;;#ASMSTART
	v_dot2_f32_f16 v99, v118, v11, v99
	;;#ASMEND
	;;#ASMSTART
	v_dot2_f32_f16 v96, v115, v103, v96
	;;#ASMEND
	;;#ASMSTART
	v_dot2_f32_f16 v96, v116, v104, v96
	;;#ASMEND
	;;#ASMSTART
	v_dot2_f32_f16 v96, v117, v105, v96
	;;#ASMEND
	;;#ASMSTART
	v_dot2_f32_f16 v96, v118, v106, v96
	;;#ASMEND
	ds_load_b128 v[0:3], v39 offset:96
	ds_load_b128 v[4:7], v78 offset:96
	;; [unrolled: 1-line block ×8, first 2 shown]
	s_wait_dscnt 0x6
	;;#ASMSTART
	v_dot2_f32_f16 v93, v0, v4, v93
	;;#ASMEND
	;;#ASMSTART
	v_dot2_f32_f16 v93, v1, v5, v93
	;;#ASMEND
	;;#ASMSTART
	v_dot2_f32_f16 v93, v2, v6, v93
	;;#ASMEND
	;;#ASMSTART
	v_dot2_f32_f16 v93, v3, v7, v93
	;;#ASMEND
	s_wait_dscnt 0x5
	;;#ASMSTART
	v_dot2_f32_f16 v90, v0, v8, v90
	;;#ASMEND
	;;#ASMSTART
	v_dot2_f32_f16 v90, v1, v9, v90
	;;#ASMEND
	;;#ASMSTART
	v_dot2_f32_f16 v90, v2, v10, v90
	;;#ASMEND
	;;#ASMSTART
	v_dot2_f32_f16 v90, v3, v11, v90
	;;#ASMEND
	;; [unrolled: 13-line block ×5, first 2 shown]
	;;#ASMSTART
	v_dot2_f32_f16 v94, v107, v8, v94
	;;#ASMEND
	;;#ASMSTART
	v_dot2_f32_f16 v94, v108, v9, v94
	;;#ASMEND
	;;#ASMSTART
	v_dot2_f32_f16 v94, v109, v10, v94
	;;#ASMEND
	;;#ASMSTART
	v_dot2_f32_f16 v94, v110, v11, v94
	;;#ASMEND
	;;#ASMSTART
	v_dot2_f32_f16 v91, v107, v12, v91
	;;#ASMEND
	;;#ASMSTART
	v_dot2_f32_f16 v91, v108, v13, v91
	;;#ASMEND
	;;#ASMSTART
	v_dot2_f32_f16 v91, v109, v14, v91
	;;#ASMEND
	;;#ASMSTART
	v_dot2_f32_f16 v91, v110, v15, v91
	;;#ASMEND
	;;#ASMSTART
	v_dot2_f32_f16 v89, v107, v103, v89
	;;#ASMEND
	;;#ASMSTART
	v_dot2_f32_f16 v89, v108, v104, v89
	;;#ASMEND
	;;#ASMSTART
	v_dot2_f32_f16 v89, v109, v105, v89
	;;#ASMEND
	;;#ASMSTART
	v_dot2_f32_f16 v89, v110, v106, v89
	;;#ASMEND
	s_wait_dscnt 0x1
	;;#ASMSTART
	v_dot2_f32_f16 v100, v111, v4, v100
	;;#ASMEND
	;;#ASMSTART
	v_dot2_f32_f16 v100, v112, v5, v100
	;;#ASMEND
	;;#ASMSTART
	v_dot2_f32_f16 v100, v113, v6, v100
	;;#ASMEND
	;;#ASMSTART
	v_dot2_f32_f16 v100, v114, v7, v100
	;;#ASMEND
	;;#ASMSTART
	v_dot2_f32_f16 v98, v111, v8, v98
	;;#ASMEND
	;;#ASMSTART
	v_dot2_f32_f16 v98, v112, v9, v98
	;;#ASMEND
	;;#ASMSTART
	v_dot2_f32_f16 v98, v113, v10, v98
	;;#ASMEND
	;;#ASMSTART
	v_dot2_f32_f16 v98, v114, v11, v98
	;;#ASMEND
	;;#ASMSTART
	v_dot2_f32_f16 v95, v111, v12, v95
	;;#ASMEND
	;;#ASMSTART
	v_dot2_f32_f16 v95, v112, v13, v95
	;;#ASMEND
	;;#ASMSTART
	v_dot2_f32_f16 v95, v113, v14, v95
	;;#ASMEND
	;;#ASMSTART
	v_dot2_f32_f16 v95, v114, v15, v95
	;;#ASMEND
	;;#ASMSTART
	v_dot2_f32_f16 v92, v111, v103, v92
	;;#ASMEND
	;;#ASMSTART
	v_dot2_f32_f16 v92, v112, v104, v92
	;;#ASMEND
	;;#ASMSTART
	v_dot2_f32_f16 v92, v113, v105, v92
	;;#ASMEND
	;;#ASMSTART
	v_dot2_f32_f16 v92, v114, v106, v92
	;;#ASMEND
	s_wait_dscnt 0x0
	;;#ASMSTART
	v_dot2_f32_f16 v102, v115, v4, v102
	;;#ASMEND
	;;#ASMSTART
	v_dot2_f32_f16 v102, v116, v5, v102
	;;#ASMEND
	;; [unrolled: 3-line block ×16, first 2 shown]
	ds_load_b128 v[0:3], v39 offset:112
	ds_load_b128 v[4:7], v78 offset:112
	;; [unrolled: 1-line block ×8, first 2 shown]
	s_wait_dscnt 0x6
	;;#ASMSTART
	v_dot2_f32_f16 v93, v0, v4, v93
	;;#ASMEND
	;;#ASMSTART
	v_dot2_f32_f16 v93, v1, v5, v93
	;;#ASMEND
	;;#ASMSTART
	v_dot2_f32_f16 v93, v2, v6, v93
	;;#ASMEND
	;;#ASMSTART
	v_dot2_f32_f16 v93, v3, v7, v93
	;;#ASMEND
	s_wait_dscnt 0x5
	;;#ASMSTART
	v_dot2_f32_f16 v90, v0, v8, v90
	;;#ASMEND
	;;#ASMSTART
	v_dot2_f32_f16 v90, v1, v9, v90
	;;#ASMEND
	;;#ASMSTART
	v_dot2_f32_f16 v90, v2, v10, v90
	;;#ASMEND
	;;#ASMSTART
	v_dot2_f32_f16 v90, v3, v11, v90
	;;#ASMEND
	;; [unrolled: 13-line block ×5, first 2 shown]
	;;#ASMSTART
	v_dot2_f32_f16 v94, v107, v8, v94
	;;#ASMEND
	;;#ASMSTART
	v_dot2_f32_f16 v94, v108, v9, v94
	;;#ASMEND
	;; [unrolled: 3-line block ×12, first 2 shown]
	s_wait_dscnt 0x1
	;;#ASMSTART
	v_dot2_f32_f16 v100, v111, v4, v100
	;;#ASMEND
	;;#ASMSTART
	v_dot2_f32_f16 v100, v112, v5, v100
	;;#ASMEND
	;; [unrolled: 3-line block ×5, first 2 shown]
	s_wait_alu 0xfffe
	s_add_nc_u64 s[38:39], s[26:27], s[38:39]
	;;#ASMSTART
	v_dot2_f32_f16 v98, v112, v9, v98
	;;#ASMEND
	;;#ASMSTART
	v_dot2_f32_f16 v98, v113, v10, v98
	;;#ASMEND
	s_wait_alu 0xfffe
	v_add_co_u32 v119, vcc_lo, s38, v19
	;;#ASMSTART
	v_dot2_f32_f16 v98, v114, v11, v98
	;;#ASMEND
	;;#ASMSTART
	v_dot2_f32_f16 v95, v111, v12, v95
	;;#ASMEND
	;; [unrolled: 3-line block ×3, first 2 shown]
	s_wait_alu 0xfffd
	v_add_co_ci_u32_e64 v120, null, s39, v20, vcc_lo
	v_add_co_u32 v121, vcc_lo, s38, v21
	;;#ASMSTART
	v_dot2_f32_f16 v95, v113, v14, v95
	;;#ASMEND
	;;#ASMSTART
	v_dot2_f32_f16 v95, v114, v15, v95
	;;#ASMEND
	;; [unrolled: 3-line block ×3, first 2 shown]
	s_wait_alu 0xfffd
	v_add_co_ci_u32_e64 v122, null, s39, v22, vcc_lo
	v_add_co_u32 v123, vcc_lo, s38, v23
	;;#ASMSTART
	v_dot2_f32_f16 v92, v112, v104, v92
	;;#ASMEND
	;;#ASMSTART
	v_dot2_f32_f16 v92, v113, v105, v92
	;;#ASMEND
	s_wait_alu 0xfffd
	v_add_co_ci_u32_e64 v124, null, s39, v24, vcc_lo
	v_add_co_u32 v125, vcc_lo, s38, v25
	;;#ASMSTART
	v_dot2_f32_f16 v92, v114, v106, v92
	;;#ASMEND
	s_wait_dscnt 0x0
	;;#ASMSTART
	v_dot2_f32_f16 v102, v115, v4, v102
	;;#ASMEND
	;;#ASMSTART
	v_dot2_f32_f16 v102, v116, v5, v102
	;;#ASMEND
	s_wait_alu 0xfffd
	v_add_co_ci_u32_e64 v126, null, s39, v26, vcc_lo
	v_add_co_u32 v119, vcc_lo, v119, v45
	;;#ASMSTART
	v_dot2_f32_f16 v102, v117, v6, v102
	;;#ASMEND
	;;#ASMSTART
	v_dot2_f32_f16 v102, v118, v7, v102
	;;#ASMEND
	;;#ASMSTART
	v_dot2_f32_f16 v101, v115, v8, v101
	;;#ASMEND
	s_wait_alu 0xfffd
	v_add_co_ci_u32_e64 v120, null, 0, v120, vcc_lo
	v_add_co_u32 v121, vcc_lo, v121, v45
	;;#ASMSTART
	v_dot2_f32_f16 v101, v116, v9, v101
	;;#ASMEND
	;;#ASMSTART
	v_dot2_f32_f16 v101, v117, v10, v101
	;;#ASMEND
	s_wait_alu 0xfffd
	v_add_co_ci_u32_e64 v122, null, 0, v122, vcc_lo
	v_add_co_u32 v123, vcc_lo, v123, v45
	;;#ASMSTART
	v_dot2_f32_f16 v101, v118, v11, v101
	;;#ASMEND
	;;#ASMSTART
	v_dot2_f32_f16 v99, v115, v12, v99
	;;#ASMEND
	;; [unrolled: 3-line block ×3, first 2 shown]
	s_wait_alu 0xfffd
	v_add_co_ci_u32_e64 v124, null, 0, v124, vcc_lo
	v_add_co_u32 v125, vcc_lo, v125, v45
	;;#ASMSTART
	v_dot2_f32_f16 v99, v117, v14, v99
	;;#ASMEND
	;;#ASMSTART
	v_dot2_f32_f16 v99, v118, v15, v99
	;;#ASMEND
	;; [unrolled: 3-line block ×3, first 2 shown]
	s_wait_alu 0xfffd
	v_add_co_ci_u32_e64 v126, null, 0, v126, vcc_lo
	;;#ASMSTART
	v_dot2_f32_f16 v96, v116, v104, v96
	;;#ASMEND
	;;#ASMSTART
	v_dot2_f32_f16 v96, v117, v105, v96
	;;#ASMEND
	;; [unrolled: 3-line block ×3, first 2 shown]
	s_wait_loadcnt 0x0
	s_barrier_signal -1
	s_barrier_wait -1
	global_inv scope:SCOPE_SE
	s_clause 0x3
	global_load_b128 v[0:3], v[119:120], off
	global_load_b128 v[4:7], v[121:122], off
	;; [unrolled: 1-line block ×4, first 2 shown]
	v_lshl_add_u32 v78, s29, 1, v33
	s_add_co_i32 s29, s3, 0x80
	s_wait_loadcnt 0x3
	ds_store_b128 v35, v[0:3]
	s_wait_loadcnt 0x2
	ds_store_b128 v36, v[4:7]
	;; [unrolled: 2-line block ×4, first 2 shown]
	s_wait_dscnt 0x0
	s_barrier_signal -1
	s_barrier_wait -1
	global_inv scope:SCOPE_SE
	ds_load_b128 v[0:3], v39
	ds_load_b128 v[4:7], v78
	ds_load_b128 v[8:11], v78 offset:1152
	ds_load_b128 v[12:15], v78 offset:2304
	;; [unrolled: 1-line block ×6, first 2 shown]
	s_wait_dscnt 0x6
	;;#ASMSTART
	v_dot2_f32_f16 v93, v0, v4, v93
	;;#ASMEND
	;;#ASMSTART
	v_dot2_f32_f16 v93, v1, v5, v93
	;;#ASMEND
	;;#ASMSTART
	v_dot2_f32_f16 v93, v2, v6, v93
	;;#ASMEND
	;;#ASMSTART
	v_dot2_f32_f16 v93, v3, v7, v93
	;;#ASMEND
	s_wait_dscnt 0x5
	;;#ASMSTART
	v_dot2_f32_f16 v90, v0, v8, v90
	;;#ASMEND
	;;#ASMSTART
	v_dot2_f32_f16 v90, v1, v9, v90
	;;#ASMEND
	;;#ASMSTART
	v_dot2_f32_f16 v90, v2, v10, v90
	;;#ASMEND
	;;#ASMSTART
	v_dot2_f32_f16 v90, v3, v11, v90
	;;#ASMEND
	;; [unrolled: 13-line block ×5, first 2 shown]
	;;#ASMSTART
	v_dot2_f32_f16 v94, v107, v8, v94
	;;#ASMEND
	;;#ASMSTART
	v_dot2_f32_f16 v94, v108, v9, v94
	;;#ASMEND
	;;#ASMSTART
	v_dot2_f32_f16 v94, v109, v10, v94
	;;#ASMEND
	;;#ASMSTART
	v_dot2_f32_f16 v94, v110, v11, v94
	;;#ASMEND
	;;#ASMSTART
	v_dot2_f32_f16 v91, v107, v12, v91
	;;#ASMEND
	;;#ASMSTART
	v_dot2_f32_f16 v91, v108, v13, v91
	;;#ASMEND
	;;#ASMSTART
	v_dot2_f32_f16 v91, v109, v14, v91
	;;#ASMEND
	;;#ASMSTART
	v_dot2_f32_f16 v91, v110, v15, v91
	;;#ASMEND
	;;#ASMSTART
	v_dot2_f32_f16 v89, v107, v103, v89
	;;#ASMEND
	;;#ASMSTART
	v_dot2_f32_f16 v89, v108, v104, v89
	;;#ASMEND
	;;#ASMSTART
	v_dot2_f32_f16 v89, v109, v105, v89
	;;#ASMEND
	;;#ASMSTART
	v_dot2_f32_f16 v89, v110, v106, v89
	;;#ASMEND
	s_wait_dscnt 0x1
	;;#ASMSTART
	v_dot2_f32_f16 v100, v111, v4, v100
	;;#ASMEND
	;;#ASMSTART
	v_dot2_f32_f16 v100, v112, v5, v100
	;;#ASMEND
	;; [unrolled: 3-line block ×16, first 2 shown]
	s_wait_dscnt 0x0
	;;#ASMSTART
	v_dot2_f32_f16 v102, v115, v4, v102
	;;#ASMEND
	;;#ASMSTART
	v_dot2_f32_f16 v102, v116, v5, v102
	;;#ASMEND
	;; [unrolled: 3-line block ×16, first 2 shown]
	ds_load_b128 v[0:3], v39 offset:16
	ds_load_b128 v[4:7], v78 offset:16
	;; [unrolled: 1-line block ×8, first 2 shown]
	s_wait_dscnt 0x6
	;;#ASMSTART
	v_dot2_f32_f16 v93, v0, v4, v93
	;;#ASMEND
	;;#ASMSTART
	v_dot2_f32_f16 v93, v1, v5, v93
	;;#ASMEND
	;;#ASMSTART
	v_dot2_f32_f16 v93, v2, v6, v93
	;;#ASMEND
	;;#ASMSTART
	v_dot2_f32_f16 v93, v3, v7, v93
	;;#ASMEND
	s_wait_dscnt 0x5
	;;#ASMSTART
	v_dot2_f32_f16 v90, v0, v8, v90
	;;#ASMEND
	;;#ASMSTART
	v_dot2_f32_f16 v90, v1, v9, v90
	;;#ASMEND
	;;#ASMSTART
	v_dot2_f32_f16 v90, v2, v10, v90
	;;#ASMEND
	;;#ASMSTART
	v_dot2_f32_f16 v90, v3, v11, v90
	;;#ASMEND
	;; [unrolled: 13-line block ×5, first 2 shown]
	;;#ASMSTART
	v_dot2_f32_f16 v94, v107, v8, v94
	;;#ASMEND
	;;#ASMSTART
	v_dot2_f32_f16 v94, v108, v9, v94
	;;#ASMEND
	;; [unrolled: 3-line block ×12, first 2 shown]
	s_wait_dscnt 0x1
	;;#ASMSTART
	v_dot2_f32_f16 v100, v111, v4, v100
	;;#ASMEND
	;;#ASMSTART
	v_dot2_f32_f16 v100, v112, v5, v100
	;;#ASMEND
	;; [unrolled: 3-line block ×16, first 2 shown]
	s_wait_dscnt 0x0
	;;#ASMSTART
	v_dot2_f32_f16 v102, v115, v4, v102
	;;#ASMEND
	;;#ASMSTART
	v_dot2_f32_f16 v102, v116, v5, v102
	;;#ASMEND
	;; [unrolled: 3-line block ×16, first 2 shown]
	ds_load_b128 v[0:3], v39 offset:32
	ds_load_b128 v[4:7], v78 offset:32
	;; [unrolled: 1-line block ×8, first 2 shown]
	s_wait_dscnt 0x6
	;;#ASMSTART
	v_dot2_f32_f16 v93, v0, v4, v93
	;;#ASMEND
	;;#ASMSTART
	v_dot2_f32_f16 v93, v1, v5, v93
	;;#ASMEND
	;;#ASMSTART
	v_dot2_f32_f16 v93, v2, v6, v93
	;;#ASMEND
	;;#ASMSTART
	v_dot2_f32_f16 v93, v3, v7, v93
	;;#ASMEND
	s_wait_dscnt 0x5
	;;#ASMSTART
	v_dot2_f32_f16 v90, v0, v8, v90
	;;#ASMEND
	;;#ASMSTART
	v_dot2_f32_f16 v90, v1, v9, v90
	;;#ASMEND
	;;#ASMSTART
	v_dot2_f32_f16 v90, v2, v10, v90
	;;#ASMEND
	;;#ASMSTART
	v_dot2_f32_f16 v90, v3, v11, v90
	;;#ASMEND
	;; [unrolled: 13-line block ×5, first 2 shown]
	;;#ASMSTART
	v_dot2_f32_f16 v94, v107, v8, v94
	;;#ASMEND
	;;#ASMSTART
	v_dot2_f32_f16 v94, v108, v9, v94
	;;#ASMEND
	;; [unrolled: 3-line block ×12, first 2 shown]
	s_wait_dscnt 0x1
	;;#ASMSTART
	v_dot2_f32_f16 v100, v111, v4, v100
	;;#ASMEND
	;;#ASMSTART
	v_dot2_f32_f16 v100, v112, v5, v100
	;;#ASMEND
	;; [unrolled: 3-line block ×16, first 2 shown]
	s_wait_dscnt 0x0
	;;#ASMSTART
	v_dot2_f32_f16 v102, v115, v4, v102
	;;#ASMEND
	;;#ASMSTART
	v_dot2_f32_f16 v102, v116, v5, v102
	;;#ASMEND
	;; [unrolled: 3-line block ×16, first 2 shown]
	ds_load_b128 v[0:3], v39 offset:48
	ds_load_b128 v[4:7], v78 offset:48
	;; [unrolled: 1-line block ×8, first 2 shown]
	s_wait_dscnt 0x6
	;;#ASMSTART
	v_dot2_f32_f16 v93, v0, v4, v93
	;;#ASMEND
	;;#ASMSTART
	v_dot2_f32_f16 v93, v1, v5, v93
	;;#ASMEND
	;;#ASMSTART
	v_dot2_f32_f16 v93, v2, v6, v93
	;;#ASMEND
	;;#ASMSTART
	v_dot2_f32_f16 v93, v3, v7, v93
	;;#ASMEND
	s_wait_dscnt 0x5
	;;#ASMSTART
	v_dot2_f32_f16 v90, v0, v8, v90
	;;#ASMEND
	;;#ASMSTART
	v_dot2_f32_f16 v90, v1, v9, v90
	;;#ASMEND
	;;#ASMSTART
	v_dot2_f32_f16 v90, v2, v10, v90
	;;#ASMEND
	;;#ASMSTART
	v_dot2_f32_f16 v90, v3, v11, v90
	;;#ASMEND
	;; [unrolled: 13-line block ×5, first 2 shown]
	;;#ASMSTART
	v_dot2_f32_f16 v94, v107, v8, v94
	;;#ASMEND
	;;#ASMSTART
	v_dot2_f32_f16 v94, v108, v9, v94
	;;#ASMEND
	;; [unrolled: 3-line block ×12, first 2 shown]
	s_wait_dscnt 0x1
	;;#ASMSTART
	v_dot2_f32_f16 v100, v111, v4, v100
	;;#ASMEND
	;;#ASMSTART
	v_dot2_f32_f16 v100, v112, v5, v100
	;;#ASMEND
	;; [unrolled: 3-line block ×16, first 2 shown]
	s_wait_dscnt 0x0
	;;#ASMSTART
	v_dot2_f32_f16 v102, v115, v4, v102
	;;#ASMEND
	;;#ASMSTART
	v_dot2_f32_f16 v102, v116, v5, v102
	;;#ASMEND
	;; [unrolled: 3-line block ×16, first 2 shown]
	ds_load_b128 v[0:3], v39 offset:64
	ds_load_b128 v[4:7], v78 offset:64
	;; [unrolled: 1-line block ×8, first 2 shown]
	s_wait_dscnt 0x6
	;;#ASMSTART
	v_dot2_f32_f16 v93, v0, v4, v93
	;;#ASMEND
	;;#ASMSTART
	v_dot2_f32_f16 v93, v1, v5, v93
	;;#ASMEND
	;;#ASMSTART
	v_dot2_f32_f16 v93, v2, v6, v93
	;;#ASMEND
	;;#ASMSTART
	v_dot2_f32_f16 v93, v3, v7, v93
	;;#ASMEND
	s_wait_dscnt 0x5
	;;#ASMSTART
	v_dot2_f32_f16 v90, v0, v8, v90
	;;#ASMEND
	;;#ASMSTART
	v_dot2_f32_f16 v90, v1, v9, v90
	;;#ASMEND
	;;#ASMSTART
	v_dot2_f32_f16 v90, v2, v10, v90
	;;#ASMEND
	;;#ASMSTART
	v_dot2_f32_f16 v90, v3, v11, v90
	;;#ASMEND
	;; [unrolled: 13-line block ×5, first 2 shown]
	;;#ASMSTART
	v_dot2_f32_f16 v94, v107, v8, v94
	;;#ASMEND
	;;#ASMSTART
	v_dot2_f32_f16 v94, v108, v9, v94
	;;#ASMEND
	;; [unrolled: 3-line block ×12, first 2 shown]
	s_wait_dscnt 0x1
	;;#ASMSTART
	v_dot2_f32_f16 v100, v111, v4, v100
	;;#ASMEND
	;;#ASMSTART
	v_dot2_f32_f16 v100, v112, v5, v100
	;;#ASMEND
	;; [unrolled: 3-line block ×16, first 2 shown]
	s_wait_dscnt 0x0
	;;#ASMSTART
	v_dot2_f32_f16 v102, v115, v4, v102
	;;#ASMEND
	;;#ASMSTART
	v_dot2_f32_f16 v102, v116, v5, v102
	;;#ASMEND
	;; [unrolled: 3-line block ×16, first 2 shown]
	ds_load_b128 v[12:15], v39 offset:80
	ds_load_b128 v[0:3], v78 offset:80
	;; [unrolled: 1-line block ×8, first 2 shown]
	s_wait_dscnt 0x6
	;;#ASMSTART
	v_dot2_f32_f16 v93, v12, v0, v93
	;;#ASMEND
	;;#ASMSTART
	v_dot2_f32_f16 v93, v13, v1, v93
	;;#ASMEND
	;;#ASMSTART
	v_dot2_f32_f16 v93, v14, v2, v93
	;;#ASMEND
	;;#ASMSTART
	v_dot2_f32_f16 v93, v15, v3, v93
	;;#ASMEND
	s_wait_dscnt 0x5
	;;#ASMSTART
	v_dot2_f32_f16 v90, v12, v4, v90
	;;#ASMEND
	;;#ASMSTART
	v_dot2_f32_f16 v90, v13, v5, v90
	;;#ASMEND
	;;#ASMSTART
	v_dot2_f32_f16 v90, v14, v6, v90
	;;#ASMEND
	;;#ASMSTART
	v_dot2_f32_f16 v90, v15, v7, v90
	;;#ASMEND
	;; [unrolled: 13-line block ×5, first 2 shown]
	;;#ASMSTART
	v_dot2_f32_f16 v94, v107, v4, v94
	;;#ASMEND
	;;#ASMSTART
	v_dot2_f32_f16 v94, v108, v5, v94
	;;#ASMEND
	;;#ASMSTART
	v_dot2_f32_f16 v94, v109, v6, v94
	;;#ASMEND
	;;#ASMSTART
	v_dot2_f32_f16 v94, v110, v7, v94
	;;#ASMEND
	;;#ASMSTART
	v_dot2_f32_f16 v91, v107, v8, v91
	;;#ASMEND
	;;#ASMSTART
	v_dot2_f32_f16 v91, v108, v9, v91
	;;#ASMEND
	;;#ASMSTART
	v_dot2_f32_f16 v91, v109, v10, v91
	;;#ASMEND
	;;#ASMSTART
	v_dot2_f32_f16 v91, v110, v11, v91
	;;#ASMEND
	;;#ASMSTART
	v_dot2_f32_f16 v89, v107, v103, v89
	;;#ASMEND
	;;#ASMSTART
	v_dot2_f32_f16 v89, v108, v104, v89
	;;#ASMEND
	;;#ASMSTART
	v_dot2_f32_f16 v89, v109, v105, v89
	;;#ASMEND
	;;#ASMSTART
	v_dot2_f32_f16 v89, v110, v106, v89
	;;#ASMEND
	s_wait_dscnt 0x1
	;;#ASMSTART
	v_dot2_f32_f16 v100, v111, v0, v100
	;;#ASMEND
	;;#ASMSTART
	v_dot2_f32_f16 v100, v112, v1, v100
	;;#ASMEND
	;; [unrolled: 3-line block ×16, first 2 shown]
	s_wait_dscnt 0x0
	;;#ASMSTART
	v_dot2_f32_f16 v102, v115, v0, v102
	;;#ASMEND
	;;#ASMSTART
	v_dot2_f32_f16 v102, v116, v1, v102
	;;#ASMEND
	;; [unrolled: 3-line block ×16, first 2 shown]
	ds_load_b128 v[0:3], v39 offset:96
	ds_load_b128 v[4:7], v78 offset:96
	;; [unrolled: 1-line block ×8, first 2 shown]
	s_wait_dscnt 0x6
	;;#ASMSTART
	v_dot2_f32_f16 v93, v0, v4, v93
	;;#ASMEND
	;;#ASMSTART
	v_dot2_f32_f16 v93, v1, v5, v93
	;;#ASMEND
	;;#ASMSTART
	v_dot2_f32_f16 v93, v2, v6, v93
	;;#ASMEND
	;;#ASMSTART
	v_dot2_f32_f16 v93, v3, v7, v93
	;;#ASMEND
	s_wait_dscnt 0x5
	;;#ASMSTART
	v_dot2_f32_f16 v90, v0, v8, v90
	;;#ASMEND
	;;#ASMSTART
	v_dot2_f32_f16 v90, v1, v9, v90
	;;#ASMEND
	;;#ASMSTART
	v_dot2_f32_f16 v90, v2, v10, v90
	;;#ASMEND
	;;#ASMSTART
	v_dot2_f32_f16 v90, v3, v11, v90
	;;#ASMEND
	;; [unrolled: 13-line block ×5, first 2 shown]
	;;#ASMSTART
	v_dot2_f32_f16 v94, v107, v8, v94
	;;#ASMEND
	;;#ASMSTART
	v_dot2_f32_f16 v94, v108, v9, v94
	;;#ASMEND
	;;#ASMSTART
	v_dot2_f32_f16 v94, v109, v10, v94
	;;#ASMEND
	;;#ASMSTART
	v_dot2_f32_f16 v94, v110, v11, v94
	;;#ASMEND
	;;#ASMSTART
	v_dot2_f32_f16 v91, v107, v12, v91
	;;#ASMEND
	;;#ASMSTART
	v_dot2_f32_f16 v91, v108, v13, v91
	;;#ASMEND
	;;#ASMSTART
	v_dot2_f32_f16 v91, v109, v14, v91
	;;#ASMEND
	;;#ASMSTART
	v_dot2_f32_f16 v91, v110, v15, v91
	;;#ASMEND
	;;#ASMSTART
	v_dot2_f32_f16 v89, v107, v103, v89
	;;#ASMEND
	;;#ASMSTART
	v_dot2_f32_f16 v89, v108, v104, v89
	;;#ASMEND
	;;#ASMSTART
	v_dot2_f32_f16 v89, v109, v105, v89
	;;#ASMEND
	;;#ASMSTART
	v_dot2_f32_f16 v89, v110, v106, v89
	;;#ASMEND
	s_wait_dscnt 0x1
	;;#ASMSTART
	v_dot2_f32_f16 v100, v111, v4, v100
	;;#ASMEND
	;;#ASMSTART
	v_dot2_f32_f16 v100, v112, v5, v100
	;;#ASMEND
	;; [unrolled: 3-line block ×16, first 2 shown]
	s_wait_dscnt 0x0
	;;#ASMSTART
	v_dot2_f32_f16 v102, v115, v4, v102
	;;#ASMEND
	;;#ASMSTART
	v_dot2_f32_f16 v102, v116, v5, v102
	;;#ASMEND
	;; [unrolled: 3-line block ×16, first 2 shown]
	ds_load_b128 v[0:3], v39 offset:112
	ds_load_b128 v[4:7], v78 offset:112
	;; [unrolled: 1-line block ×8, first 2 shown]
	s_wait_dscnt 0x6
	;;#ASMSTART
	v_dot2_f32_f16 v93, v0, v4, v93
	;;#ASMEND
	;;#ASMSTART
	v_dot2_f32_f16 v93, v1, v5, v93
	;;#ASMEND
	;;#ASMSTART
	v_dot2_f32_f16 v93, v2, v6, v93
	;;#ASMEND
	;;#ASMSTART
	v_dot2_f32_f16 v93, v3, v7, v93
	;;#ASMEND
	s_wait_dscnt 0x5
	;;#ASMSTART
	v_dot2_f32_f16 v90, v0, v8, v90
	;;#ASMEND
	;;#ASMSTART
	v_dot2_f32_f16 v90, v1, v9, v90
	;;#ASMEND
	;;#ASMSTART
	v_dot2_f32_f16 v90, v2, v10, v90
	;;#ASMEND
	;;#ASMSTART
	v_dot2_f32_f16 v90, v3, v11, v90
	;;#ASMEND
	;; [unrolled: 13-line block ×5, first 2 shown]
	;;#ASMSTART
	v_dot2_f32_f16 v94, v107, v8, v94
	;;#ASMEND
	;;#ASMSTART
	v_dot2_f32_f16 v94, v108, v9, v94
	;;#ASMEND
	;; [unrolled: 3-line block ×11, first 2 shown]
	s_wait_alu 0xfffe
	s_lshr_b32 s10, s29, 1
	;;#ASMSTART
	v_dot2_f32_f16 v89, v110, v106, v89
	;;#ASMEND
	s_wait_dscnt 0x1
	;;#ASMSTART
	v_dot2_f32_f16 v100, v111, v4, v100
	;;#ASMEND
	;;#ASMSTART
	v_dot2_f32_f16 v100, v112, v5, v100
	;;#ASMEND
	s_wait_alu 0xfffe
	s_lshl_b64 s[38:39], s[10:11], 2
	;;#ASMSTART
	v_dot2_f32_f16 v100, v113, v6, v100
	;;#ASMEND
	;;#ASMSTART
	v_dot2_f32_f16 v100, v114, v7, v100
	;;#ASMEND
	;; [unrolled: 3-line block ×3, first 2 shown]
	s_wait_alu 0xfffe
	s_add_nc_u64 s[38:39], s[26:27], s[38:39]
	;;#ASMSTART
	v_dot2_f32_f16 v98, v112, v9, v98
	;;#ASMEND
	;;#ASMSTART
	v_dot2_f32_f16 v98, v113, v10, v98
	;;#ASMEND
	s_wait_alu 0xfffe
	v_add_co_u32 v119, vcc_lo, s38, v19
	;;#ASMSTART
	v_dot2_f32_f16 v98, v114, v11, v98
	;;#ASMEND
	;;#ASMSTART
	v_dot2_f32_f16 v95, v111, v12, v95
	;;#ASMEND
	;; [unrolled: 3-line block ×3, first 2 shown]
	s_wait_alu 0xfffd
	v_add_co_ci_u32_e64 v120, null, s39, v20, vcc_lo
	v_add_co_u32 v121, vcc_lo, s38, v21
	;;#ASMSTART
	v_dot2_f32_f16 v95, v113, v14, v95
	;;#ASMEND
	;;#ASMSTART
	v_dot2_f32_f16 v95, v114, v15, v95
	;;#ASMEND
	;; [unrolled: 3-line block ×3, first 2 shown]
	s_wait_alu 0xfffd
	v_add_co_ci_u32_e64 v122, null, s39, v22, vcc_lo
	v_add_co_u32 v123, vcc_lo, s38, v23
	;;#ASMSTART
	v_dot2_f32_f16 v92, v112, v104, v92
	;;#ASMEND
	;;#ASMSTART
	v_dot2_f32_f16 v92, v113, v105, v92
	;;#ASMEND
	s_wait_alu 0xfffd
	v_add_co_ci_u32_e64 v124, null, s39, v24, vcc_lo
	v_add_co_u32 v125, vcc_lo, s38, v25
	;;#ASMSTART
	v_dot2_f32_f16 v92, v114, v106, v92
	;;#ASMEND
	s_wait_dscnt 0x0
	;;#ASMSTART
	v_dot2_f32_f16 v102, v115, v4, v102
	;;#ASMEND
	;;#ASMSTART
	v_dot2_f32_f16 v102, v116, v5, v102
	;;#ASMEND
	s_wait_alu 0xfffd
	v_add_co_ci_u32_e64 v126, null, s39, v26, vcc_lo
	v_add_co_u32 v119, vcc_lo, v119, v45
	;;#ASMSTART
	v_dot2_f32_f16 v102, v117, v6, v102
	;;#ASMEND
	;;#ASMSTART
	v_dot2_f32_f16 v102, v118, v7, v102
	;;#ASMEND
	;; [unrolled: 3-line block ×3, first 2 shown]
	s_wait_alu 0xfffd
	v_add_co_ci_u32_e64 v120, null, 0, v120, vcc_lo
	v_add_co_u32 v121, vcc_lo, v121, v45
	;;#ASMSTART
	v_dot2_f32_f16 v101, v116, v9, v101
	;;#ASMEND
	;;#ASMSTART
	v_dot2_f32_f16 v101, v117, v10, v101
	;;#ASMEND
	s_wait_alu 0xfffd
	v_add_co_ci_u32_e64 v122, null, 0, v122, vcc_lo
	v_add_co_u32 v123, vcc_lo, v123, v45
	;;#ASMSTART
	v_dot2_f32_f16 v101, v118, v11, v101
	;;#ASMEND
	;;#ASMSTART
	v_dot2_f32_f16 v99, v115, v12, v99
	;;#ASMEND
	;; [unrolled: 3-line block ×3, first 2 shown]
	s_wait_alu 0xfffd
	v_add_co_ci_u32_e64 v124, null, 0, v124, vcc_lo
	v_add_co_u32 v125, vcc_lo, v125, v45
	;;#ASMSTART
	v_dot2_f32_f16 v99, v117, v14, v99
	;;#ASMEND
	;;#ASMSTART
	v_dot2_f32_f16 v99, v118, v15, v99
	;;#ASMEND
	;;#ASMSTART
	v_dot2_f32_f16 v96, v115, v103, v96
	;;#ASMEND
	s_wait_alu 0xfffd
	v_add_co_ci_u32_e64 v126, null, 0, v126, vcc_lo
	;;#ASMSTART
	v_dot2_f32_f16 v96, v116, v104, v96
	;;#ASMEND
	;;#ASMSTART
	v_dot2_f32_f16 v96, v117, v105, v96
	;;#ASMEND
	;; [unrolled: 3-line block ×3, first 2 shown]
	s_wait_loadcnt 0x0
	s_barrier_signal -1
	s_barrier_wait -1
	global_inv scope:SCOPE_SE
	s_clause 0x3
	global_load_b128 v[1:4], v[119:120], off
	global_load_b128 v[5:8], v[121:122], off
	;; [unrolled: 1-line block ×4, first 2 shown]
	v_lshl_add_u32 v0, s29, 1, v33
	s_wait_loadcnt 0x3
	ds_store_b128 v35, v[1:4]
	s_wait_loadcnt 0x2
	ds_store_b128 v36, v[5:8]
	;; [unrolled: 2-line block ×4, first 2 shown]
	s_wait_dscnt 0x0
	s_barrier_signal -1
	s_barrier_wait -1
	global_inv scope:SCOPE_SE
	ds_load_b128 v[1:4], v39
	ds_load_b128 v[5:8], v0
	ds_load_b128 v[9:12], v0 offset:1152
	ds_load_b128 v[103:106], v0 offset:2304
	;; [unrolled: 1-line block ×6, first 2 shown]
	s_wait_dscnt 0x6
	;;#ASMSTART
	v_dot2_f32_f16 v93, v1, v5, v93
	;;#ASMEND
	;;#ASMSTART
	v_dot2_f32_f16 v93, v2, v6, v93
	;;#ASMEND
	;;#ASMSTART
	v_dot2_f32_f16 v93, v3, v7, v93
	;;#ASMEND
	;;#ASMSTART
	v_dot2_f32_f16 v93, v4, v8, v93
	;;#ASMEND
	s_wait_dscnt 0x5
	;;#ASMSTART
	v_dot2_f32_f16 v90, v1, v9, v90
	;;#ASMEND
	;;#ASMSTART
	v_dot2_f32_f16 v90, v2, v10, v90
	;;#ASMEND
	;;#ASMSTART
	v_dot2_f32_f16 v90, v3, v11, v90
	;;#ASMEND
	;;#ASMSTART
	v_dot2_f32_f16 v90, v4, v12, v90
	;;#ASMEND
	s_wait_dscnt 0x4
	;;#ASMSTART
	v_dot2_f32_f16 v88, v1, v103, v88
	;;#ASMEND
	;;#ASMSTART
	v_dot2_f32_f16 v88, v2, v104, v88
	;;#ASMEND
	;;#ASMSTART
	v_dot2_f32_f16 v88, v3, v105, v88
	;;#ASMEND
	;;#ASMSTART
	v_dot2_f32_f16 v88, v4, v106, v88
	;;#ASMEND
	s_wait_dscnt 0x3
	;;#ASMSTART
	v_dot2_f32_f16 v87, v1, v107, v87
	;;#ASMEND
	;;#ASMSTART
	v_dot2_f32_f16 v87, v2, v108, v87
	;;#ASMEND
	;;#ASMSTART
	v_dot2_f32_f16 v87, v3, v109, v87
	;;#ASMEND
	;;#ASMSTART
	v_dot2_f32_f16 v87, v4, v110, v87
	;;#ASMEND
	s_wait_dscnt 0x2
	;;#ASMSTART
	v_dot2_f32_f16 v97, v111, v5, v97
	;;#ASMEND
	;;#ASMSTART
	v_dot2_f32_f16 v97, v112, v6, v97
	;;#ASMEND
	;;#ASMSTART
	v_dot2_f32_f16 v97, v113, v7, v97
	;;#ASMEND
	;;#ASMSTART
	v_dot2_f32_f16 v97, v114, v8, v97
	;;#ASMEND
	;;#ASMSTART
	v_dot2_f32_f16 v94, v111, v9, v94
	;;#ASMEND
	;;#ASMSTART
	v_dot2_f32_f16 v94, v112, v10, v94
	;;#ASMEND
	;;#ASMSTART
	v_dot2_f32_f16 v94, v113, v11, v94
	;;#ASMEND
	;;#ASMSTART
	v_dot2_f32_f16 v94, v114, v12, v94
	;;#ASMEND
	;;#ASMSTART
	v_dot2_f32_f16 v91, v111, v103, v91
	;;#ASMEND
	;;#ASMSTART
	v_dot2_f32_f16 v91, v112, v104, v91
	;;#ASMEND
	;;#ASMSTART
	v_dot2_f32_f16 v91, v113, v105, v91
	;;#ASMEND
	;;#ASMSTART
	v_dot2_f32_f16 v91, v114, v106, v91
	;;#ASMEND
	;;#ASMSTART
	v_dot2_f32_f16 v89, v111, v107, v89
	;;#ASMEND
	;;#ASMSTART
	v_dot2_f32_f16 v89, v112, v108, v89
	;;#ASMEND
	;;#ASMSTART
	v_dot2_f32_f16 v89, v113, v109, v89
	;;#ASMEND
	;;#ASMSTART
	v_dot2_f32_f16 v89, v114, v110, v89
	;;#ASMEND
	s_wait_dscnt 0x1
	;;#ASMSTART
	v_dot2_f32_f16 v100, v115, v5, v100
	;;#ASMEND
	;;#ASMSTART
	v_dot2_f32_f16 v100, v116, v6, v100
	;;#ASMEND
	;;#ASMSTART
	v_dot2_f32_f16 v100, v117, v7, v100
	;;#ASMEND
	;;#ASMSTART
	v_dot2_f32_f16 v100, v118, v8, v100
	;;#ASMEND
	;;#ASMSTART
	v_dot2_f32_f16 v98, v115, v9, v98
	;;#ASMEND
	;;#ASMSTART
	v_dot2_f32_f16 v98, v116, v10, v98
	;;#ASMEND
	;;#ASMSTART
	v_dot2_f32_f16 v98, v117, v11, v98
	;;#ASMEND
	;;#ASMSTART
	v_dot2_f32_f16 v98, v118, v12, v98
	;;#ASMEND
	;;#ASMSTART
	v_dot2_f32_f16 v95, v115, v103, v95
	;;#ASMEND
	;;#ASMSTART
	v_dot2_f32_f16 v95, v116, v104, v95
	;;#ASMEND
	;;#ASMSTART
	v_dot2_f32_f16 v95, v117, v105, v95
	;;#ASMEND
	;;#ASMSTART
	v_dot2_f32_f16 v95, v118, v106, v95
	;;#ASMEND
	;;#ASMSTART
	v_dot2_f32_f16 v92, v115, v107, v92
	;;#ASMEND
	;;#ASMSTART
	v_dot2_f32_f16 v92, v116, v108, v92
	;;#ASMEND
	;;#ASMSTART
	v_dot2_f32_f16 v92, v117, v109, v92
	;;#ASMEND
	;;#ASMSTART
	v_dot2_f32_f16 v92, v118, v110, v92
	;;#ASMEND
	s_wait_dscnt 0x0
	;;#ASMSTART
	v_dot2_f32_f16 v102, v119, v5, v102
	;;#ASMEND
	;;#ASMSTART
	v_dot2_f32_f16 v102, v120, v6, v102
	;;#ASMEND
	;; [unrolled: 3-line block ×16, first 2 shown]
	ds_load_b128 v[1:4], v39 offset:16
	ds_load_b128 v[5:8], v0 offset:16
	;; [unrolled: 1-line block ×8, first 2 shown]
	s_wait_dscnt 0x6
	;;#ASMSTART
	v_dot2_f32_f16 v93, v1, v5, v93
	;;#ASMEND
	;;#ASMSTART
	v_dot2_f32_f16 v93, v2, v6, v93
	;;#ASMEND
	;;#ASMSTART
	v_dot2_f32_f16 v93, v3, v7, v93
	;;#ASMEND
	;;#ASMSTART
	v_dot2_f32_f16 v93, v4, v8, v93
	;;#ASMEND
	s_wait_dscnt 0x5
	;;#ASMSTART
	v_dot2_f32_f16 v90, v1, v9, v90
	;;#ASMEND
	;;#ASMSTART
	v_dot2_f32_f16 v90, v2, v10, v90
	;;#ASMEND
	;;#ASMSTART
	v_dot2_f32_f16 v90, v3, v11, v90
	;;#ASMEND
	;;#ASMSTART
	v_dot2_f32_f16 v90, v4, v12, v90
	;;#ASMEND
	s_wait_dscnt 0x4
	;;#ASMSTART
	v_dot2_f32_f16 v88, v1, v103, v88
	;;#ASMEND
	;;#ASMSTART
	v_dot2_f32_f16 v88, v2, v104, v88
	;;#ASMEND
	;;#ASMSTART
	v_dot2_f32_f16 v88, v3, v105, v88
	;;#ASMEND
	;;#ASMSTART
	v_dot2_f32_f16 v88, v4, v106, v88
	;;#ASMEND
	s_wait_dscnt 0x3
	;;#ASMSTART
	v_dot2_f32_f16 v87, v1, v107, v87
	;;#ASMEND
	;;#ASMSTART
	v_dot2_f32_f16 v87, v2, v108, v87
	;;#ASMEND
	;;#ASMSTART
	v_dot2_f32_f16 v87, v3, v109, v87
	;;#ASMEND
	;;#ASMSTART
	v_dot2_f32_f16 v87, v4, v110, v87
	;;#ASMEND
	s_wait_dscnt 0x2
	;;#ASMSTART
	v_dot2_f32_f16 v97, v111, v5, v97
	;;#ASMEND
	;;#ASMSTART
	v_dot2_f32_f16 v97, v112, v6, v97
	;;#ASMEND
	;;#ASMSTART
	v_dot2_f32_f16 v97, v113, v7, v97
	;;#ASMEND
	;;#ASMSTART
	v_dot2_f32_f16 v97, v114, v8, v97
	;;#ASMEND
	;;#ASMSTART
	v_dot2_f32_f16 v94, v111, v9, v94
	;;#ASMEND
	;;#ASMSTART
	v_dot2_f32_f16 v94, v112, v10, v94
	;;#ASMEND
	;; [unrolled: 3-line block ×12, first 2 shown]
	s_wait_dscnt 0x1
	;;#ASMSTART
	v_dot2_f32_f16 v100, v115, v5, v100
	;;#ASMEND
	;;#ASMSTART
	v_dot2_f32_f16 v100, v116, v6, v100
	;;#ASMEND
	;; [unrolled: 3-line block ×16, first 2 shown]
	s_wait_dscnt 0x0
	;;#ASMSTART
	v_dot2_f32_f16 v102, v119, v5, v102
	;;#ASMEND
	;;#ASMSTART
	v_dot2_f32_f16 v102, v120, v6, v102
	;;#ASMEND
	;; [unrolled: 3-line block ×16, first 2 shown]
	ds_load_b128 v[1:4], v39 offset:32
	ds_load_b128 v[5:8], v0 offset:32
	ds_load_b128 v[9:12], v0 offset:1184
	ds_load_b128 v[103:106], v0 offset:2336
	ds_load_b128 v[107:110], v0 offset:3488
	ds_load_b128 v[111:114], v39 offset:4640
	ds_load_b128 v[115:118], v39 offset:9248
	ds_load_b128 v[119:122], v39 offset:13856
	s_wait_dscnt 0x6
	;;#ASMSTART
	v_dot2_f32_f16 v93, v1, v5, v93
	;;#ASMEND
	;;#ASMSTART
	v_dot2_f32_f16 v93, v2, v6, v93
	;;#ASMEND
	;;#ASMSTART
	v_dot2_f32_f16 v93, v3, v7, v93
	;;#ASMEND
	;;#ASMSTART
	v_dot2_f32_f16 v93, v4, v8, v93
	;;#ASMEND
	s_wait_dscnt 0x5
	;;#ASMSTART
	v_dot2_f32_f16 v90, v1, v9, v90
	;;#ASMEND
	;;#ASMSTART
	v_dot2_f32_f16 v90, v2, v10, v90
	;;#ASMEND
	;;#ASMSTART
	v_dot2_f32_f16 v90, v3, v11, v90
	;;#ASMEND
	;;#ASMSTART
	v_dot2_f32_f16 v90, v4, v12, v90
	;;#ASMEND
	s_wait_dscnt 0x4
	;;#ASMSTART
	v_dot2_f32_f16 v88, v1, v103, v88
	;;#ASMEND
	;;#ASMSTART
	v_dot2_f32_f16 v88, v2, v104, v88
	;;#ASMEND
	;;#ASMSTART
	v_dot2_f32_f16 v88, v3, v105, v88
	;;#ASMEND
	;;#ASMSTART
	v_dot2_f32_f16 v88, v4, v106, v88
	;;#ASMEND
	s_wait_dscnt 0x3
	;;#ASMSTART
	v_dot2_f32_f16 v87, v1, v107, v87
	;;#ASMEND
	;;#ASMSTART
	v_dot2_f32_f16 v87, v2, v108, v87
	;;#ASMEND
	;;#ASMSTART
	v_dot2_f32_f16 v87, v3, v109, v87
	;;#ASMEND
	;;#ASMSTART
	v_dot2_f32_f16 v87, v4, v110, v87
	;;#ASMEND
	s_wait_dscnt 0x2
	;;#ASMSTART
	v_dot2_f32_f16 v97, v111, v5, v97
	;;#ASMEND
	;;#ASMSTART
	v_dot2_f32_f16 v97, v112, v6, v97
	;;#ASMEND
	;;#ASMSTART
	v_dot2_f32_f16 v97, v113, v7, v97
	;;#ASMEND
	;;#ASMSTART
	v_dot2_f32_f16 v97, v114, v8, v97
	;;#ASMEND
	;;#ASMSTART
	v_dot2_f32_f16 v94, v111, v9, v94
	;;#ASMEND
	;;#ASMSTART
	v_dot2_f32_f16 v94, v112, v10, v94
	;;#ASMEND
	;; [unrolled: 3-line block ×12, first 2 shown]
	s_wait_dscnt 0x1
	;;#ASMSTART
	v_dot2_f32_f16 v100, v115, v5, v100
	;;#ASMEND
	;;#ASMSTART
	v_dot2_f32_f16 v100, v116, v6, v100
	;;#ASMEND
	;; [unrolled: 3-line block ×16, first 2 shown]
	s_wait_dscnt 0x0
	;;#ASMSTART
	v_dot2_f32_f16 v102, v119, v5, v102
	;;#ASMEND
	;;#ASMSTART
	v_dot2_f32_f16 v102, v120, v6, v102
	;;#ASMEND
	;; [unrolled: 3-line block ×16, first 2 shown]
	ds_load_b128 v[1:4], v39 offset:48
	ds_load_b128 v[5:8], v0 offset:48
	;; [unrolled: 1-line block ×8, first 2 shown]
	s_wait_dscnt 0x6
	;;#ASMSTART
	v_dot2_f32_f16 v93, v1, v5, v93
	;;#ASMEND
	;;#ASMSTART
	v_dot2_f32_f16 v93, v2, v6, v93
	;;#ASMEND
	;;#ASMSTART
	v_dot2_f32_f16 v93, v3, v7, v93
	;;#ASMEND
	;;#ASMSTART
	v_dot2_f32_f16 v93, v4, v8, v93
	;;#ASMEND
	s_wait_dscnt 0x5
	;;#ASMSTART
	v_dot2_f32_f16 v90, v1, v9, v90
	;;#ASMEND
	;;#ASMSTART
	v_dot2_f32_f16 v90, v2, v10, v90
	;;#ASMEND
	;;#ASMSTART
	v_dot2_f32_f16 v90, v3, v11, v90
	;;#ASMEND
	;;#ASMSTART
	v_dot2_f32_f16 v90, v4, v12, v90
	;;#ASMEND
	;; [unrolled: 13-line block ×5, first 2 shown]
	;;#ASMSTART
	v_dot2_f32_f16 v94, v111, v9, v94
	;;#ASMEND
	;;#ASMSTART
	v_dot2_f32_f16 v94, v112, v10, v94
	;;#ASMEND
	;; [unrolled: 3-line block ×12, first 2 shown]
	s_wait_dscnt 0x1
	;;#ASMSTART
	v_dot2_f32_f16 v100, v115, v5, v100
	;;#ASMEND
	;;#ASMSTART
	v_dot2_f32_f16 v100, v116, v6, v100
	;;#ASMEND
	;; [unrolled: 3-line block ×16, first 2 shown]
	s_wait_dscnt 0x0
	;;#ASMSTART
	v_dot2_f32_f16 v102, v119, v5, v102
	;;#ASMEND
	;;#ASMSTART
	v_dot2_f32_f16 v102, v120, v6, v102
	;;#ASMEND
	;; [unrolled: 3-line block ×16, first 2 shown]
	ds_load_b128 v[1:4], v39 offset:64
	ds_load_b128 v[5:8], v0 offset:64
	;; [unrolled: 1-line block ×8, first 2 shown]
	s_wait_dscnt 0x6
	;;#ASMSTART
	v_dot2_f32_f16 v93, v1, v5, v93
	;;#ASMEND
	;;#ASMSTART
	v_dot2_f32_f16 v93, v2, v6, v93
	;;#ASMEND
	;;#ASMSTART
	v_dot2_f32_f16 v93, v3, v7, v93
	;;#ASMEND
	;;#ASMSTART
	v_dot2_f32_f16 v93, v4, v8, v93
	;;#ASMEND
	s_wait_dscnt 0x5
	;;#ASMSTART
	v_dot2_f32_f16 v90, v1, v9, v90
	;;#ASMEND
	;;#ASMSTART
	v_dot2_f32_f16 v90, v2, v10, v90
	;;#ASMEND
	;;#ASMSTART
	v_dot2_f32_f16 v90, v3, v11, v90
	;;#ASMEND
	;;#ASMSTART
	v_dot2_f32_f16 v90, v4, v12, v90
	;;#ASMEND
	;; [unrolled: 13-line block ×5, first 2 shown]
	;;#ASMSTART
	v_dot2_f32_f16 v94, v111, v9, v94
	;;#ASMEND
	;;#ASMSTART
	v_dot2_f32_f16 v94, v112, v10, v94
	;;#ASMEND
	;; [unrolled: 3-line block ×12, first 2 shown]
	s_wait_dscnt 0x1
	;;#ASMSTART
	v_dot2_f32_f16 v100, v115, v5, v100
	;;#ASMEND
	;;#ASMSTART
	v_dot2_f32_f16 v100, v116, v6, v100
	;;#ASMEND
	;; [unrolled: 3-line block ×16, first 2 shown]
	s_wait_dscnt 0x0
	;;#ASMSTART
	v_dot2_f32_f16 v102, v119, v5, v102
	;;#ASMEND
	;;#ASMSTART
	v_dot2_f32_f16 v102, v120, v6, v102
	;;#ASMEND
	;; [unrolled: 3-line block ×16, first 2 shown]
	ds_load_b128 v[1:4], v39 offset:80
	ds_load_b128 v[5:8], v0 offset:80
	ds_load_b128 v[9:12], v0 offset:1232
	ds_load_b128 v[103:106], v0 offset:2384
	ds_load_b128 v[107:110], v0 offset:3536
	ds_load_b128 v[111:114], v39 offset:4688
	ds_load_b128 v[115:118], v39 offset:9296
	ds_load_b128 v[119:122], v39 offset:13904
	s_wait_dscnt 0x6
	;;#ASMSTART
	v_dot2_f32_f16 v93, v1, v5, v93
	;;#ASMEND
	;;#ASMSTART
	v_dot2_f32_f16 v93, v2, v6, v93
	;;#ASMEND
	;;#ASMSTART
	v_dot2_f32_f16 v93, v3, v7, v93
	;;#ASMEND
	;;#ASMSTART
	v_dot2_f32_f16 v93, v4, v8, v93
	;;#ASMEND
	s_wait_dscnt 0x5
	;;#ASMSTART
	v_dot2_f32_f16 v90, v1, v9, v90
	;;#ASMEND
	;;#ASMSTART
	v_dot2_f32_f16 v90, v2, v10, v90
	;;#ASMEND
	;;#ASMSTART
	v_dot2_f32_f16 v90, v3, v11, v90
	;;#ASMEND
	;;#ASMSTART
	v_dot2_f32_f16 v90, v4, v12, v90
	;;#ASMEND
	;; [unrolled: 13-line block ×5, first 2 shown]
	;;#ASMSTART
	v_dot2_f32_f16 v94, v111, v9, v94
	;;#ASMEND
	;;#ASMSTART
	v_dot2_f32_f16 v94, v112, v10, v94
	;;#ASMEND
	;; [unrolled: 3-line block ×12, first 2 shown]
	s_wait_dscnt 0x1
	;;#ASMSTART
	v_dot2_f32_f16 v100, v115, v5, v100
	;;#ASMEND
	;;#ASMSTART
	v_dot2_f32_f16 v100, v116, v6, v100
	;;#ASMEND
	;; [unrolled: 3-line block ×16, first 2 shown]
	s_wait_dscnt 0x0
	;;#ASMSTART
	v_dot2_f32_f16 v102, v119, v5, v102
	;;#ASMEND
	;;#ASMSTART
	v_dot2_f32_f16 v102, v120, v6, v102
	;;#ASMEND
	;; [unrolled: 3-line block ×16, first 2 shown]
	ds_load_b128 v[1:4], v39 offset:96
	ds_load_b128 v[5:8], v0 offset:96
	;; [unrolled: 1-line block ×8, first 2 shown]
	s_wait_dscnt 0x6
	;;#ASMSTART
	v_dot2_f32_f16 v93, v1, v5, v93
	;;#ASMEND
	;;#ASMSTART
	v_dot2_f32_f16 v93, v2, v6, v93
	;;#ASMEND
	;;#ASMSTART
	v_dot2_f32_f16 v93, v3, v7, v93
	;;#ASMEND
	;;#ASMSTART
	v_dot2_f32_f16 v93, v4, v8, v93
	;;#ASMEND
	s_wait_dscnt 0x5
	;;#ASMSTART
	v_dot2_f32_f16 v90, v1, v9, v90
	;;#ASMEND
	;;#ASMSTART
	v_dot2_f32_f16 v90, v2, v10, v90
	;;#ASMEND
	;;#ASMSTART
	v_dot2_f32_f16 v90, v3, v11, v90
	;;#ASMEND
	;;#ASMSTART
	v_dot2_f32_f16 v90, v4, v12, v90
	;;#ASMEND
	;; [unrolled: 13-line block ×5, first 2 shown]
	;;#ASMSTART
	v_dot2_f32_f16 v94, v111, v9, v94
	;;#ASMEND
	;;#ASMSTART
	v_dot2_f32_f16 v94, v112, v10, v94
	;;#ASMEND
	;; [unrolled: 3-line block ×12, first 2 shown]
	s_wait_dscnt 0x1
	;;#ASMSTART
	v_dot2_f32_f16 v100, v115, v5, v100
	;;#ASMEND
	;;#ASMSTART
	v_dot2_f32_f16 v100, v116, v6, v100
	;;#ASMEND
	;; [unrolled: 3-line block ×16, first 2 shown]
	s_wait_dscnt 0x0
	;;#ASMSTART
	v_dot2_f32_f16 v102, v119, v5, v102
	;;#ASMEND
	;;#ASMSTART
	v_dot2_f32_f16 v102, v120, v6, v102
	;;#ASMEND
	;; [unrolled: 3-line block ×16, first 2 shown]
	ds_load_b128 v[1:4], v39 offset:112
	ds_load_b128 v[5:8], v0 offset:112
	;; [unrolled: 1-line block ×8, first 2 shown]
	s_wait_dscnt 0x6
	;;#ASMSTART
	v_dot2_f32_f16 v93, v1, v5, v93
	;;#ASMEND
	;;#ASMSTART
	v_dot2_f32_f16 v93, v2, v6, v93
	;;#ASMEND
	;;#ASMSTART
	v_dot2_f32_f16 v93, v3, v7, v93
	;;#ASMEND
	;;#ASMSTART
	v_dot2_f32_f16 v93, v4, v8, v93
	;;#ASMEND
	s_wait_dscnt 0x5
	;;#ASMSTART
	v_dot2_f32_f16 v90, v1, v9, v90
	;;#ASMEND
	;;#ASMSTART
	v_dot2_f32_f16 v90, v2, v10, v90
	;;#ASMEND
	;;#ASMSTART
	v_dot2_f32_f16 v90, v3, v11, v90
	;;#ASMEND
	;;#ASMSTART
	v_dot2_f32_f16 v90, v4, v12, v90
	;;#ASMEND
	;; [unrolled: 13-line block ×5, first 2 shown]
	;;#ASMSTART
	v_dot2_f32_f16 v94, v111, v9, v94
	;;#ASMEND
	;;#ASMSTART
	v_dot2_f32_f16 v94, v112, v10, v94
	;;#ASMEND
	;;#ASMSTART
	v_dot2_f32_f16 v94, v113, v11, v94
	;;#ASMEND
	;;#ASMSTART
	v_dot2_f32_f16 v94, v114, v12, v94
	;;#ASMEND
	;;#ASMSTART
	v_dot2_f32_f16 v91, v111, v103, v91
	;;#ASMEND
	;;#ASMSTART
	v_dot2_f32_f16 v91, v112, v104, v91
	;;#ASMEND
	;;#ASMSTART
	v_dot2_f32_f16 v91, v113, v105, v91
	;;#ASMEND
	;;#ASMSTART
	v_dot2_f32_f16 v91, v114, v106, v91
	;;#ASMEND
	;;#ASMSTART
	v_dot2_f32_f16 v89, v111, v107, v89
	;;#ASMEND
	;;#ASMSTART
	v_dot2_f32_f16 v89, v112, v108, v89
	;;#ASMEND
	;;#ASMSTART
	v_dot2_f32_f16 v89, v113, v109, v89
	;;#ASMEND
	;;#ASMSTART
	v_dot2_f32_f16 v89, v114, v110, v89
	;;#ASMEND
	s_wait_dscnt 0x1
	;;#ASMSTART
	v_dot2_f32_f16 v100, v115, v5, v100
	;;#ASMEND
	;;#ASMSTART
	v_dot2_f32_f16 v100, v116, v6, v100
	;;#ASMEND
	;; [unrolled: 3-line block ×16, first 2 shown]
	s_wait_dscnt 0x0
	;;#ASMSTART
	v_dot2_f32_f16 v102, v119, v5, v102
	;;#ASMEND
	;;#ASMSTART
	v_dot2_f32_f16 v102, v120, v6, v102
	;;#ASMEND
	;; [unrolled: 3-line block ×13, first 2 shown]
	s_cmp_gt_u32 s3, 0x17f
	;;#ASMSTART
	v_dot2_f32_f16 v96, v120, v108, v96
	;;#ASMEND
	s_mov_b32 s10, -1
	;;#ASMSTART
	v_dot2_f32_f16 v96, v121, v109, v96
	;;#ASMEND
	;;#ASMSTART
	v_dot2_f32_f16 v96, v122, v110, v96
	;;#ASMEND
	s_cbranch_scc1 .LBB9_18
; %bb.20:                               ;   in Loop: Header=BB9_19 Depth=2
	s_wait_loadcnt 0x0
	s_barrier_signal -1
	s_barrier_wait -1
	s_addk_co_i32 s3, 0xc0
	s_mov_b32 s10, 0
	global_inv scope:SCOPE_SE
	s_branch .LBB9_18
.LBB9_21:                               ;   in Loop: Header=BB9_17 Depth=1
	v_add_nc_u32_e32 v0, s4, v18
	s_mul_u64 s[26:27], s[4:5], s[14:15]
	s_wait_alu 0xfffe
	s_lshl_b64 s[26:27], s[26:27], 2
	s_wait_alu 0xfffe
	s_add_nc_u64 s[26:27], s[8:9], s[26:27]
	v_ashrrev_i32_e32 v1, 31, v0
	s_delay_alu instid0(VALU_DEP_1) | instskip(NEXT) | instid1(VALU_DEP_1)
	v_lshlrev_b64_e32 v[0:1], 1, v[0:1]
	v_add_co_u32 v3, vcc_lo, s36, v0
	s_wait_alu 0xfffd
	s_delay_alu instid0(VALU_DEP_2)
	v_add_co_ci_u32_e64 v4, null, s37, v1, vcc_lo
	s_clause 0x3
	global_load_u16 v0, v[3:4], off
	global_load_u16 v1, v[3:4], off offset:64
	global_load_u16 v2, v[3:4], off offset:128
	global_load_u16 v3, v[3:4], off offset:192
	s_wait_alu 0xfffe
	v_add_co_u32 v4, vcc_lo, s26, v27
	s_wait_alu 0xfffd
	v_add_co_ci_u32_e64 v5, null, s27, v28, vcc_lo
	s_wait_loadcnt 0x0
	s_barrier_signal -1
	s_barrier_wait -1
	global_inv scope:SCOPE_SE
	v_cvt_f32_f16_e32 v0, v0
	v_lshlrev_b32_e32 v78, 2, v31
	v_cvt_f32_f16_e32 v1, v1
	v_cvt_f32_f16_e32 v2, v2
	;; [unrolled: 1-line block ×3, first 2 shown]
	v_add_f32_e32 v15, v93, v0
	v_add_co_u32 v4, vcc_lo, v4, v78
	s_wait_alu 0xfffd
	v_add_co_ci_u32_e64 v5, null, 0, v5, vcc_lo
	v_dual_add_f32 v97, v97, v1 :: v_dual_add_f32 v102, v102, v3
	s_clause 0x1
	global_load_b128 v[9:12], v[4:5], off
	global_load_b128 v[103:106], v[4:5], off offset:512
	v_xor_b32_e32 v4, 16, v34
	v_dual_add_f32 v107, v90, v0 :: v_dual_add_f32 v110, v91, v1
	v_dual_add_f32 v108, v94, v1 :: v_dual_add_f32 v101, v101, v3
	s_delay_alu instid0(VALU_DEP_3)
	v_cmp_gt_i32_e32 vcc_lo, 32, v4
	v_dual_add_f32 v98, v98, v2 :: v_dual_add_f32 v109, v88, v0
	v_dual_add_f32 v95, v95, v2 :: v_dual_add_f32 v112, v89, v1
	s_wait_alu 0xfffd
	v_cndmask_b32_e32 v5, v34, v4, vcc_lo
	v_dual_add_f32 v111, v87, v0 :: v_dual_add_f32 v96, v96, v3
	v_add_f32_e32 v100, v100, v2
	v_dual_add_f32 v113, v92, v2 :: v_dual_add_f32 v0, 0x40051340, v15
	s_delay_alu instid0(VALU_DEP_4) | instskip(SKIP_1) | instid1(VALU_DEP_4)
	v_lshlrev_b32_e32 v5, 2, v5
	v_dual_add_f32 v1, 0x40051340, v97 :: v_dual_add_f32 v6, 0x40051340, v107
	v_dual_add_f32 v99, v99, v3 :: v_dual_add_f32 v2, 0x40051340, v100
	;; [unrolled: 1-line block ×4, first 2 shown]
	s_delay_alu instid0(VALU_DEP_4) | instskip(SKIP_1) | instid1(VALU_DEP_3)
	v_max3_num_f32 v0, v83, v0, v1
	v_dual_add_f32 v13, 0x40051340, v101 :: v_dual_add_f32 v88, 0x40051340, v95
	v_max3_num_f32 v6, v86, v6, v7
	v_dual_add_f32 v87, 0x40051340, v110 :: v_dual_add_f32 v90, 0x40051340, v111
	s_delay_alu instid0(VALU_DEP_4) | instskip(SKIP_1) | instid1(VALU_DEP_4)
	v_max3_num_f32 v0, v0, v2, v3
	v_add_f32_e32 v91, 0x40051340, v112
	v_max3_num_f32 v2, v6, v8, v13
	v_dual_add_f32 v89, 0x40051340, v99 :: v_dual_add_f32 v92, 0x40051340, v113
	ds_bpermute_b32 v6, v5, v0
	v_add_f32_e32 v1, 0x40051340, v96
	v_max3_num_f32 v7, v85, v14, v87
	v_max3_num_f32 v14, v84, v90, v91
	s_delay_alu instid0(VALU_DEP_2)
	v_max3_num_f32 v3, v7, v88, v89
	ds_bpermute_b32 v7, v5, v2
	ds_bpermute_b32 v8, v5, v3
	s_wait_dscnt 0x2
	v_max_num_f32_e32 v6, v6, v6
	v_max3_num_f32 v1, v14, v92, v1
	ds_bpermute_b32 v13, v5, v1
	v_xor_b32_e32 v5, 8, v34
	s_wait_dscnt 0x2
	v_max_num_f32_e32 v7, v7, v7
	s_delay_alu instid0(VALU_DEP_2)
	v_cmp_gt_i32_e32 vcc_lo, 32, v5
	s_wait_dscnt 0x1
	v_max_num_f32_e32 v8, v8, v8
	s_wait_alu 0xfffd
	v_cndmask_b32_e32 v14, v34, v5, vcc_lo
	s_wait_dscnt 0x0
	s_delay_alu instid0(VALU_DEP_1) | instskip(SKIP_3) | instid1(VALU_DEP_4)
	v_dual_max_num_f32 v13, v13, v13 :: v_dual_lshlrev_b32 v14, 2, v14
	v_dual_max_num_f32 v0, v0, v6 :: v_dual_max_num_f32 v3, v3, v8
	v_max_num_f32_e32 v2, v2, v7
	v_xor_b32_e32 v6, 4, v34
	v_max_num_f32_e32 v1, v1, v13
	ds_bpermute_b32 v7, v14, v0
	ds_bpermute_b32 v13, v14, v3
	;; [unrolled: 1-line block ×3, first 2 shown]
	v_cmp_gt_i32_e32 vcc_lo, 32, v6
	ds_bpermute_b32 v14, v14, v1
	s_wait_alu 0xfffd
	v_cndmask_b32_e32 v87, v34, v6, vcc_lo
	s_wait_dscnt 0x1
	v_dual_max_num_f32 v7, v7, v7 :: v_dual_max_num_f32 v8, v8, v8
	s_wait_dscnt 0x0
	s_delay_alu instid0(VALU_DEP_2) | instskip(NEXT) | instid1(VALU_DEP_2)
	v_dual_max_num_f32 v14, v14, v14 :: v_dual_lshlrev_b32 v87, 2, v87
	v_dual_max_num_f32 v13, v13, v13 :: v_dual_max_num_f32 v0, v0, v7
	s_delay_alu instid0(VALU_DEP_3)
	v_max_num_f32_e32 v2, v2, v8
	v_xor_b32_e32 v7, 2, v34
	ds_bpermute_b32 v8, v87, v0
	v_max_num_f32_e32 v1, v1, v14
	v_cmp_gt_i32_e32 vcc_lo, 32, v7
	v_max_num_f32_e32 v3, v3, v13
	ds_bpermute_b32 v13, v87, v2
	s_wait_alu 0xfffd
	v_cndmask_b32_e32 v88, v34, v7, vcc_lo
	ds_bpermute_b32 v14, v87, v3
	v_lshlrev_b32_e32 v88, 2, v88
	s_wait_dscnt 0x2
	v_max_num_f32_e32 v8, v8, v8
	ds_bpermute_b32 v87, v87, v1
	s_wait_dscnt 0x1
	v_dual_max_num_f32 v13, v13, v13 :: v_dual_max_num_f32 v14, v14, v14
	s_wait_dscnt 0x0
	v_dual_max_num_f32 v87, v87, v87 :: v_dual_max_num_f32 v0, v0, v8
	s_delay_alu instid0(VALU_DEP_2) | instskip(SKIP_1) | instid1(VALU_DEP_3)
	v_dual_max_num_f32 v3, v3, v14 :: v_dual_max_num_f32 v2, v2, v13
	v_xor_b32_e32 v8, 1, v34
	v_max_num_f32_e32 v1, v1, v87
	ds_bpermute_b32 v13, v88, v0
	ds_bpermute_b32 v87, v88, v3
	;; [unrolled: 1-line block ×3, first 2 shown]
	v_cmp_gt_i32_e32 vcc_lo, 32, v8
	ds_bpermute_b32 v88, v88, v1
	s_wait_dscnt 0x1
	v_dual_max_num_f32 v13, v13, v13 :: v_dual_max_num_f32 v14, v14, v14
	s_wait_alu 0xfffd
	v_cndmask_b32_e32 v89, v34, v8, vcc_lo
	s_delay_alu instid0(VALU_DEP_2) | instskip(SKIP_2) | instid1(VALU_DEP_3)
	v_dual_max_num_f32 v87, v87, v87 :: v_dual_max_num_f32 v114, v0, v13
	s_wait_dscnt 0x0
	v_max_num_f32_e32 v88, v88, v88
	v_dual_max_num_f32 v2, v2, v14 :: v_dual_lshlrev_b32 v89, 2, v89
	s_delay_alu instid0(VALU_DEP_3)
	v_dual_max_num_f32 v3, v3, v87 :: v_dual_add_nc_u32 v14, 0x9000, v32
	v_add_co_u32 v0, vcc_lo, s26, v29
	ds_bpermute_b32 v87, v89, v114
	v_max_num_f32_e32 v115, v1, v88
	ds_bpermute_b32 v116, v89, v2
	ds_bpermute_b32 v117, v89, v3
	s_wait_alu 0xfffd
	v_add_co_ci_u32_e64 v1, null, s27, v30, vcc_lo
	v_add_co_u32 v0, vcc_lo, v0, v78
	v_add_nc_u32_e32 v119, v40, v32
	s_wait_alu 0xfffd
	s_delay_alu instid0(VALU_DEP_3)
	v_add_co_ci_u32_e64 v1, null, 0, v1, vcc_lo
	s_or_b32 s26, s4, 16
	s_wait_alu 0xfffe
	s_ashr_i32 s27, s26, 31
	s_wait_alu 0xfffe
	s_mul_u64 s[26:27], s[26:27], s[14:15]
	s_wait_alu 0xfffe
	s_lshl_b64 s[26:27], s[26:27], 2
	s_wait_alu 0xfffe
	s_add_nc_u64 s[26:27], s[8:9], s[26:27]
	s_wait_dscnt 0x2
	v_max_num_f32_e32 v120, v87, v87
	ds_bpermute_b32 v118, v89, v115
	s_clause 0x1
	global_load_b128 v[87:90], v[0:1], off
	global_load_b128 v[91:94], v[0:1], off offset:512
	s_wait_dscnt 0x1
	v_dual_max_num_f32 v1, v116, v116 :: v_dual_max_num_f32 v116, v117, v117
	s_wait_loadcnt 0x3
	ds_store_b128 v41, v[9:12]
	s_wait_loadcnt 0x2
	ds_store_b128 v42, v[103:106]
	s_wait_dscnt 0x2
	v_max_num_f32_e32 v117, v118, v118
	v_max_num_f32_e32 v0, v114, v120
	v_dual_max_num_f32 v1, v2, v1 :: v_dual_max_num_f32 v2, v3, v116
	s_delay_alu instid0(VALU_DEP_3) | instskip(NEXT) | instid1(VALU_DEP_3)
	v_max_num_f32_e32 v3, v115, v117
	v_sub_f32_e32 v10, v15, v0
	v_add_nc_u32_e32 v13, 0x9800, v32
	s_delay_alu instid0(VALU_DEP_4) | instskip(NEXT) | instid1(VALU_DEP_4)
	v_dual_sub_f32 v9, v83, v0 :: v_dual_sub_f32 v98, v98, v1
	v_dual_sub_f32 v11, v97, v0 :: v_dual_sub_f32 v84, v84, v3
	;; [unrolled: 1-line block ×3, first 2 shown]
	v_sub_f32_e32 v86, v107, v1
	v_dual_sub_f32 v97, v108, v1 :: v_dual_mul_f32 v106, 0x3fb8aa3b, v10
	v_dual_sub_f32 v85, v85, v2 :: v_dual_sub_f32 v104, v112, v3
	s_delay_alu instid0(VALU_DEP_4) | instskip(NEXT) | instid1(VALU_DEP_3)
	v_dual_sub_f32 v95, v95, v2 :: v_dual_mul_f32 v108, 0x3fb8aa3b, v12
	v_dual_sub_f32 v103, v111, v3 :: v_dual_mul_f32 v112, 0x3fb8aa3b, v97
	s_delay_alu instid0(VALU_DEP_2)
	v_dual_mul_f32 v111, 0x3fb8aa3b, v86 :: v_dual_mul_f32 v118, 0x3fb8aa3b, v95
	v_fma_f32 v127, 0x3fb8aa3b, v10, -v106
	v_rndne_f32_e32 v128, v106
	v_mul_f32_e32 v121, 0x3fb8aa3b, v85
	v_rndne_f32_e32 v132, v108
	v_fma_f32 v137, 0x3fb8aa3b, v86, -v111
	s_delay_alu instid0(VALU_DEP_4) | instskip(SKIP_2) | instid1(VALU_DEP_4)
	v_dual_fmac_f32 v127, 0x32a5705f, v10 :: v_dual_sub_f32 v106, v106, v128
	v_sub_f32_e32 v99, v99, v2
	v_fma_f32 v131, 0x3fb8aa3b, v12, -v108
	v_dual_sub_f32 v108, v108, v132 :: v_dual_fmac_f32 v137, 0x32a5705f, v86
	s_delay_alu instid0(VALU_DEP_4)
	v_add_f32_e32 v106, v106, v127
	v_dual_sub_f32 v15, v102, v0 :: v_dual_sub_f32 v100, v101, v1
	v_dual_sub_f32 v102, v110, v2 :: v_dual_sub_f32 v105, v113, v3
	v_dual_mul_f32 v110, 0x3fb8aa3b, v9 :: v_dual_mul_f32 v113, 0x3fb8aa3b, v98
	v_mul_f32_e32 v120, 0x3fb8aa3b, v99
	v_exp_f32_e32 v106, v106
	v_dual_mul_f32 v115, 0x3fb8aa3b, v83 :: v_dual_mul_f32 v126, 0x3fb8aa3b, v84
	v_cvt_i32_f32_e32 v128, v128
	s_delay_alu instid0(VALU_DEP_3)
	v_fma_f32 v153, 0x3fb8aa3b, v99, -v120
	v_rndne_f32_e32 v154, v120
	v_mul_f32_e32 v123, 0x3fb8aa3b, v104
	v_fma_f32 v145, 0x3fb8aa3b, v83, -v115
	v_cmp_ngt_f32_e32 vcc_lo, 0xc2ce8ed0, v10
	v_dual_sub_f32 v101, v109, v2 :: v_dual_sub_f32 v96, v96, v3
	v_sub_f32_e32 v120, v120, v154
	v_ldexp_f32 v106, v106, v128
	v_fmac_f32_e32 v153, 0x32a5705f, v99
	s_delay_alu instid0(VALU_DEP_4)
	v_dual_mul_f32 v107, 0x3fb8aa3b, v11 :: v_dual_mul_f32 v116, 0x3fb8aa3b, v101
	v_mul_f32_e32 v114, 0x3fb8aa3b, v100
	s_wait_alu 0xfffd
	v_dual_cndmask_b32 v106, 0, v106 :: v_dual_fmac_f32 v145, 0x32a5705f, v83
	v_add_f32_e32 v120, v120, v153
	v_fma_f32 v129, 0x3fb8aa3b, v11, -v107
	v_rndne_f32_e32 v130, v107
	v_dual_mul_f32 v109, 0x3fb8aa3b, v15 :: v_dual_mul_f32 v124, 0x3fb8aa3b, v105
	s_delay_alu instid0(VALU_DEP_4)
	v_exp_f32_e32 v120, v120
	v_rndne_f32_e32 v136, v110
	v_rndne_f32_e32 v140, v112
	v_fmac_f32_e32 v129, 0x32a5705f, v11
	v_sub_f32_e32 v107, v107, v130
	v_cvt_i32_f32_e32 v154, v154
	v_fma_f32 v133, 0x3fb8aa3b, v15, -v109
	v_rndne_f32_e32 v134, v109
	v_fma_f32 v135, 0x3fb8aa3b, v9, -v110
	v_rndne_f32_e32 v138, v111
	;; [unrolled: 2-line block ×3, first 2 shown]
	v_fmac_f32_e32 v131, 0x32a5705f, v12
	v_sub_f32_e32 v110, v110, v136
	v_sub_f32_e32 v112, v112, v140
	v_ldexp_f32 v120, v120, v154
	v_add_f32_e32 v107, v107, v129
	v_rndne_f32_e32 v144, v114
	v_rndne_f32_e32 v148, v116
	v_fma_f32 v161, 0x3fb8aa3b, v105, -v124
	v_fmac_f32_e32 v133, 0x32a5705f, v15
	v_sub_f32_e32 v109, v109, v134
	v_sub_f32_e32 v124, v124, v162
	v_dual_sub_f32 v111, v111, v138 :: v_dual_add_f32 v108, v108, v131
	v_exp_f32_e32 v107, v107
	v_fma_f32 v141, 0x3fb8aa3b, v98, -v113
	v_fma_f32 v143, 0x3fb8aa3b, v100, -v114
	;; [unrolled: 1-line block ×3, first 2 shown]
	v_rndne_f32_e32 v152, v118
	v_cvt_i32_f32_e32 v130, v130
	v_dual_fmac_f32 v135, 0x32a5705f, v9 :: v_dual_sub_f32 v114, v114, v144
	v_dual_sub_f32 v116, v116, v148 :: v_dual_add_f32 v109, v109, v133
	v_exp_f32_e32 v108, v108
	v_fma_f32 v151, 0x3fb8aa3b, v95, -v118
	v_cvt_i32_f32_e32 v132, v132
	v_dual_sub_f32 v118, v118, v152 :: v_dual_fmac_f32 v141, 0x32a5705f, v98
	v_add_f32_e32 v110, v110, v135
	v_exp_f32_e32 v109, v109
	v_ldexp_f32 v107, v107, v130
	v_cmp_ngt_f32_e32 vcc_lo, 0xc2ce8ed0, v11
	v_rndne_f32_e32 v142, v113
	v_fma_f32 v155, 0x3fb8aa3b, v85, -v121
	v_rndne_f32_e32 v166, v126
	v_cvt_i32_f32_e32 v134, v134
	v_fmac_f32_e32 v139, 0x32a5705f, v97
	v_add_f32_e32 v111, v111, v137
	v_exp_f32_e32 v110, v110
	v_ldexp_f32 v108, v108, v132
	s_wait_alu 0xfffd
	v_cndmask_b32_e32 v107, 0, v107, vcc_lo
	v_cmp_ngt_f32_e32 vcc_lo, 0xc2ce8ed0, v12
	v_fma_f32 v165, 0x3fb8aa3b, v84, -v126
	v_cvt_i32_f32_e32 v136, v136
	v_dual_fmac_f32 v155, 0x32a5705f, v85 :: v_dual_sub_f32 v126, v126, v166
	v_dual_sub_f32 v113, v113, v142 :: v_dual_add_f32 v112, v112, v139
	v_exp_f32_e32 v111, v111
	v_ldexp_f32 v109, v109, v134
	s_wait_alu 0xfffd
	v_cndmask_b32_e32 v108, 0, v108, vcc_lo
	v_cmp_ngt_f32_e32 vcc_lo, 0xc2ce8ed0, v15
	v_rndne_f32_e32 v156, v121
	v_cvt_i32_f32_e32 v138, v138
	v_fmac_f32_e32 v165, 0x32a5705f, v84
	v_fmac_f32_e32 v151, 0x32a5705f, v95
	v_exp_f32_e32 v112, v112
	v_ldexp_f32 v110, v110, v136
	s_wait_alu 0xfffd
	v_cndmask_b32_e32 v109, 0, v109, vcc_lo
	v_cmp_ngt_f32_e32 vcc_lo, 0xc2ce8ed0, v9
	v_dual_mul_f32 v117, 0x3fb8aa3b, v102 :: v_dual_mul_f32 v122, 0x3fb8aa3b, v103
	v_rndne_f32_e32 v146, v115
	v_cvt_i32_f32_e32 v140, v140
	s_wait_alu 0xfffd
	v_dual_sub_f32 v121, v121, v156 :: v_dual_cndmask_b32 v110, 0, v110
	v_add_f32_e32 v113, v113, v141
	v_add_f32_e32 v126, v126, v165
	v_dual_fmac_f32 v147, 0x32a5705f, v101 :: v_dual_add_f32 v118, v118, v151
	v_fmac_f32_e32 v143, 0x32a5705f, v100
	v_ldexp_f32 v111, v111, v138
	v_cmp_ngt_f32_e32 vcc_lo, 0xc2ce8ed0, v86
	v_fma_f32 v157, 0x3fb8aa3b, v103, -v122
	v_dual_add_f32 v116, v116, v147 :: v_dual_sub_f32 v115, v115, v146
	v_add_f32_e32 v114, v114, v143
	v_exp_f32_e32 v113, v113
	v_ldexp_f32 v112, v112, v140
	s_wait_alu 0xfffd
	v_cndmask_b32_e32 v111, 0, v111, vcc_lo
	v_cmp_ngt_f32_e32 vcc_lo, 0xc2ce8ed0, v97
	v_cvt_i32_f32_e32 v142, v142
	v_fmac_f32_e32 v157, 0x32a5705f, v103
	v_exp_f32_e32 v114, v114
	v_cvt_i32_f32_e32 v144, v144
	s_wait_alu 0xfffd
	v_dual_cndmask_b32 v112, 0, v112 :: v_dual_add_f32 v115, v115, v145
	v_ldexp_f32 v113, v113, v142
	v_cmp_ngt_f32_e32 vcc_lo, 0xc2ce8ed0, v98
	v_fma_f32 v159, 0x3fb8aa3b, v104, -v123
	v_cvt_i32_f32_e32 v146, v146
	v_exp_f32_e32 v115, v115
	v_exp_f32_e32 v116, v116
	v_ldexp_f32 v114, v114, v144
	s_wait_alu 0xfffd
	v_cndmask_b32_e32 v113, 0, v113, vcc_lo
	v_cmp_ngt_f32_e32 vcc_lo, 0xc2ce8ed0, v100
	v_cvt_i32_f32_e32 v148, v148
	v_fmac_f32_e32 v159, 0x32a5705f, v104
	v_fma_f32 v149, 0x3fb8aa3b, v102, -v117
	v_rndne_f32_e32 v150, v117
	s_wait_alu 0xfffd
	v_cndmask_b32_e32 v114, 0, v114, vcc_lo
	v_ldexp_f32 v115, v115, v146
	v_cmp_ngt_f32_e32 vcc_lo, 0xc2ce8ed0, v83
	v_rndne_f32_e32 v158, v122
	v_ldexp_f32 v116, v116, v148
	v_mul_f32_e32 v125, 0x3fb8aa3b, v96
	v_exp_f32_e32 v118, v118
	s_wait_alu 0xfffd
	v_cndmask_b32_e32 v115, 0, v115, vcc_lo
	v_cmp_ngt_f32_e32 vcc_lo, 0xc2ce8ed0, v101
	v_sub_f32_e32 v122, v122, v158
	v_fmac_f32_e32 v149, 0x32a5705f, v102
	v_fmac_f32_e32 v161, 0x32a5705f, v105
	v_cvt_i32_f32_e32 v152, v152
	s_wait_alu 0xfffd
	v_dual_cndmask_b32 v116, 0, v116 :: v_dual_sub_f32 v117, v117, v150
	v_add_f32_e32 v122, v122, v157
	v_add_f32_e32 v124, v124, v161
	v_cvt_i32_f32_e32 v150, v150
	v_cmp_ngt_f32_e32 vcc_lo, 0xc2ce8ed0, v102
	v_add_f32_e32 v117, v117, v149
	v_rndne_f32_e32 v160, v123
	v_ldexp_f32 v118, v118, v152
	v_cvt_i32_f32_e32 v156, v156
	v_exp_f32_e32 v122, v122
	v_exp_f32_e32 v117, v117
	v_cvt_i32_f32_e32 v158, v158
	v_fma_f32 v163, 0x3fb8aa3b, v96, -v125
	v_exp_f32_e32 v124, v124
	v_exp_f32_e32 v126, v126
	v_rndne_f32_e32 v164, v125
	v_cvt_i32_f32_e32 v162, v162
	v_cvt_i32_f32_e32 v166, v166
	v_ldexp_f32 v122, v122, v158
	s_delay_alu instid0(TRANS32_DEP_3)
	v_ldexp_f32 v117, v117, v150
	s_delay_alu instid0(TRANS32_DEP_2) | instid1(VALU_DEP_4)
	v_ldexp_f32 v124, v124, v162
	s_delay_alu instid0(TRANS32_DEP_1) | instid1(VALU_DEP_4)
	v_ldexp_f32 v126, v126, v166
	s_wait_alu 0xfffd
	s_delay_alu instid0(VALU_DEP_3)
	v_cndmask_b32_e32 v117, 0, v117, vcc_lo
	v_add_f32_e32 v121, v121, v155
	v_cmp_ngt_f32_e32 vcc_lo, 0xc2ce8ed0, v95
	v_sub_f32_e32 v123, v123, v160
	v_cvt_i32_f32_e32 v160, v160
	v_sub_f32_e32 v125, v125, v164
	v_exp_f32_e32 v121, v121
	s_wait_alu 0xfffd
	v_cndmask_b32_e32 v118, 0, v118, vcc_lo
	v_cmp_ngt_f32_e32 vcc_lo, 0xc2ce8ed0, v99
	v_cvt_i32_f32_e32 v164, v164
	s_wait_alu 0xfffd
	v_cndmask_b32_e32 v120, 0, v120, vcc_lo
	v_cmp_ngt_f32_e32 vcc_lo, 0xc2ce8ed0, v85
	s_delay_alu instid0(TRANS32_DEP_1) | instskip(SKIP_1) | instid1(VALU_DEP_1)
	v_ldexp_f32 v121, v121, v156
	s_wait_alu 0xfffd
	v_cndmask_b32_e32 v121, 0, v121, vcc_lo
	v_add_f32_e32 v123, v123, v159
	v_cmp_ngt_f32_e32 vcc_lo, 0xc2ce8ed0, v103
	v_fmac_f32_e32 v163, 0x32a5705f, v96
	s_delay_alu instid0(VALU_DEP_3) | instskip(SKIP_3) | instid1(TRANS32_DEP_1)
	v_exp_f32_e32 v123, v123
	s_wait_alu 0xfffd
	v_cndmask_b32_e32 v122, 0, v122, vcc_lo
	v_cmp_ngt_f32_e32 vcc_lo, 0xc2ce8ed0, v104
	v_ldexp_f32 v123, v123, v160
	s_wait_alu 0xfffd
	s_delay_alu instid0(VALU_DEP_1) | instskip(SKIP_4) | instid1(VALU_DEP_2)
	v_cndmask_b32_e32 v123, 0, v123, vcc_lo
	v_cmp_ngt_f32_e32 vcc_lo, 0xc2ce8ed0, v105
	s_wait_alu 0xfffd
	v_dual_cndmask_b32 v124, 0, v124 :: v_dual_add_f32 v125, v125, v163
	v_cmp_ngt_f32_e32 vcc_lo, 0xc2ce8ed0, v96
	v_exp_f32_e32 v125, v125
	s_delay_alu instid0(TRANS32_DEP_1) | instskip(SKIP_1) | instid1(VALU_DEP_1)
	v_ldexp_f32 v125, v125, v164
	s_wait_alu 0xfffd
	v_cndmask_b32_e32 v125, 0, v125, vcc_lo
	v_cmp_ngt_f32_e32 vcc_lo, 0xc2ce8ed0, v84
	s_wait_alu 0xfffd
	v_cndmask_b32_e32 v126, 0, v126, vcc_lo
	v_cmp_nlt_f32_e32 vcc_lo, 0x42b17218, v10
	s_wait_alu 0xfffd
	v_cndmask_b32_e32 v10, 0x7f800000, v106, vcc_lo
	v_cmp_nlt_f32_e32 vcc_lo, 0x42b17218, v11
	;; [unrolled: 3-line block ×7, first 2 shown]
	s_delay_alu instid0(VALU_DEP_2) | instskip(SKIP_3) | instid1(VALU_DEP_2)
	v_cvt_f16_f32_e32 v106, v9
	s_wait_alu 0xfffd
	v_cndmask_b32_e32 v86, 0x7f800000, v112, vcc_lo
	v_cmp_nlt_f32_e32 vcc_lo, 0x42b17218, v98
	v_add_f32_e32 v9, v9, v86
	s_wait_alu 0xfffd
	v_cndmask_b32_e32 v97, 0x7f800000, v113, vcc_lo
	v_cmp_nlt_f32_e32 vcc_lo, 0x42b17218, v100
	v_cvt_f16_f32_e32 v107, v86
	s_delay_alu instid0(VALU_DEP_3) | instskip(SKIP_4) | instid1(VALU_DEP_3)
	v_cvt_f16_f32_e32 v108, v97
	s_wait_alu 0xfffd
	v_cndmask_b32_e32 v100, 0x7f800000, v114, vcc_lo
	v_cmp_nlt_f32_e32 vcc_lo, 0x42b17218, v83
	v_add_f32_e32 v9, v97, v9
	v_cvt_f16_f32_e32 v109, v100
	s_wait_alu 0xfffd
	v_cndmask_b32_e32 v115, 0x7f800000, v115, vcc_lo
	v_cmp_nlt_f32_e32 vcc_lo, 0x42b17218, v101
	s_delay_alu instid0(VALU_DEP_2) | instskip(SKIP_3) | instid1(VALU_DEP_2)
	v_cvt_f16_f32_e32 v86, v115
	s_wait_alu 0xfffd
	v_cndmask_b32_e32 v83, 0x7f800000, v116, vcc_lo
	v_cmp_nlt_f32_e32 vcc_lo, 0x42b17218, v102
	v_cvt_f16_f32_e32 v110, v83
	s_wait_alu 0xfffd
	v_cndmask_b32_e32 v98, 0x7f800000, v117, vcc_lo
	v_cmp_nlt_f32_e32 vcc_lo, 0x42b17218, v95
	s_delay_alu instid0(VALU_DEP_2) | instskip(SKIP_4) | instid1(VALU_DEP_3)
	v_add_f32_e32 v83, v83, v98
	s_wait_alu 0xfffd
	v_cndmask_b32_e32 v95, 0x7f800000, v118, vcc_lo
	v_cmp_nlt_f32_e32 vcc_lo, 0x42b17218, v99
	v_cvt_f16_f32_e32 v98, v98
	v_cvt_f16_f32_e32 v111, v95
	s_wait_alu 0xfffd
	v_cndmask_b32_e32 v99, 0x7f800000, v120, vcc_lo
	v_cmp_nlt_f32_e32 vcc_lo, 0x42b17218, v85
	s_delay_alu instid0(VALU_DEP_2) | instskip(SKIP_3) | instid1(VALU_DEP_2)
	v_cvt_f16_f32_e32 v112, v99
	s_wait_alu 0xfffd
	v_cndmask_b32_e32 v116, 0x7f800000, v121, vcc_lo
	v_cmp_nlt_f32_e32 vcc_lo, 0x42b17218, v103
	v_cvt_f16_f32_e32 v113, v116
	s_wait_alu 0xfffd
	v_cndmask_b32_e32 v85, 0x7f800000, v122, vcc_lo
	v_cmp_nlt_f32_e32 vcc_lo, 0x42b17218, v104
	v_cvt_f16_f32_e32 v104, v12
	v_and_b32_e32 v113, 0xffff, v113
	s_delay_alu instid0(VALU_DEP_4)
	v_cvt_f16_f32_e32 v114, v85
	s_wait_alu 0xfffd
	v_cndmask_b32_e32 v101, 0x7f800000, v123, vcc_lo
	v_cmp_nlt_f32_e32 vcc_lo, 0x42b17218, v105
	v_cvt_f16_f32_e32 v105, v15
	v_and_b32_e32 v123, 0xffff, v86
	s_wait_alu 0xfffd
	v_dual_add_f32 v85, v85, v101 :: v_dual_cndmask_b32 v102, 0x7f800000, v124
	v_cmp_nlt_f32_e32 vcc_lo, 0x42b17218, v96
	v_cvt_f16_f32_e32 v96, v10
	v_add_f32_e32 v10, v10, v11
	v_cvt_f16_f32_e32 v11, v11
	v_cvt_f16_f32_e32 v101, v101
	s_wait_alu 0xfffd
	v_cndmask_b32_e32 v103, 0x7f800000, v125, vcc_lo
	v_cmp_nlt_f32_e32 vcc_lo, 0x42b17218, v84
	v_cvt_f16_f32_e32 v84, v127
	v_cvt_f16_f32_e32 v118, v102
	v_add_f32_e32 v10, v12, v10
	v_cvt_f16_f32_e32 v120, v103
	v_add_f32_e32 v124, v95, v83
	v_and_b32_e32 v122, 0xffff, v84
	v_add_f32_e32 v102, v102, v85
	v_pack_b32_f16 v84, v110, v114
	v_pack_b32_f16 v83, v96, v106
	;; [unrolled: 1-line block ×8, first 2 shown]
	v_dual_add_f32 v12, v15, v10 :: v_dual_add_f32 v11, v100, v9
	v_add_f32_e32 v10, v99, v124
	v_mul_u32_u24_e32 v120, 0x10001, v113
	v_add_f32_e32 v9, v103, v102
	ds_store_2addr_b64 v119, v[83:84], v[85:86] offset1:32
	ds_store_2addr_b64 v119, v[95:96], v[97:98] offset0:64 offset1:96
	s_wait_loadcnt 0x1
	ds_store_b128 v43, v[87:90]
	s_wait_loadcnt 0x0
	ds_store_b128 v44, v[91:94]
	s_wait_dscnt 0x0
	s_barrier_signal -1
	s_barrier_wait -1
	global_inv scope:SCOPE_SE
	ds_load_2addr_b64 v[83:86], v14 offset1:32
	ds_load_2addr_b64 v[87:90], v14 offset0:64 offset1:96
	ds_load_b128 v[91:94], v40
	ds_load_b128 v[95:98], v40 offset:16
	ds_load_b128 v[99:102], v40 offset:32
	;; [unrolled: 1-line block ×3, first 2 shown]
	ds_load_2addr_b64 v[107:110], v14 offset0:128 offset1:160
	ds_load_2addr_b64 v[111:114], v14 offset0:192 offset1:224
	s_wait_alu 0xfffd
	v_dual_cndmask_b32 v117, 0x7f800000, v126 :: v_dual_fmac_f32 v12, v82, v127
	v_mul_u32_u24_e32 v15, 0x10001, v122
	v_mul_u32_u24_e32 v118, 0x10001, v123
	v_fmac_f32_e32 v11, v81, v115
	s_delay_alu instid0(VALU_DEP_4) | instskip(SKIP_3) | instid1(VALU_DEP_4)
	v_cvt_f16_f32_e32 v121, v117
	v_dual_fmac_f32 v9, v79, v117 :: v_dual_fmac_f32 v10, v80, v116
	v_pk_mul_f16 v76, v76, v15
	v_pk_mul_f16 v69, v69, v118
	v_and_b32_e32 v121, 0xffff, v121
	v_pk_mul_f16 v66, v66, v118
	v_pk_mul_f16 v68, v68, v118
	;; [unrolled: 1-line block ×3, first 2 shown]
	s_wait_dscnt 0x5
	v_lshrrev_b32_e32 v79, 16, v91
	v_and_b32_e32 v82, 0xffff, v92
	v_mul_u32_u24_e32 v121, 0x10001, v121
	v_lshrrev_b32_e32 v80, 16, v92
	v_and_b32_e32 v81, 0xffff, v91
	v_mul_u32_u24_e32 v79, 0x10001, v79
	v_mul_u32_u24_e32 v82, 0x10001, v82
	v_pk_mul_f16 v67, v67, v118
	v_pk_mul_f16 v63, v63, v118
	;; [unrolled: 1-line block ×8, first 2 shown]
	v_lshrrev_b32_e32 v91, 16, v93
	v_lshrrev_b32_e32 v92, 16, v94
	v_and_b32_e32 v93, 0xffff, v93
	v_and_b32_e32 v94, 0xffff, v94
	v_mul_u32_u24_e32 v81, 0x10001, v81
	v_mul_u32_u24_e32 v80, 0x10001, v80
	v_pk_mul_f16 v116, v83, v79
	v_pk_mul_f16 v117, v83, v82
	;; [unrolled: 1-line block ×18, first 2 shown]
	v_mul_u32_u24_e32 v93, 0x10001, v93
	v_mul_u32_u24_e32 v91, 0x10001, v91
	;; [unrolled: 1-line block ×4, first 2 shown]
	v_pk_mul_f16 v115, v83, v81
	v_pk_fma_f16 v52, v83, v80, v52
	v_pk_fma_f16 v76, v84, v81, v76
	;; [unrolled: 1-line block ×31, first 2 shown]
	s_wait_dscnt 0x1
	v_pk_fma_f16 v62, v108, v93, v76
	v_pk_fma_f16 v76, v109, v92, v49
	s_wait_dscnt 0x0
	v_pk_fma_f16 v81, v111, v92, v48
	v_pk_fma_f16 v82, v107, v91, v46
	;; [unrolled: 1-line block ×3, first 2 shown]
	ds_load_2addr_b64 v[46:49], v13 offset1:32
	v_pk_fma_f16 v15, v70, v15, v115
	v_pk_fma_f16 v54, v107, v92, v52
	;; [unrolled: 1-line block ×5, first 2 shown]
	ds_load_2addr_b64 v[50:53], v13 offset0:64 offset1:96
	v_and_b32_e32 v86, 0xffff, v95
	v_lshrrev_b32_e32 v87, 16, v95
	v_and_b32_e32 v88, 0xffff, v96
	v_lshrrev_b32_e32 v89, 16, v96
	v_pk_fma_f16 v69, v108, v91, v69
	v_pk_fma_f16 v61, v108, v94, v61
	v_pk_fma_f16 v75, v109, v93, v75
	v_pk_fma_f16 v66, v109, v91, v66
	v_pk_fma_f16 v58, v109, v94, v58
	v_pk_fma_f16 v77, v110, v93, v77
	v_pk_fma_f16 v68, v110, v91, v68
	v_pk_fma_f16 v60, v110, v94, v60
	v_pk_fma_f16 v15, v107, v93, v15
	v_mul_u32_u24_e32 v86, 0x10001, v86
	v_mul_u32_u24_e32 v87, 0x10001, v87
	;; [unrolled: 1-line block ×4, first 2 shown]
	v_pk_fma_f16 v73, v111, v93, v73
	v_pk_fma_f16 v65, v111, v91, v65
	;; [unrolled: 1-line block ×8, first 2 shown]
	s_wait_dscnt 0x1
	v_pk_fma_f16 v15, v46, v86, v15
	v_pk_fma_f16 v82, v46, v87, v82
	;; [unrolled: 1-line block ×16, first 2 shown]
	ds_load_2addr_b64 v[46:49], v13 offset0:128 offset1:160
	v_pk_fma_f16 v67, v112, v91, v67
	v_pk_fma_f16 v59, v112, v94, v59
	;; [unrolled: 1-line block ×5, first 2 shown]
	s_wait_dscnt 0x1
	v_pk_fma_f16 v73, v50, v86, v73
	v_pk_fma_f16 v65, v50, v87, v65
	;; [unrolled: 1-line block ×10, first 2 shown]
	ds_load_2addr_b64 v[54:57], v13 offset0:192 offset1:224
	v_pk_fma_f16 v67, v51, v87, v67
	v_pk_fma_f16 v59, v51, v88, v59
	v_pk_fma_f16 v63, v52, v87, v63
	v_pk_fma_f16 v83, v52, v89, v83
	v_pk_fma_f16 v64, v53, v87, v64
	v_and_b32_e32 v51, 0xffff, v97
	v_lshrrev_b32_e32 v52, 16, v97
	v_and_b32_e32 v87, 0xffff, v98
	v_lshrrev_b32_e32 v88, 16, v98
	v_pk_fma_f16 v79, v114, v92, v79
	v_mul_u32_u24_e32 v92, 0x10001, v51
	v_mul_u32_u24_e32 v93, 0x10001, v52
	;; [unrolled: 1-line block ×4, first 2 shown]
	v_pk_fma_f16 v79, v53, v89, v79
	s_wait_dscnt 0x1
	v_pk_fma_f16 v62, v47, v92, v62
	v_pk_fma_f16 v69, v47, v93, v69
	;; [unrolled: 1-line block ×12, first 2 shown]
	v_add_nc_u32_e32 v49, 0xa000, v32
	v_pk_fma_f16 v15, v46, v92, v15
	v_pk_fma_f16 v82, v46, v93, v82
	;; [unrolled: 1-line block ×4, first 2 shown]
	s_wait_dscnt 0x0
	v_pk_fma_f16 v73, v54, v92, v73
	v_pk_fma_f16 v65, v54, v93, v65
	;; [unrolled: 1-line block ×4, first 2 shown]
	ds_load_2addr_b64 v[50:53], v49 offset1:32
	v_pk_fma_f16 v91, v55, v87, v59
	ds_load_2addr_b64 v[58:61], v49 offset0:64 offset1:96
	v_pk_fma_f16 v74, v55, v92, v74
	v_pk_fma_f16 v67, v55, v93, v67
	;; [unrolled: 1-line block ×9, first 2 shown]
	v_and_b32_e32 v85, 0xffff, v99
	v_lshrrev_b32_e32 v86, 16, v99
	v_and_b32_e32 v87, 0xffff, v100
	v_lshrrev_b32_e32 v92, 16, v100
	v_pk_fma_f16 v79, v57, v88, v79
	v_mul_u32_u24_e32 v85, 0x10001, v85
	v_mul_u32_u24_e32 v86, 0x10001, v86
	;; [unrolled: 1-line block ×4, first 2 shown]
	v_pk_fma_f16 v64, v57, v93, v64
	s_wait_dscnt 0x1
	v_pk_fma_f16 v15, v50, v85, v15
	v_pk_fma_f16 v82, v50, v86, v82
	;; [unrolled: 1-line block ×16, first 2 shown]
	ds_load_2addr_b64 v[50:53], v49 offset0:128 offset1:160
	s_wait_dscnt 0x1
	v_pk_fma_f16 v73, v58, v85, v73
	v_pk_fma_f16 v65, v58, v86, v65
	;; [unrolled: 1-line block ×12, first 2 shown]
	ds_load_2addr_b64 v[54:57], v49 offset0:192 offset1:224
	v_pk_fma_f16 v72, v61, v85, v72
	v_pk_fma_f16 v64, v61, v86, v64
	;; [unrolled: 1-line block ×3, first 2 shown]
	v_and_b32_e32 v85, 0xffff, v101
	v_lshrrev_b32_e32 v86, 16, v101
	v_and_b32_e32 v87, 0xffff, v102
	v_lshrrev_b32_e32 v91, 16, v102
	v_pk_fma_f16 v79, v61, v92, v79
	v_mul_u32_u24_e32 v85, 0x10001, v85
	v_mul_u32_u24_e32 v86, 0x10001, v86
	;; [unrolled: 1-line block ×4, first 2 shown]
	v_lshrrev_b32_e32 v93, 16, v104
	s_wait_dscnt 0x1
	v_pk_fma_f16 v15, v50, v85, v15
	v_pk_fma_f16 v82, v50, v86, v82
	;; [unrolled: 1-line block ×4, first 2 shown]
	v_add_nc_u32_e32 v50, 0xa800, v32
	v_pk_fma_f16 v62, v51, v85, v62
	v_pk_fma_f16 v69, v51, v86, v69
	;; [unrolled: 1-line block ×12, first 2 shown]
	s_wait_dscnt 0x0
	v_pk_fma_f16 v73, v54, v85, v73
	v_pk_fma_f16 v65, v54, v86, v65
	;; [unrolled: 1-line block ×4, first 2 shown]
	ds_load_2addr_b64 v[51:54], v50 offset1:32
	v_pk_fma_f16 v74, v55, v85, v74
	v_pk_fma_f16 v67, v55, v86, v67
	v_pk_fma_f16 v90, v55, v87, v90
	v_pk_fma_f16 v55, v55, v91, v59
	v_pk_fma_f16 v71, v56, v85, v71
	v_pk_fma_f16 v63, v56, v86, v63
	v_pk_fma_f16 v81, v56, v87, v81
	v_pk_fma_f16 v56, v56, v91, v60
	v_pk_fma_f16 v72, v57, v85, v72
	v_pk_fma_f16 v64, v57, v86, v64
	v_pk_fma_f16 v83, v57, v87, v83
	v_and_b32_e32 v85, 0xffff, v103
	v_lshrrev_b32_e32 v86, 16, v103
	v_and_b32_e32 v87, 0xffff, v104
	ds_load_2addr_b64 v[58:61], v50 offset0:64 offset1:96
	v_mul_u32_u24_e32 v93, 0x10001, v93
	v_mul_u32_u24_e32 v85, 0x10001, v85
	;; [unrolled: 1-line block ×4, first 2 shown]
	v_pk_fma_f16 v79, v57, v91, v79
	s_wait_dscnt 0x1
	v_pk_fma_f16 v46, v51, v93, v46
	v_pk_fma_f16 v15, v51, v85, v15
	;; [unrolled: 1-line block ×16, first 2 shown]
	ds_load_2addr_b64 v[51:54], v50 offset0:128 offset1:160
	s_wait_dscnt 0x1
	v_pk_fma_f16 v161, v60, v86, v63
	v_and_b32_e32 v63, 0xffff, v106
	v_pk_fma_f16 v73, v58, v85, v73
	v_pk_fma_f16 v65, v58, v86, v65
	;; [unrolled: 1-line block ×9, first 2 shown]
	v_and_b32_e32 v59, 0xffff, v105
	ds_load_2addr_b64 v[55:58], v50 offset0:192 offset1:224
	v_mul_u32_u24_e32 v169, 0x10001, v63
	v_pk_fma_f16 v165, v61, v86, v64
	v_lshrrev_b32_e32 v64, 16, v106
	v_mul_u32_u24_e32 v167, 0x10001, v59
	v_pk_fma_f16 v160, v60, v85, v71
	v_pk_fma_f16 v162, v60, v87, v81
	s_wait_dscnt 0x1
	v_pk_fma_f16 v182, v53, v169, v75
	s_wait_alu 0xfffe
	v_add_co_u32 v75, vcc_lo, s26, v27
	v_lshrrev_b32_e32 v60, 16, v105
	v_mul_u32_u24_e32 v170, 0x10001, v64
	v_pk_fma_f16 v184, v54, v167, v76
	s_wait_alu 0xfffd
	v_add_co_ci_u32_e64 v76, null, s27, v28, vcc_lo
	v_add_co_u32 v139, vcc_lo, s26, v29
	s_wait_alu 0xfffd
	v_add_co_ci_u32_e64 v140, null, s27, v30, vcc_lo
	v_add_co_u32 v75, vcc_lo, v75, v78
	v_mul_u32_u24_e32 v168, 0x10001, v60
	v_pk_fma_f16 v172, v51, v167, v15
	v_pk_fma_f16 v175, v51, v170, v46
	v_pk_fma_f16 v183, v53, v170, v48
	v_add_nc_u32_e32 v48, 0xb000, v32
	v_add_nc_u32_e32 v46, 0xc000, v32
	;; [unrolled: 1-line block ×3, first 2 shown]
	s_wait_alu 0xfffd
	v_add_co_ci_u32_e64 v76, null, 0, v76, vcc_lo
	v_add_co_u32 v151, vcc_lo, v139, v78
	v_pk_fma_f16 v179, v52, v170, v47
	v_add_nc_u32_e32 v47, 0xb800, v32
	s_wait_alu 0xfffd
	v_add_co_ci_u32_e64 v152, null, 0, v140, vcc_lo
	v_pk_fma_f16 v164, v61, v85, v72
	v_pk_fma_f16 v166, v61, v87, v83
	;; [unrolled: 1-line block ×13, first 2 shown]
	s_wait_dscnt 0x0
	v_pk_fma_f16 v187, v55, v167, v73
	v_pk_fma_f16 v188, v55, v168, v65
	;; [unrolled: 1-line block ×3, first 2 shown]
	ds_load_2addr_b64 v[51:54], v48 offset1:32
	ds_load_2addr_b64 v[59:62], v48 offset0:64 offset1:96
	ds_load_2addr_b64 v[63:66], v48 offset0:128 offset1:160
	;; [unrolled: 1-line block ×3, first 2 shown]
	ds_load_2addr_b64 v[71:74], v47 offset1:32
	ds_load_2addr_b64 v[79:82], v47 offset0:64 offset1:96
	ds_load_b128 v[83:86], v40 offset:64
	ds_load_b128 v[87:90], v40 offset:80
	ds_load_2addr_b64 v[91:94], v47 offset0:128 offset1:160
	ds_load_2addr_b64 v[95:98], v47 offset0:192 offset1:224
	ds_load_2addr_b64 v[99:102], v46 offset1:32
	ds_load_2addr_b64 v[103:106], v46 offset0:64 offset1:96
	ds_load_2addr_b64 v[107:110], v46 offset0:128 offset1:160
	;; [unrolled: 1-line block ×3, first 2 shown]
	ds_load_2addr_b64 v[115:118], v15 offset1:32
	ds_load_2addr_b64 v[119:122], v15 offset0:64 offset1:96
	ds_load_b128 v[123:126], v40 offset:96
	ds_load_b128 v[127:130], v40 offset:112
	ds_load_2addr_b64 v[131:134], v15 offset0:128 offset1:160
	ds_load_2addr_b64 v[135:138], v15 offset0:192 offset1:224
	s_wait_loadcnt_dscnt 0x0
	s_barrier_signal -1
	s_barrier_wait -1
	global_inv scope:SCOPE_SE
	s_clause 0x3
	global_load_b128 v[139:142], v[75:76], off
	global_load_b128 v[143:146], v[75:76], off offset:512
	global_load_b128 v[147:150], v[151:152], off
	global_load_b128 v[151:154], v[151:152], off offset:512
	v_pk_fma_f16 v55, v55, v170, v155
	v_pk_fma_f16 v76, v56, v168, v157
	;; [unrolled: 1-line block ×6, first 2 shown]
	v_and_b32_e32 v161, 0xffff, v83
	v_lshrrev_b32_e32 v83, 16, v83
	v_and_b32_e32 v162, 0xffff, v84
	v_lshrrev_b32_e32 v84, 16, v84
	v_pk_fma_f16 v56, v56, v170, v159
	v_pk_fma_f16 v156, v57, v167, v160
	v_mul_u32_u24_e32 v161, 0x10001, v161
	v_mul_u32_u24_e32 v83, 0x10001, v83
	;; [unrolled: 1-line block ×4, first 2 shown]
	v_pk_fma_f16 v57, v57, v170, v163
	v_pk_fma_f16 v159, v58, v167, v164
	;; [unrolled: 1-line block ×21, first 2 shown]
	v_and_b32_e32 v157, 0xffff, v85
	v_lshrrev_b32_e32 v85, 16, v85
	v_and_b32_e32 v158, 0xffff, v86
	v_lshrrev_b32_e32 v86, 16, v86
	v_pk_fma_f16 v58, v58, v170, v171
	v_pk_fma_f16 v169, v52, v162, v178
	v_pk_fma_f16 v52, v52, v84, v179
	v_pk_fma_f16 v170, v53, v161, v180
	v_pk_fma_f16 v171, v53, v83, v181
	v_pk_fma_f16 v172, v53, v162, v182
	v_pk_fma_f16 v53, v53, v84, v183
	v_pk_fma_f16 v173, v54, v161, v184
	v_pk_fma_f16 v174, v54, v83, v185
	v_pk_fma_f16 v77, v54, v162, v77
	v_pk_fma_f16 v54, v54, v84, v186
	v_pk_fma_f16 v57, v61, v84, v57
	v_pk_fma_f16 v83, v62, v83, v160
	v_mul_u32_u24_e32 v157, 0x10001, v157
	v_mul_u32_u24_e32 v85, 0x10001, v85
	;; [unrolled: 1-line block ×4, first 2 shown]
	v_pk_fma_f16 v61, v62, v161, v159
	v_pk_fma_f16 v159, v62, v162, v163
	;; [unrolled: 1-line block ×32, first 2 shown]
	v_and_b32_e32 v83, 0xffff, v87
	v_lshrrev_b32_e32 v85, 16, v87
	v_and_b32_e32 v87, 0xffff, v88
	v_lshrrev_b32_e32 v88, 16, v88
	v_pk_fma_f16 v61, v70, v157, v61
	v_mul_u32_u24_e32 v83, 0x10001, v83
	v_mul_u32_u24_e32 v85, 0x10001, v85
	;; [unrolled: 1-line block ×4, first 2 shown]
	v_pk_fma_f16 v155, v70, v158, v159
	v_pk_fma_f16 v59, v80, v83, v59
	;; [unrolled: 1-line block ×5, first 2 shown]
	v_lshrrev_b32_e32 v80, 16, v89
	v_pk_fma_f16 v58, v70, v86, v58
	v_pk_fma_f16 v62, v71, v83, v62
	;; [unrolled: 1-line block ×20, first 2 shown]
	v_mul_u32_u24_e32 v80, 0x10001, v80
	v_pk_fma_f16 v66, v79, v83, v66
	v_pk_fma_f16 v157, v79, v87, v167
	;; [unrolled: 1-line block ×12, first 2 shown]
	v_lshrrev_b32_e32 v80, 16, v123
	v_pk_fma_f16 v76, v81, v87, v76
	v_pk_fma_f16 v57, v81, v88, v57
	v_and_b32_e32 v79, 0xffff, v89
	v_and_b32_e32 v81, 0xffff, v90
	v_mul_u32_u24_e32 v80, 0x10001, v80
	v_pk_fma_f16 v61, v82, v83, v61
	v_lshrrev_b32_e32 v83, 16, v90
	v_pk_fma_f16 v85, v82, v87, v155
	v_mul_u32_u24_e32 v79, 0x10001, v79
	v_mul_u32_u24_e32 v81, 0x10001, v81
	v_pk_fma_f16 v58, v82, v88, v58
	v_and_b32_e32 v88, 0xffff, v124
	v_pk_fma_f16 v70, v99, v80, v70
	v_pk_fma_f16 v71, v100, v80, v71
	;; [unrolled: 1-line block ×8, first 2 shown]
	v_lshrrev_b32_e32 v80, 16, v125
	v_mul_u32_u24_e32 v83, 0x10001, v83
	v_pk_fma_f16 v62, v91, v79, v62
	v_pk_fma_f16 v82, v91, v81, v84
	;; [unrolled: 1-line block ×15, first 2 shown]
	v_and_b32_e32 v79, 0xffff, v123
	v_lshrrev_b32_e32 v89, 16, v124
	v_pk_fma_f16 v81, v98, v81, v85
	v_mul_u32_u24_e32 v85, 0x10001, v88
	v_mul_u32_u24_e32 v80, 0x10001, v80
	v_pk_fma_f16 v51, v91, v83, v51
	v_pk_fma_f16 v52, v92, v83, v52
	;; [unrolled: 1-line block ×7, first 2 shown]
	v_mul_u32_u24_e32 v79, 0x10001, v79
	v_mul_u32_u24_e32 v88, 0x10001, v89
	v_pk_fma_f16 v58, v98, v83, v58
	v_pk_fma_f16 v83, v100, v85, v84
	;; [unrolled: 1-line block ×4, first 2 shown]
	v_and_b32_e32 v87, 0xffff, v126
	v_lshrrev_b32_e32 v89, 16, v126
	v_pk_fma_f16 v70, v107, v80, v70
	v_pk_fma_f16 v71, v108, v80, v71
	;; [unrolled: 1-line block ×8, first 2 shown]
	v_lshrrev_b32_e32 v80, 16, v127
	v_pk_fma_f16 v62, v99, v79, v62
	v_pk_fma_f16 v82, v99, v85, v82
	;; [unrolled: 1-line block ×19, first 2 shown]
	v_and_b32_e32 v79, 0xffff, v125
	v_pk_fma_f16 v81, v106, v85, v81
	v_mul_u32_u24_e32 v85, 0x10001, v87
	v_mul_u32_u24_e32 v87, 0x10001, v89
	v_pk_fma_f16 v58, v106, v88, v58
	v_and_b32_e32 v88, 0xffff, v128
	v_lshrrev_b32_e32 v89, 16, v128
	v_mul_u32_u24_e32 v80, 0x10001, v80
	v_mul_u32_u24_e32 v79, 0x10001, v79
	v_pk_fma_f16 v82, v107, v85, v82
	v_pk_fma_f16 v51, v107, v87, v51
	;; [unrolled: 1-line block ×12, first 2 shown]
	v_mul_u32_u24_e32 v85, 0x10001, v88
	v_mul_u32_u24_e32 v88, 0x10001, v89
	v_pk_fma_f16 v70, v115, v80, v70
	v_pk_fma_f16 v71, v116, v80, v71
	;; [unrolled: 1-line block ×8, first 2 shown]
	v_lshrrev_b32_e32 v80, 16, v130
	v_pk_fma_f16 v62, v107, v79, v62
	v_pk_fma_f16 v63, v108, v79, v63
	;; [unrolled: 1-line block ×11, first 2 shown]
	v_and_b32_e32 v79, 0xffff, v127
	v_pk_fma_f16 v58, v114, v87, v58
	v_pk_fma_f16 v51, v115, v88, v51
	;; [unrolled: 1-line block ×5, first 2 shown]
	v_and_b32_e32 v54, 0xffff, v129
	v_mul_u32_u24_e32 v80, 0x10001, v80
	v_mul_u32_u24_e32 v79, 0x10001, v79
	v_pk_fma_f16 v82, v115, v85, v82
	v_pk_fma_f16 v83, v116, v85, v83
	;; [unrolled: 1-line block ×8, first 2 shown]
	v_mul_u32_u24_e32 v85, 0x10001, v54
	v_pk_fma_f16 v93, v131, v80, v51
	v_pk_fma_f16 v96, v132, v80, v52
	;; [unrolled: 1-line block ×3, first 2 shown]
	s_wait_loadcnt 0x3
	ds_store_b128 v41, v[139:142]
	s_wait_loadcnt 0x2
	ds_store_b128 v42, v[143:146]
	;; [unrolled: 2-line block ×4, first 2 shown]
	s_wait_dscnt 0x0
	s_barrier_signal -1
	s_barrier_wait -1
	global_inv scope:SCOPE_SE
	ds_load_b128 v[51:54], v40 offset:128
	v_pk_fma_f16 v63, v116, v79, v63
	v_pk_fma_f16 v64, v117, v79, v64
	;; [unrolled: 1-line block ×7, first 2 shown]
	v_lshrrev_b32_e32 v57, 16, v129
	v_pk_fma_f16 v88, v122, v88, v58
	v_pk_fma_f16 v94, v132, v85, v63
	;; [unrolled: 1-line block ×4, first 2 shown]
	v_mul_u32_u24_e32 v90, 0x10001, v57
	v_pk_fma_f16 v102, v135, v85, v66
	v_pk_fma_f16 v104, v135, v80, v55
	;; [unrolled: 1-line block ×3, first 2 shown]
	ds_load_2addr_b64 v[55:58], v14 offset1:32
	ds_load_2addr_b64 v[63:66], v14 offset0:64 offset1:96
	v_pk_fma_f16 v62, v115, v79, v62
	v_pk_fma_f16 v59, v120, v79, v59
	v_pk_fma_f16 v60, v121, v79, v60
	v_pk_fma_f16 v61, v122, v79, v61
	v_and_b32_e32 v79, 0xffff, v130
	v_pk_fma_f16 v91, v131, v85, v62
	v_pk_fma_f16 v105, v136, v85, v59
	;; [unrolled: 1-line block ×4, first 2 shown]
	v_mul_u32_u24_e32 v79, 0x10001, v79
	v_pk_fma_f16 v109, v137, v90, v68
	v_pk_fma_f16 v85, v138, v85, v61
	ds_load_b128 v[59:62], v40 offset:144
	s_wait_dscnt 0x3
	v_and_b32_e32 v67, 0xffff, v51
	v_lshrrev_b32_e32 v51, 16, v51
	v_and_b32_e32 v68, 0xffff, v52
	v_lshrrev_b32_e32 v52, 16, v52
	v_pk_fma_f16 v92, v131, v90, v70
	v_pk_fma_f16 v82, v131, v79, v82
	;; [unrolled: 1-line block ×17, first 2 shown]
	v_mul_u32_u24_e32 v81, 0x10001, v67
	v_mul_u32_u24_e32 v51, 0x10001, v51
	;; [unrolled: 1-line block ×4, first 2 shown]
	ds_load_b128 v[67:70], v40 offset:160
	ds_load_b128 v[71:74], v40 offset:176
	s_wait_dscnt 0x4
	v_pk_fma_f16 v91, v55, v81, v91
	v_pk_fma_f16 v92, v55, v51, v92
	;; [unrolled: 1-line block ×16, first 2 shown]
	s_wait_dscnt 0x3
	v_pk_fma_f16 v102, v63, v81, v102
	v_pk_fma_f16 v103, v63, v51, v103
	;; [unrolled: 1-line block ×6, first 2 shown]
	ds_load_2addr_b64 v[55:58], v14 offset0:128 offset1:160
	v_pk_fma_f16 v75, v64, v88, v75
	v_pk_fma_f16 v64, v64, v110, v107
	;; [unrolled: 1-line block ×9, first 2 shown]
	v_and_b32_e32 v88, 0xffff, v53
	v_lshrrev_b32_e32 v89, 16, v53
	v_and_b32_e32 v90, 0xffff, v54
	v_lshrrev_b32_e32 v108, 16, v54
	ds_load_2addr_b64 v[51:54], v14 offset0:192 offset1:224
	v_mul_u32_u24_e32 v88, 0x10001, v88
	v_mul_u32_u24_e32 v89, 0x10001, v89
	;; [unrolled: 1-line block ×4, first 2 shown]
	v_pk_fma_f16 v80, v66, v110, v80
	s_wait_dscnt 0x1
	v_pk_fma_f16 v91, v55, v88, v91
	v_pk_fma_f16 v92, v55, v89, v92
	;; [unrolled: 1-line block ×16, first 2 shown]
	s_wait_dscnt 0x0
	v_pk_fma_f16 v102, v51, v88, v102
	v_pk_fma_f16 v103, v51, v89, v103
	;; [unrolled: 1-line block ×4, first 2 shown]
	ds_load_2addr_b64 v[55:58], v13 offset1:32
	v_pk_fma_f16 v109, v52, v108, v64
	v_pk_fma_f16 v110, v53, v108, v65
	ds_load_2addr_b64 v[63:66], v13 offset0:64 offset1:96
	v_pk_fma_f16 v104, v52, v88, v104
	v_pk_fma_f16 v105, v52, v89, v105
	;; [unrolled: 1-line block ×6, first 2 shown]
	v_and_b32_e32 v52, 0xffff, v59
	v_lshrrev_b32_e32 v53, 16, v59
	v_and_b32_e32 v59, 0xffff, v60
	v_lshrrev_b32_e32 v60, 16, v60
	v_pk_fma_f16 v81, v54, v88, v81
	v_pk_fma_f16 v85, v54, v89, v85
	v_mul_u32_u24_e32 v88, 0x10001, v52
	v_mul_u32_u24_e32 v89, 0x10001, v53
	;; [unrolled: 1-line block ×4, first 2 shown]
	v_pk_fma_f16 v79, v54, v90, v79
	v_pk_fma_f16 v80, v54, v108, v80
	s_wait_dscnt 0x1
	v_pk_fma_f16 v90, v55, v88, v91
	v_pk_fma_f16 v91, v55, v89, v92
	;; [unrolled: 1-line block ×16, first 2 shown]
	s_wait_dscnt 0x0
	v_pk_fma_f16 v101, v63, v88, v102
	v_pk_fma_f16 v102, v63, v89, v103
	;; [unrolled: 1-line block ×4, first 2 shown]
	ds_load_2addr_b64 v[51:54], v13 offset0:128 offset1:160
	ds_load_2addr_b64 v[55:58], v13 offset0:192 offset1:224
	v_pk_fma_f16 v103, v64, v88, v104
	v_pk_fma_f16 v104, v64, v89, v105
	;; [unrolled: 1-line block ×7, first 2 shown]
	v_and_b32_e32 v79, 0xffff, v61
	v_lshrrev_b32_e32 v61, 16, v61
	v_and_b32_e32 v88, 0xffff, v62
	v_lshrrev_b32_e32 v62, 16, v62
	v_pk_fma_f16 v64, v64, v60, v109
	v_pk_fma_f16 v106, v65, v89, v107
	;; [unrolled: 1-line block ×4, first 2 shown]
	v_mul_u32_u24_e32 v79, 0x10001, v79
	v_mul_u32_u24_e32 v61, 0x10001, v61
	;; [unrolled: 1-line block ×4, first 2 shown]
	v_pk_fma_f16 v66, v66, v60, v80
	s_wait_dscnt 0x1
	v_pk_fma_f16 v80, v51, v79, v90
	v_pk_fma_f16 v90, v51, v61, v91
	;; [unrolled: 1-line block ×16, first 2 shown]
	s_wait_dscnt 0x0
	v_pk_fma_f16 v100, v55, v79, v101
	v_pk_fma_f16 v101, v55, v61, v102
	;; [unrolled: 1-line block ×6, first 2 shown]
	ds_load_2addr_b64 v[51:54], v49 offset1:32
	v_pk_fma_f16 v75, v56, v88, v75
	v_pk_fma_f16 v56, v56, v89, v64
	;; [unrolled: 1-line block ×9, first 2 shown]
	ds_load_2addr_b64 v[59:62], v49 offset0:64 offset1:96
	v_and_b32_e32 v85, 0xffff, v67
	v_lshrrev_b32_e32 v67, 16, v67
	v_and_b32_e32 v88, 0xffff, v68
	v_lshrrev_b32_e32 v68, 16, v68
	v_pk_fma_f16 v66, v58, v89, v66
	v_mul_u32_u24_e32 v85, 0x10001, v85
	v_mul_u32_u24_e32 v67, 0x10001, v67
	;; [unrolled: 1-line block ×4, first 2 shown]
	s_or_b32 s26, s4, 32
	s_wait_dscnt 0x1
	v_pk_fma_f16 v80, v51, v85, v80
	v_pk_fma_f16 v89, v51, v67, v90
	v_pk_fma_f16 v82, v51, v88, v82
	v_pk_fma_f16 v90, v51, v68, v91
	v_pk_fma_f16 v91, v52, v85, v92
	v_pk_fma_f16 v92, v52, v67, v93
	v_pk_fma_f16 v83, v52, v88, v83
	v_pk_fma_f16 v93, v52, v68, v94
	v_pk_fma_f16 v94, v53, v85, v95
	v_pk_fma_f16 v95, v53, v67, v96
	v_pk_fma_f16 v84, v53, v88, v84
	v_pk_fma_f16 v96, v53, v68, v97
	v_pk_fma_f16 v97, v54, v85, v98
	v_pk_fma_f16 v98, v54, v67, v99
	v_pk_fma_f16 v77, v54, v88, v77
	v_pk_fma_f16 v87, v54, v68, v87
	s_wait_dscnt 0x0
	v_pk_fma_f16 v99, v59, v85, v100
	v_pk_fma_f16 v100, v59, v67, v101
	;; [unrolled: 1-line block ×6, first 2 shown]
	ds_load_2addr_b64 v[51:54], v49 offset0:128 offset1:160
	v_pk_fma_f16 v75, v60, v88, v75
	v_pk_fma_f16 v60, v60, v68, v56
	v_pk_fma_f16 v64, v61, v85, v64
	v_pk_fma_f16 v102, v61, v67, v103
	v_pk_fma_f16 v76, v61, v88, v76
	v_pk_fma_f16 v61, v61, v68, v57
	ds_load_2addr_b64 v[55:58], v49 offset0:192 offset1:224
	v_pk_fma_f16 v65, v62, v85, v65
	v_pk_fma_f16 v67, v62, v67, v79
	;; [unrolled: 1-line block ×3, first 2 shown]
	v_and_b32_e32 v81, 0xffff, v69
	v_lshrrev_b32_e32 v69, 16, v69
	v_and_b32_e32 v85, 0xffff, v70
	v_lshrrev_b32_e32 v70, 16, v70
	v_pk_fma_f16 v66, v62, v68, v66
	v_mul_u32_u24_e32 v81, 0x10001, v81
	v_mul_u32_u24_e32 v69, 0x10001, v69
	v_mul_u32_u24_e32 v85, 0x10001, v85
	v_mul_u32_u24_e32 v70, 0x10001, v70
	s_wait_alu 0xfffe
	s_ashr_i32 s27, s26, 31
	s_wait_dscnt 0x1
	v_pk_fma_f16 v68, v51, v81, v80
	v_pk_fma_f16 v80, v51, v69, v89
	;; [unrolled: 1-line block ×16, first 2 shown]
	s_wait_dscnt 0x0
	v_pk_fma_f16 v97, v55, v81, v99
	v_pk_fma_f16 v98, v55, v69, v100
	;; [unrolled: 1-line block ×6, first 2 shown]
	ds_load_2addr_b64 v[51:54], v50 offset1:32
	v_pk_fma_f16 v75, v56, v85, v75
	v_pk_fma_f16 v56, v56, v70, v60
	;; [unrolled: 1-line block ×6, first 2 shown]
	ds_load_2addr_b64 v[59:62], v50 offset0:64 offset1:96
	v_pk_fma_f16 v65, v58, v81, v65
	v_pk_fma_f16 v67, v58, v69, v67
	v_pk_fma_f16 v69, v58, v85, v79
	v_and_b32_e32 v79, 0xffff, v71
	v_lshrrev_b32_e32 v71, 16, v71
	v_and_b32_e32 v81, 0xffff, v72
	v_lshrrev_b32_e32 v72, 16, v72
	v_pk_fma_f16 v66, v58, v70, v66
	v_mul_u32_u24_e32 v79, 0x10001, v79
	v_mul_u32_u24_e32 v71, 0x10001, v71
	;; [unrolled: 1-line block ×4, first 2 shown]
	s_wait_alu 0xfffe
	s_mul_u64 s[26:27], s[26:27], s[14:15]
	s_wait_dscnt 0x1
	v_pk_fma_f16 v68, v51, v79, v68
	v_pk_fma_f16 v70, v51, v71, v80
	;; [unrolled: 1-line block ×16, first 2 shown]
	s_wait_dscnt 0x0
	v_pk_fma_f16 v155, v59, v72, v55
	ds_load_2addr_b64 v[51:54], v50 offset0:128 offset1:160
	v_pk_fma_f16 v159, v60, v72, v56
	v_pk_fma_f16 v163, v61, v72, v57
	ds_load_2addr_b64 v[55:58], v50 offset0:192 offset1:224
	s_wait_alu 0xfffe
	s_lshl_b64 s[26:27], s[26:27], 2
	v_pk_fma_f16 v158, v60, v81, v75
	s_wait_alu 0xfffe
	s_add_nc_u64 s[26:27], s[8:9], s[26:27]
	v_pk_fma_f16 v95, v59, v79, v97
	s_wait_alu 0xfffe
	v_add_co_u32 v75, vcc_lo, s26, v27
	v_pk_fma_f16 v96, v59, v71, v98
	v_pk_fma_f16 v86, v59, v81, v86
	;; [unrolled: 1-line block ×7, first 2 shown]
	v_and_b32_e32 v59, 0xffff, v73
	v_lshrrev_b32_e32 v60, 16, v73
	v_and_b32_e32 v61, 0xffff, v74
	v_lshrrev_b32_e32 v63, 16, v74
	s_wait_alu 0xfffd
	v_add_co_ci_u32_e64 v76, null, s27, v28, vcc_lo
	v_add_co_u32 v139, vcc_lo, s26, v29
	s_wait_alu 0xfffd
	v_add_co_ci_u32_e64 v140, null, s27, v30, vcc_lo
	v_add_co_u32 v75, vcc_lo, v75, v78
	v_mul_u32_u24_e32 v167, 0x10001, v59
	v_mul_u32_u24_e32 v168, 0x10001, v60
	;; [unrolled: 1-line block ×4, first 2 shown]
	s_wait_alu 0xfffd
	v_add_co_ci_u32_e64 v76, null, 0, v76, vcc_lo
	v_add_co_u32 v151, vcc_lo, v139, v78
	s_wait_alu 0xfffd
	v_add_co_ci_u32_e64 v152, null, 0, v140, vcc_lo
	v_pk_fma_f16 v164, v62, v79, v65
	v_pk_fma_f16 v165, v62, v71, v67
	;; [unrolled: 1-line block ×4, first 2 shown]
	s_wait_dscnt 0x1
	v_pk_fma_f16 v172, v51, v167, v68
	v_pk_fma_f16 v173, v51, v168, v70
	;; [unrolled: 1-line block ×16, first 2 shown]
	s_wait_dscnt 0x0
	v_pk_fma_f16 v187, v55, v167, v95
	v_pk_fma_f16 v188, v55, v168, v96
	;; [unrolled: 1-line block ×3, first 2 shown]
	ds_load_2addr_b64 v[51:54], v48 offset1:32
	ds_load_2addr_b64 v[59:62], v48 offset0:64 offset1:96
	ds_load_2addr_b64 v[63:66], v48 offset0:128 offset1:160
	;; [unrolled: 1-line block ×3, first 2 shown]
	ds_load_2addr_b64 v[71:74], v47 offset1:32
	ds_load_2addr_b64 v[79:82], v47 offset0:64 offset1:96
	ds_load_b128 v[83:86], v40 offset:192
	ds_load_b128 v[87:90], v40 offset:208
	ds_load_2addr_b64 v[91:94], v47 offset0:128 offset1:160
	ds_load_2addr_b64 v[95:98], v47 offset0:192 offset1:224
	ds_load_2addr_b64 v[99:102], v46 offset1:32
	ds_load_2addr_b64 v[103:106], v46 offset0:64 offset1:96
	ds_load_2addr_b64 v[107:110], v46 offset0:128 offset1:160
	;; [unrolled: 1-line block ×3, first 2 shown]
	ds_load_2addr_b64 v[115:118], v15 offset1:32
	ds_load_2addr_b64 v[119:122], v15 offset0:64 offset1:96
	ds_load_b128 v[123:126], v40 offset:224
	ds_load_b128 v[127:130], v40 offset:240
	ds_load_2addr_b64 v[131:134], v15 offset0:128 offset1:160
	ds_load_2addr_b64 v[135:138], v15 offset0:192 offset1:224
	s_wait_loadcnt_dscnt 0x0
	s_barrier_signal -1
	s_barrier_wait -1
	global_inv scope:SCOPE_SE
	s_clause 0x3
	global_load_b128 v[139:142], v[75:76], off
	global_load_b128 v[143:146], v[75:76], off offset:512
	global_load_b128 v[147:150], v[151:152], off
	global_load_b128 v[151:154], v[151:152], off offset:512
	v_pk_fma_f16 v55, v55, v170, v155
	v_pk_fma_f16 v76, v56, v168, v157
	;; [unrolled: 1-line block ×5, first 2 shown]
	v_and_b32_e32 v161, 0xffff, v83
	v_lshrrev_b32_e32 v83, 16, v83
	v_and_b32_e32 v162, 0xffff, v84
	v_lshrrev_b32_e32 v84, 16, v84
	v_pk_fma_f16 v75, v56, v167, v156
	v_pk_fma_f16 v56, v56, v170, v159
	;; [unrolled: 1-line block ×3, first 2 shown]
	v_mul_u32_u24_e32 v161, 0x10001, v161
	v_mul_u32_u24_e32 v83, 0x10001, v83
	;; [unrolled: 1-line block ×4, first 2 shown]
	v_pk_fma_f16 v57, v57, v170, v163
	v_pk_fma_f16 v159, v58, v167, v164
	;; [unrolled: 1-line block ×21, first 2 shown]
	v_and_b32_e32 v157, 0xffff, v85
	v_lshrrev_b32_e32 v85, 16, v85
	v_and_b32_e32 v158, 0xffff, v86
	v_lshrrev_b32_e32 v86, 16, v86
	v_pk_fma_f16 v58, v58, v170, v171
	v_pk_fma_f16 v169, v52, v162, v178
	;; [unrolled: 1-line block ×13, first 2 shown]
	v_mul_u32_u24_e32 v157, 0x10001, v157
	v_mul_u32_u24_e32 v85, 0x10001, v85
	;; [unrolled: 1-line block ×4, first 2 shown]
	v_pk_fma_f16 v61, v62, v161, v159
	v_pk_fma_f16 v159, v62, v162, v163
	;; [unrolled: 1-line block ×32, first 2 shown]
	v_and_b32_e32 v83, 0xffff, v87
	v_lshrrev_b32_e32 v85, 16, v87
	v_and_b32_e32 v87, 0xffff, v88
	v_lshrrev_b32_e32 v88, 16, v88
	v_pk_fma_f16 v61, v70, v157, v61
	v_mul_u32_u24_e32 v83, 0x10001, v83
	v_mul_u32_u24_e32 v85, 0x10001, v85
	;; [unrolled: 1-line block ×4, first 2 shown]
	v_pk_fma_f16 v155, v70, v158, v159
	v_pk_fma_f16 v59, v80, v83, v59
	v_pk_fma_f16 v67, v80, v85, v67
	v_pk_fma_f16 v75, v80, v87, v75
	v_pk_fma_f16 v56, v80, v88, v56
	v_lshrrev_b32_e32 v80, 16, v89
	v_pk_fma_f16 v58, v70, v86, v58
	v_pk_fma_f16 v62, v71, v83, v62
	;; [unrolled: 1-line block ×20, first 2 shown]
	v_mul_u32_u24_e32 v80, 0x10001, v80
	v_pk_fma_f16 v66, v79, v83, v66
	v_pk_fma_f16 v157, v79, v87, v167
	v_pk_fma_f16 v55, v79, v88, v55
	v_pk_fma_f16 v60, v81, v83, v60
	v_pk_fma_f16 v70, v91, v80, v70
	v_pk_fma_f16 v71, v92, v80, v71
	v_pk_fma_f16 v72, v93, v80, v72
	v_pk_fma_f16 v73, v94, v80, v73
	v_pk_fma_f16 v74, v95, v80, v74
	v_pk_fma_f16 v67, v96, v80, v67
	v_pk_fma_f16 v68, v97, v80, v68
	v_pk_fma_f16 v69, v98, v80, v69
	v_lshrrev_b32_e32 v80, 16, v123
	v_pk_fma_f16 v76, v81, v87, v76
	v_pk_fma_f16 v57, v81, v88, v57
	v_and_b32_e32 v79, 0xffff, v89
	v_and_b32_e32 v81, 0xffff, v90
	v_mul_u32_u24_e32 v80, 0x10001, v80
	v_pk_fma_f16 v61, v82, v83, v61
	v_lshrrev_b32_e32 v83, 16, v90
	v_pk_fma_f16 v85, v82, v87, v155
	v_mul_u32_u24_e32 v79, 0x10001, v79
	v_mul_u32_u24_e32 v81, 0x10001, v81
	v_pk_fma_f16 v58, v82, v88, v58
	v_and_b32_e32 v88, 0xffff, v124
	v_pk_fma_f16 v70, v99, v80, v70
	v_pk_fma_f16 v71, v100, v80, v71
	;; [unrolled: 1-line block ×8, first 2 shown]
	v_lshrrev_b32_e32 v80, 16, v125
	v_mul_u32_u24_e32 v83, 0x10001, v83
	v_pk_fma_f16 v62, v91, v79, v62
	v_pk_fma_f16 v82, v91, v81, v84
	;; [unrolled: 1-line block ×15, first 2 shown]
	v_and_b32_e32 v79, 0xffff, v123
	v_lshrrev_b32_e32 v89, 16, v124
	v_pk_fma_f16 v81, v98, v81, v85
	v_mul_u32_u24_e32 v85, 0x10001, v88
	v_mul_u32_u24_e32 v80, 0x10001, v80
	v_pk_fma_f16 v51, v91, v83, v51
	v_pk_fma_f16 v52, v92, v83, v52
	;; [unrolled: 1-line block ×7, first 2 shown]
	v_mul_u32_u24_e32 v79, 0x10001, v79
	v_mul_u32_u24_e32 v88, 0x10001, v89
	v_pk_fma_f16 v58, v98, v83, v58
	v_pk_fma_f16 v83, v100, v85, v84
	;; [unrolled: 1-line block ×4, first 2 shown]
	v_and_b32_e32 v87, 0xffff, v126
	v_lshrrev_b32_e32 v89, 16, v126
	v_pk_fma_f16 v70, v107, v80, v70
	v_pk_fma_f16 v71, v108, v80, v71
	v_pk_fma_f16 v72, v109, v80, v72
	v_pk_fma_f16 v73, v110, v80, v73
	v_pk_fma_f16 v74, v111, v80, v74
	v_pk_fma_f16 v67, v112, v80, v67
	v_pk_fma_f16 v68, v113, v80, v68
	v_pk_fma_f16 v69, v114, v80, v69
	v_lshrrev_b32_e32 v80, 16, v127
	v_pk_fma_f16 v62, v99, v79, v62
	v_pk_fma_f16 v82, v99, v85, v82
	v_pk_fma_f16 v51, v99, v88, v51
	v_pk_fma_f16 v63, v100, v79, v63
	v_pk_fma_f16 v52, v100, v88, v52
	v_pk_fma_f16 v64, v101, v79, v64
	v_pk_fma_f16 v53, v101, v88, v53
	v_pk_fma_f16 v65, v102, v79, v65
	v_pk_fma_f16 v77, v102, v85, v77
	v_pk_fma_f16 v54, v102, v88, v54
	v_pk_fma_f16 v66, v103, v79, v66
	v_pk_fma_f16 v55, v103, v88, v55
	v_pk_fma_f16 v59, v104, v79, v59
	v_pk_fma_f16 v75, v104, v85, v75
	v_pk_fma_f16 v56, v104, v88, v56
	v_pk_fma_f16 v60, v105, v79, v60
	v_pk_fma_f16 v76, v105, v85, v76
	v_pk_fma_f16 v57, v105, v88, v57
	v_pk_fma_f16 v61, v106, v79, v61
	v_and_b32_e32 v79, 0xffff, v125
	v_pk_fma_f16 v81, v106, v85, v81
	v_mul_u32_u24_e32 v85, 0x10001, v87
	v_mul_u32_u24_e32 v87, 0x10001, v89
	v_pk_fma_f16 v58, v106, v88, v58
	v_and_b32_e32 v88, 0xffff, v128
	v_lshrrev_b32_e32 v89, 16, v128
	v_mul_u32_u24_e32 v80, 0x10001, v80
	v_mul_u32_u24_e32 v79, 0x10001, v79
	v_pk_fma_f16 v82, v107, v85, v82
	v_pk_fma_f16 v51, v107, v87, v51
	;; [unrolled: 1-line block ×12, first 2 shown]
	v_mul_u32_u24_e32 v85, 0x10001, v88
	v_mul_u32_u24_e32 v88, 0x10001, v89
	v_pk_fma_f16 v70, v115, v80, v70
	v_pk_fma_f16 v71, v116, v80, v71
	;; [unrolled: 1-line block ×8, first 2 shown]
	v_lshrrev_b32_e32 v80, 16, v130
	v_pk_fma_f16 v62, v107, v79, v62
	v_pk_fma_f16 v63, v108, v79, v63
	;; [unrolled: 1-line block ×11, first 2 shown]
	v_and_b32_e32 v79, 0xffff, v127
	v_pk_fma_f16 v58, v114, v87, v58
	v_pk_fma_f16 v51, v115, v88, v51
	;; [unrolled: 1-line block ×5, first 2 shown]
	v_and_b32_e32 v54, 0xffff, v129
	v_mul_u32_u24_e32 v80, 0x10001, v80
	v_mul_u32_u24_e32 v79, 0x10001, v79
	v_pk_fma_f16 v82, v115, v85, v82
	v_pk_fma_f16 v83, v116, v85, v83
	;; [unrolled: 1-line block ×8, first 2 shown]
	v_mul_u32_u24_e32 v85, 0x10001, v54
	v_pk_fma_f16 v93, v131, v80, v51
	v_pk_fma_f16 v96, v132, v80, v52
	;; [unrolled: 1-line block ×3, first 2 shown]
	s_wait_loadcnt 0x3
	ds_store_b128 v41, v[139:142]
	s_wait_loadcnt 0x2
	ds_store_b128 v42, v[143:146]
	;; [unrolled: 2-line block ×4, first 2 shown]
	s_wait_dscnt 0x0
	s_barrier_signal -1
	s_barrier_wait -1
	global_inv scope:SCOPE_SE
	ds_load_b128 v[51:54], v40 offset:256
	v_pk_fma_f16 v63, v116, v79, v63
	v_pk_fma_f16 v64, v117, v79, v64
	;; [unrolled: 1-line block ×7, first 2 shown]
	v_lshrrev_b32_e32 v57, 16, v129
	v_pk_fma_f16 v88, v122, v88, v58
	v_pk_fma_f16 v94, v132, v85, v63
	;; [unrolled: 1-line block ×4, first 2 shown]
	v_mul_u32_u24_e32 v90, 0x10001, v57
	v_pk_fma_f16 v102, v135, v85, v66
	v_pk_fma_f16 v104, v135, v80, v55
	;; [unrolled: 1-line block ×3, first 2 shown]
	ds_load_2addr_b64 v[55:58], v14 offset1:32
	ds_load_2addr_b64 v[63:66], v14 offset0:64 offset1:96
	v_pk_fma_f16 v62, v115, v79, v62
	v_pk_fma_f16 v59, v120, v79, v59
	;; [unrolled: 1-line block ×4, first 2 shown]
	v_and_b32_e32 v79, 0xffff, v130
	v_pk_fma_f16 v91, v131, v85, v62
	v_pk_fma_f16 v105, v136, v85, v59
	;; [unrolled: 1-line block ×4, first 2 shown]
	v_mul_u32_u24_e32 v79, 0x10001, v79
	v_pk_fma_f16 v109, v137, v90, v68
	v_pk_fma_f16 v85, v138, v85, v61
	ds_load_b128 v[59:62], v40 offset:272
	s_wait_dscnt 0x3
	v_and_b32_e32 v67, 0xffff, v51
	v_lshrrev_b32_e32 v51, 16, v51
	v_and_b32_e32 v68, 0xffff, v52
	v_lshrrev_b32_e32 v52, 16, v52
	v_pk_fma_f16 v92, v131, v90, v70
	v_pk_fma_f16 v82, v131, v79, v82
	;; [unrolled: 1-line block ×17, first 2 shown]
	v_mul_u32_u24_e32 v81, 0x10001, v67
	v_mul_u32_u24_e32 v51, 0x10001, v51
	;; [unrolled: 1-line block ×4, first 2 shown]
	ds_load_b128 v[67:70], v40 offset:288
	ds_load_b128 v[71:74], v40 offset:304
	s_wait_dscnt 0x4
	v_pk_fma_f16 v91, v55, v81, v91
	v_pk_fma_f16 v92, v55, v51, v92
	v_pk_fma_f16 v82, v55, v88, v82
	v_pk_fma_f16 v93, v55, v110, v93
	v_pk_fma_f16 v94, v56, v81, v94
	v_pk_fma_f16 v95, v56, v51, v95
	v_pk_fma_f16 v83, v56, v88, v83
	v_pk_fma_f16 v96, v56, v110, v96
	v_pk_fma_f16 v97, v57, v81, v97
	v_pk_fma_f16 v98, v57, v51, v98
	v_pk_fma_f16 v84, v57, v88, v84
	v_pk_fma_f16 v99, v57, v110, v99
	v_pk_fma_f16 v100, v58, v81, v100
	v_pk_fma_f16 v101, v58, v51, v101
	v_pk_fma_f16 v77, v58, v88, v77
	v_pk_fma_f16 v87, v58, v110, v87
	s_wait_dscnt 0x3
	v_pk_fma_f16 v102, v63, v81, v102
	v_pk_fma_f16 v103, v63, v51, v103
	;; [unrolled: 1-line block ×6, first 2 shown]
	ds_load_2addr_b64 v[55:58], v14 offset0:128 offset1:160
	v_pk_fma_f16 v75, v64, v88, v75
	v_pk_fma_f16 v64, v64, v110, v107
	;; [unrolled: 1-line block ×9, first 2 shown]
	v_and_b32_e32 v88, 0xffff, v53
	v_lshrrev_b32_e32 v89, 16, v53
	v_and_b32_e32 v90, 0xffff, v54
	v_lshrrev_b32_e32 v108, 16, v54
	ds_load_2addr_b64 v[51:54], v14 offset0:192 offset1:224
	v_mul_u32_u24_e32 v88, 0x10001, v88
	v_mul_u32_u24_e32 v89, 0x10001, v89
	;; [unrolled: 1-line block ×4, first 2 shown]
	v_pk_fma_f16 v80, v66, v110, v80
	s_wait_dscnt 0x1
	v_pk_fma_f16 v91, v55, v88, v91
	v_pk_fma_f16 v92, v55, v89, v92
	;; [unrolled: 1-line block ×16, first 2 shown]
	s_wait_dscnt 0x0
	v_pk_fma_f16 v102, v51, v88, v102
	v_pk_fma_f16 v103, v51, v89, v103
	;; [unrolled: 1-line block ×4, first 2 shown]
	ds_load_2addr_b64 v[55:58], v13 offset1:32
	v_pk_fma_f16 v109, v52, v108, v64
	v_pk_fma_f16 v110, v53, v108, v65
	ds_load_2addr_b64 v[63:66], v13 offset0:64 offset1:96
	v_pk_fma_f16 v104, v52, v88, v104
	v_pk_fma_f16 v105, v52, v89, v105
	;; [unrolled: 1-line block ×6, first 2 shown]
	v_and_b32_e32 v52, 0xffff, v59
	v_lshrrev_b32_e32 v53, 16, v59
	v_and_b32_e32 v59, 0xffff, v60
	v_lshrrev_b32_e32 v60, 16, v60
	v_pk_fma_f16 v81, v54, v88, v81
	v_pk_fma_f16 v85, v54, v89, v85
	v_mul_u32_u24_e32 v88, 0x10001, v52
	v_mul_u32_u24_e32 v89, 0x10001, v53
	;; [unrolled: 1-line block ×4, first 2 shown]
	v_pk_fma_f16 v79, v54, v90, v79
	v_pk_fma_f16 v80, v54, v108, v80
	s_wait_dscnt 0x1
	v_pk_fma_f16 v90, v55, v88, v91
	v_pk_fma_f16 v91, v55, v89, v92
	;; [unrolled: 1-line block ×16, first 2 shown]
	s_wait_dscnt 0x0
	v_pk_fma_f16 v101, v63, v88, v102
	v_pk_fma_f16 v102, v63, v89, v103
	;; [unrolled: 1-line block ×4, first 2 shown]
	ds_load_2addr_b64 v[51:54], v13 offset0:128 offset1:160
	ds_load_2addr_b64 v[55:58], v13 offset0:192 offset1:224
	v_pk_fma_f16 v103, v64, v88, v104
	v_pk_fma_f16 v104, v64, v89, v105
	;; [unrolled: 1-line block ×7, first 2 shown]
	v_and_b32_e32 v79, 0xffff, v61
	v_lshrrev_b32_e32 v61, 16, v61
	v_and_b32_e32 v88, 0xffff, v62
	v_lshrrev_b32_e32 v62, 16, v62
	v_pk_fma_f16 v64, v64, v60, v109
	v_pk_fma_f16 v106, v65, v89, v107
	;; [unrolled: 1-line block ×4, first 2 shown]
	v_mul_u32_u24_e32 v79, 0x10001, v79
	v_mul_u32_u24_e32 v61, 0x10001, v61
	;; [unrolled: 1-line block ×4, first 2 shown]
	v_pk_fma_f16 v66, v66, v60, v80
	s_wait_dscnt 0x1
	v_pk_fma_f16 v80, v51, v79, v90
	v_pk_fma_f16 v90, v51, v61, v91
	;; [unrolled: 1-line block ×16, first 2 shown]
	s_wait_dscnt 0x0
	v_pk_fma_f16 v100, v55, v79, v101
	v_pk_fma_f16 v101, v55, v61, v102
	;; [unrolled: 1-line block ×6, first 2 shown]
	ds_load_2addr_b64 v[51:54], v49 offset1:32
	v_pk_fma_f16 v75, v56, v88, v75
	v_pk_fma_f16 v56, v56, v89, v64
	;; [unrolled: 1-line block ×9, first 2 shown]
	ds_load_2addr_b64 v[59:62], v49 offset0:64 offset1:96
	v_and_b32_e32 v85, 0xffff, v67
	v_lshrrev_b32_e32 v67, 16, v67
	v_and_b32_e32 v88, 0xffff, v68
	v_lshrrev_b32_e32 v68, 16, v68
	v_pk_fma_f16 v66, v58, v89, v66
	v_mul_u32_u24_e32 v85, 0x10001, v85
	v_mul_u32_u24_e32 v67, 0x10001, v67
	;; [unrolled: 1-line block ×4, first 2 shown]
	s_or_b32 s26, s4, 48
	s_wait_dscnt 0x1
	v_pk_fma_f16 v80, v51, v85, v80
	v_pk_fma_f16 v89, v51, v67, v90
	;; [unrolled: 1-line block ×16, first 2 shown]
	s_wait_dscnt 0x0
	v_pk_fma_f16 v99, v59, v85, v100
	v_pk_fma_f16 v100, v59, v67, v101
	;; [unrolled: 1-line block ×6, first 2 shown]
	ds_load_2addr_b64 v[51:54], v49 offset0:128 offset1:160
	v_pk_fma_f16 v75, v60, v88, v75
	v_pk_fma_f16 v60, v60, v68, v56
	;; [unrolled: 1-line block ×6, first 2 shown]
	ds_load_2addr_b64 v[55:58], v49 offset0:192 offset1:224
	v_pk_fma_f16 v65, v62, v85, v65
	v_pk_fma_f16 v67, v62, v67, v79
	;; [unrolled: 1-line block ×3, first 2 shown]
	v_and_b32_e32 v81, 0xffff, v69
	v_lshrrev_b32_e32 v69, 16, v69
	v_and_b32_e32 v85, 0xffff, v70
	v_lshrrev_b32_e32 v70, 16, v70
	v_pk_fma_f16 v66, v62, v68, v66
	v_mul_u32_u24_e32 v81, 0x10001, v81
	v_mul_u32_u24_e32 v69, 0x10001, v69
	;; [unrolled: 1-line block ×4, first 2 shown]
	s_wait_alu 0xfffe
	s_ashr_i32 s27, s26, 31
	s_wait_dscnt 0x1
	v_pk_fma_f16 v68, v51, v81, v80
	v_pk_fma_f16 v80, v51, v69, v89
	;; [unrolled: 1-line block ×16, first 2 shown]
	s_wait_dscnt 0x0
	v_pk_fma_f16 v97, v55, v81, v99
	v_pk_fma_f16 v98, v55, v69, v100
	;; [unrolled: 1-line block ×6, first 2 shown]
	ds_load_2addr_b64 v[51:54], v50 offset1:32
	v_pk_fma_f16 v75, v56, v85, v75
	v_pk_fma_f16 v56, v56, v70, v60
	;; [unrolled: 1-line block ×6, first 2 shown]
	ds_load_2addr_b64 v[59:62], v50 offset0:64 offset1:96
	v_pk_fma_f16 v65, v58, v81, v65
	v_pk_fma_f16 v67, v58, v69, v67
	v_pk_fma_f16 v69, v58, v85, v79
	v_and_b32_e32 v79, 0xffff, v71
	v_lshrrev_b32_e32 v71, 16, v71
	v_and_b32_e32 v81, 0xffff, v72
	v_lshrrev_b32_e32 v72, 16, v72
	v_pk_fma_f16 v66, v58, v70, v66
	v_mul_u32_u24_e32 v79, 0x10001, v79
	v_mul_u32_u24_e32 v71, 0x10001, v71
	;; [unrolled: 1-line block ×4, first 2 shown]
	s_wait_alu 0xfffe
	s_mul_u64 s[26:27], s[26:27], s[14:15]
	s_wait_dscnt 0x1
	v_pk_fma_f16 v68, v51, v79, v68
	v_pk_fma_f16 v70, v51, v71, v80
	;; [unrolled: 1-line block ×16, first 2 shown]
	s_wait_dscnt 0x0
	v_pk_fma_f16 v155, v59, v72, v55
	ds_load_2addr_b64 v[51:54], v50 offset0:128 offset1:160
	v_pk_fma_f16 v159, v60, v72, v56
	v_pk_fma_f16 v163, v61, v72, v57
	ds_load_2addr_b64 v[55:58], v50 offset0:192 offset1:224
	s_wait_alu 0xfffe
	s_lshl_b64 s[26:27], s[26:27], 2
	v_pk_fma_f16 v158, v60, v81, v75
	s_wait_alu 0xfffe
	s_add_nc_u64 s[26:27], s[8:9], s[26:27]
	v_pk_fma_f16 v95, v59, v79, v97
	s_wait_alu 0xfffe
	v_add_co_u32 v75, vcc_lo, s26, v27
	v_pk_fma_f16 v96, v59, v71, v98
	v_pk_fma_f16 v86, v59, v81, v86
	;; [unrolled: 1-line block ×7, first 2 shown]
	v_and_b32_e32 v59, 0xffff, v73
	v_lshrrev_b32_e32 v60, 16, v73
	v_and_b32_e32 v61, 0xffff, v74
	v_lshrrev_b32_e32 v63, 16, v74
	s_wait_alu 0xfffd
	v_add_co_ci_u32_e64 v76, null, s27, v28, vcc_lo
	v_add_co_u32 v139, vcc_lo, s26, v29
	s_wait_alu 0xfffd
	v_add_co_ci_u32_e64 v140, null, s27, v30, vcc_lo
	v_add_co_u32 v75, vcc_lo, v75, v78
	v_mul_u32_u24_e32 v167, 0x10001, v59
	v_mul_u32_u24_e32 v168, 0x10001, v60
	;; [unrolled: 1-line block ×4, first 2 shown]
	s_wait_alu 0xfffd
	v_add_co_ci_u32_e64 v76, null, 0, v76, vcc_lo
	v_add_co_u32 v151, vcc_lo, v139, v78
	s_wait_alu 0xfffd
	v_add_co_ci_u32_e64 v152, null, 0, v140, vcc_lo
	v_pk_fma_f16 v164, v62, v79, v65
	v_pk_fma_f16 v165, v62, v71, v67
	;; [unrolled: 1-line block ×4, first 2 shown]
	s_wait_dscnt 0x1
	v_pk_fma_f16 v172, v51, v167, v68
	v_pk_fma_f16 v173, v51, v168, v70
	;; [unrolled: 1-line block ×16, first 2 shown]
	s_wait_dscnt 0x0
	v_pk_fma_f16 v187, v55, v167, v95
	v_pk_fma_f16 v188, v55, v168, v96
	;; [unrolled: 1-line block ×3, first 2 shown]
	ds_load_2addr_b64 v[51:54], v48 offset1:32
	ds_load_2addr_b64 v[59:62], v48 offset0:64 offset1:96
	ds_load_2addr_b64 v[63:66], v48 offset0:128 offset1:160
	;; [unrolled: 1-line block ×3, first 2 shown]
	ds_load_2addr_b64 v[71:74], v47 offset1:32
	ds_load_2addr_b64 v[79:82], v47 offset0:64 offset1:96
	ds_load_b128 v[83:86], v40 offset:320
	ds_load_b128 v[87:90], v40 offset:336
	ds_load_2addr_b64 v[91:94], v47 offset0:128 offset1:160
	ds_load_2addr_b64 v[95:98], v47 offset0:192 offset1:224
	ds_load_2addr_b64 v[99:102], v46 offset1:32
	ds_load_2addr_b64 v[103:106], v46 offset0:64 offset1:96
	ds_load_2addr_b64 v[107:110], v46 offset0:128 offset1:160
	;; [unrolled: 1-line block ×3, first 2 shown]
	ds_load_2addr_b64 v[115:118], v15 offset1:32
	ds_load_2addr_b64 v[119:122], v15 offset0:64 offset1:96
	ds_load_b128 v[123:126], v40 offset:352
	ds_load_b128 v[127:130], v40 offset:368
	ds_load_2addr_b64 v[131:134], v15 offset0:128 offset1:160
	ds_load_2addr_b64 v[135:138], v15 offset0:192 offset1:224
	s_wait_loadcnt_dscnt 0x0
	s_barrier_signal -1
	s_barrier_wait -1
	global_inv scope:SCOPE_SE
	s_clause 0x3
	global_load_b128 v[139:142], v[75:76], off
	global_load_b128 v[143:146], v[75:76], off offset:512
	global_load_b128 v[147:150], v[151:152], off
	global_load_b128 v[151:154], v[151:152], off offset:512
	v_pk_fma_f16 v55, v55, v170, v155
	v_pk_fma_f16 v76, v56, v168, v157
	;; [unrolled: 1-line block ×5, first 2 shown]
	v_and_b32_e32 v161, 0xffff, v83
	v_lshrrev_b32_e32 v83, 16, v83
	v_and_b32_e32 v162, 0xffff, v84
	v_lshrrev_b32_e32 v84, 16, v84
	v_pk_fma_f16 v75, v56, v167, v156
	v_pk_fma_f16 v56, v56, v170, v159
	;; [unrolled: 1-line block ×3, first 2 shown]
	v_mul_u32_u24_e32 v161, 0x10001, v161
	v_mul_u32_u24_e32 v83, 0x10001, v83
	;; [unrolled: 1-line block ×4, first 2 shown]
	v_pk_fma_f16 v57, v57, v170, v163
	v_pk_fma_f16 v159, v58, v167, v164
	;; [unrolled: 1-line block ×21, first 2 shown]
	v_and_b32_e32 v157, 0xffff, v85
	v_lshrrev_b32_e32 v85, 16, v85
	v_and_b32_e32 v158, 0xffff, v86
	v_lshrrev_b32_e32 v86, 16, v86
	v_pk_fma_f16 v58, v58, v170, v171
	v_pk_fma_f16 v169, v52, v162, v178
	;; [unrolled: 1-line block ×13, first 2 shown]
	v_mul_u32_u24_e32 v157, 0x10001, v157
	v_mul_u32_u24_e32 v85, 0x10001, v85
	;; [unrolled: 1-line block ×4, first 2 shown]
	v_pk_fma_f16 v61, v62, v161, v159
	v_pk_fma_f16 v159, v62, v162, v163
	;; [unrolled: 1-line block ×32, first 2 shown]
	v_and_b32_e32 v83, 0xffff, v87
	v_lshrrev_b32_e32 v85, 16, v87
	v_and_b32_e32 v87, 0xffff, v88
	v_lshrrev_b32_e32 v88, 16, v88
	v_pk_fma_f16 v61, v70, v157, v61
	v_mul_u32_u24_e32 v83, 0x10001, v83
	v_mul_u32_u24_e32 v85, 0x10001, v85
	;; [unrolled: 1-line block ×4, first 2 shown]
	v_pk_fma_f16 v155, v70, v158, v159
	v_pk_fma_f16 v59, v80, v83, v59
	;; [unrolled: 1-line block ×5, first 2 shown]
	v_lshrrev_b32_e32 v80, 16, v89
	v_pk_fma_f16 v58, v70, v86, v58
	v_pk_fma_f16 v62, v71, v83, v62
	;; [unrolled: 1-line block ×20, first 2 shown]
	v_mul_u32_u24_e32 v80, 0x10001, v80
	v_pk_fma_f16 v66, v79, v83, v66
	v_pk_fma_f16 v157, v79, v87, v167
	;; [unrolled: 1-line block ×12, first 2 shown]
	v_lshrrev_b32_e32 v80, 16, v123
	v_pk_fma_f16 v76, v81, v87, v76
	v_pk_fma_f16 v57, v81, v88, v57
	v_and_b32_e32 v79, 0xffff, v89
	v_and_b32_e32 v81, 0xffff, v90
	v_mul_u32_u24_e32 v80, 0x10001, v80
	v_pk_fma_f16 v61, v82, v83, v61
	v_lshrrev_b32_e32 v83, 16, v90
	v_pk_fma_f16 v85, v82, v87, v155
	v_mul_u32_u24_e32 v79, 0x10001, v79
	v_mul_u32_u24_e32 v81, 0x10001, v81
	v_pk_fma_f16 v58, v82, v88, v58
	v_and_b32_e32 v88, 0xffff, v124
	v_pk_fma_f16 v70, v99, v80, v70
	v_pk_fma_f16 v71, v100, v80, v71
	;; [unrolled: 1-line block ×8, first 2 shown]
	v_lshrrev_b32_e32 v80, 16, v125
	v_mul_u32_u24_e32 v83, 0x10001, v83
	v_pk_fma_f16 v62, v91, v79, v62
	v_pk_fma_f16 v82, v91, v81, v84
	;; [unrolled: 1-line block ×15, first 2 shown]
	v_and_b32_e32 v79, 0xffff, v123
	v_lshrrev_b32_e32 v89, 16, v124
	v_pk_fma_f16 v81, v98, v81, v85
	v_mul_u32_u24_e32 v85, 0x10001, v88
	v_mul_u32_u24_e32 v80, 0x10001, v80
	v_pk_fma_f16 v51, v91, v83, v51
	v_pk_fma_f16 v52, v92, v83, v52
	;; [unrolled: 1-line block ×7, first 2 shown]
	v_mul_u32_u24_e32 v79, 0x10001, v79
	v_mul_u32_u24_e32 v88, 0x10001, v89
	v_pk_fma_f16 v58, v98, v83, v58
	v_pk_fma_f16 v83, v100, v85, v84
	;; [unrolled: 1-line block ×4, first 2 shown]
	v_and_b32_e32 v87, 0xffff, v126
	v_lshrrev_b32_e32 v89, 16, v126
	v_pk_fma_f16 v70, v107, v80, v70
	v_pk_fma_f16 v71, v108, v80, v71
	;; [unrolled: 1-line block ×8, first 2 shown]
	v_lshrrev_b32_e32 v80, 16, v127
	v_pk_fma_f16 v62, v99, v79, v62
	v_pk_fma_f16 v82, v99, v85, v82
	v_pk_fma_f16 v51, v99, v88, v51
	v_pk_fma_f16 v63, v100, v79, v63
	v_pk_fma_f16 v52, v100, v88, v52
	v_pk_fma_f16 v64, v101, v79, v64
	v_pk_fma_f16 v53, v101, v88, v53
	v_pk_fma_f16 v65, v102, v79, v65
	v_pk_fma_f16 v77, v102, v85, v77
	v_pk_fma_f16 v54, v102, v88, v54
	v_pk_fma_f16 v66, v103, v79, v66
	v_pk_fma_f16 v55, v103, v88, v55
	v_pk_fma_f16 v59, v104, v79, v59
	v_pk_fma_f16 v75, v104, v85, v75
	v_pk_fma_f16 v56, v104, v88, v56
	v_pk_fma_f16 v60, v105, v79, v60
	v_pk_fma_f16 v76, v105, v85, v76
	v_pk_fma_f16 v57, v105, v88, v57
	v_pk_fma_f16 v61, v106, v79, v61
	v_and_b32_e32 v79, 0xffff, v125
	v_pk_fma_f16 v81, v106, v85, v81
	v_mul_u32_u24_e32 v85, 0x10001, v87
	v_mul_u32_u24_e32 v87, 0x10001, v89
	v_pk_fma_f16 v58, v106, v88, v58
	v_and_b32_e32 v88, 0xffff, v128
	v_lshrrev_b32_e32 v89, 16, v128
	v_mul_u32_u24_e32 v80, 0x10001, v80
	v_mul_u32_u24_e32 v79, 0x10001, v79
	v_pk_fma_f16 v82, v107, v85, v82
	v_pk_fma_f16 v51, v107, v87, v51
	;; [unrolled: 1-line block ×12, first 2 shown]
	v_mul_u32_u24_e32 v85, 0x10001, v88
	v_mul_u32_u24_e32 v88, 0x10001, v89
	v_pk_fma_f16 v70, v115, v80, v70
	v_pk_fma_f16 v71, v116, v80, v71
	;; [unrolled: 1-line block ×8, first 2 shown]
	v_lshrrev_b32_e32 v80, 16, v130
	v_pk_fma_f16 v62, v107, v79, v62
	v_pk_fma_f16 v63, v108, v79, v63
	;; [unrolled: 1-line block ×11, first 2 shown]
	v_and_b32_e32 v79, 0xffff, v127
	v_pk_fma_f16 v58, v114, v87, v58
	v_pk_fma_f16 v51, v115, v88, v51
	;; [unrolled: 1-line block ×5, first 2 shown]
	v_and_b32_e32 v54, 0xffff, v129
	v_mul_u32_u24_e32 v80, 0x10001, v80
	v_mul_u32_u24_e32 v79, 0x10001, v79
	v_pk_fma_f16 v82, v115, v85, v82
	v_pk_fma_f16 v83, v116, v85, v83
	;; [unrolled: 1-line block ×8, first 2 shown]
	v_mul_u32_u24_e32 v85, 0x10001, v54
	v_pk_fma_f16 v93, v131, v80, v51
	v_pk_fma_f16 v96, v132, v80, v52
	;; [unrolled: 1-line block ×3, first 2 shown]
	s_wait_loadcnt 0x3
	ds_store_b128 v41, v[139:142]
	s_wait_loadcnt 0x2
	ds_store_b128 v42, v[143:146]
	;; [unrolled: 2-line block ×4, first 2 shown]
	s_wait_dscnt 0x0
	s_barrier_signal -1
	s_barrier_wait -1
	global_inv scope:SCOPE_SE
	ds_load_b128 v[51:54], v40 offset:384
	v_pk_fma_f16 v63, v116, v79, v63
	v_pk_fma_f16 v64, v117, v79, v64
	;; [unrolled: 1-line block ×7, first 2 shown]
	v_lshrrev_b32_e32 v57, 16, v129
	v_pk_fma_f16 v88, v122, v88, v58
	v_pk_fma_f16 v94, v132, v85, v63
	;; [unrolled: 1-line block ×4, first 2 shown]
	v_mul_u32_u24_e32 v90, 0x10001, v57
	v_pk_fma_f16 v102, v135, v85, v66
	v_pk_fma_f16 v104, v135, v80, v55
	;; [unrolled: 1-line block ×3, first 2 shown]
	ds_load_2addr_b64 v[55:58], v14 offset1:32
	ds_load_2addr_b64 v[63:66], v14 offset0:64 offset1:96
	v_pk_fma_f16 v62, v115, v79, v62
	v_pk_fma_f16 v59, v120, v79, v59
	;; [unrolled: 1-line block ×4, first 2 shown]
	v_and_b32_e32 v79, 0xffff, v130
	v_pk_fma_f16 v91, v131, v85, v62
	v_pk_fma_f16 v105, v136, v85, v59
	;; [unrolled: 1-line block ×4, first 2 shown]
	v_mul_u32_u24_e32 v79, 0x10001, v79
	v_pk_fma_f16 v109, v137, v90, v68
	v_pk_fma_f16 v85, v138, v85, v61
	ds_load_b128 v[59:62], v40 offset:400
	s_wait_dscnt 0x3
	v_and_b32_e32 v67, 0xffff, v51
	v_lshrrev_b32_e32 v51, 16, v51
	v_and_b32_e32 v68, 0xffff, v52
	v_lshrrev_b32_e32 v52, 16, v52
	v_pk_fma_f16 v92, v131, v90, v70
	v_pk_fma_f16 v82, v131, v79, v82
	;; [unrolled: 1-line block ×17, first 2 shown]
	v_mul_u32_u24_e32 v81, 0x10001, v67
	v_mul_u32_u24_e32 v51, 0x10001, v51
	;; [unrolled: 1-line block ×4, first 2 shown]
	ds_load_b128 v[67:70], v40 offset:416
	ds_load_b128 v[71:74], v40 offset:432
	s_wait_dscnt 0x4
	v_pk_fma_f16 v91, v55, v81, v91
	v_pk_fma_f16 v92, v55, v51, v92
	;; [unrolled: 1-line block ×16, first 2 shown]
	s_wait_dscnt 0x3
	v_pk_fma_f16 v102, v63, v81, v102
	v_pk_fma_f16 v103, v63, v51, v103
	;; [unrolled: 1-line block ×6, first 2 shown]
	ds_load_2addr_b64 v[55:58], v14 offset0:128 offset1:160
	v_pk_fma_f16 v75, v64, v88, v75
	v_pk_fma_f16 v64, v64, v110, v107
	;; [unrolled: 1-line block ×9, first 2 shown]
	v_and_b32_e32 v88, 0xffff, v53
	v_lshrrev_b32_e32 v89, 16, v53
	v_and_b32_e32 v90, 0xffff, v54
	v_lshrrev_b32_e32 v108, 16, v54
	ds_load_2addr_b64 v[51:54], v14 offset0:192 offset1:224
	v_mul_u32_u24_e32 v88, 0x10001, v88
	v_mul_u32_u24_e32 v89, 0x10001, v89
	;; [unrolled: 1-line block ×4, first 2 shown]
	v_pk_fma_f16 v80, v66, v110, v80
	s_wait_dscnt 0x1
	v_pk_fma_f16 v91, v55, v88, v91
	v_pk_fma_f16 v92, v55, v89, v92
	v_pk_fma_f16 v82, v55, v90, v82
	v_pk_fma_f16 v93, v55, v108, v93
	v_pk_fma_f16 v94, v56, v88, v94
	v_pk_fma_f16 v95, v56, v89, v95
	v_pk_fma_f16 v83, v56, v90, v83
	v_pk_fma_f16 v96, v56, v108, v96
	v_pk_fma_f16 v97, v57, v88, v97
	v_pk_fma_f16 v98, v57, v89, v98
	v_pk_fma_f16 v84, v57, v90, v84
	v_pk_fma_f16 v99, v57, v108, v99
	v_pk_fma_f16 v100, v58, v88, v100
	v_pk_fma_f16 v101, v58, v89, v101
	v_pk_fma_f16 v77, v58, v90, v77
	v_pk_fma_f16 v87, v58, v108, v87
	s_wait_dscnt 0x0
	v_pk_fma_f16 v102, v51, v88, v102
	v_pk_fma_f16 v103, v51, v89, v103
	;; [unrolled: 1-line block ×4, first 2 shown]
	ds_load_2addr_b64 v[55:58], v13 offset1:32
	v_pk_fma_f16 v109, v52, v108, v64
	v_pk_fma_f16 v110, v53, v108, v65
	ds_load_2addr_b64 v[63:66], v13 offset0:64 offset1:96
	v_pk_fma_f16 v104, v52, v88, v104
	v_pk_fma_f16 v105, v52, v89, v105
	;; [unrolled: 1-line block ×6, first 2 shown]
	v_and_b32_e32 v52, 0xffff, v59
	v_lshrrev_b32_e32 v53, 16, v59
	v_and_b32_e32 v59, 0xffff, v60
	v_lshrrev_b32_e32 v60, 16, v60
	v_pk_fma_f16 v81, v54, v88, v81
	v_pk_fma_f16 v85, v54, v89, v85
	v_mul_u32_u24_e32 v88, 0x10001, v52
	v_mul_u32_u24_e32 v89, 0x10001, v53
	;; [unrolled: 1-line block ×4, first 2 shown]
	v_pk_fma_f16 v79, v54, v90, v79
	v_pk_fma_f16 v80, v54, v108, v80
	s_wait_dscnt 0x1
	v_pk_fma_f16 v90, v55, v88, v91
	v_pk_fma_f16 v91, v55, v89, v92
	;; [unrolled: 1-line block ×16, first 2 shown]
	s_wait_dscnt 0x0
	v_pk_fma_f16 v101, v63, v88, v102
	v_pk_fma_f16 v102, v63, v89, v103
	;; [unrolled: 1-line block ×4, first 2 shown]
	ds_load_2addr_b64 v[51:54], v13 offset0:128 offset1:160
	ds_load_2addr_b64 v[55:58], v13 offset0:192 offset1:224
	v_pk_fma_f16 v103, v64, v88, v104
	v_pk_fma_f16 v104, v64, v89, v105
	;; [unrolled: 1-line block ×7, first 2 shown]
	v_and_b32_e32 v79, 0xffff, v61
	v_lshrrev_b32_e32 v61, 16, v61
	v_and_b32_e32 v88, 0xffff, v62
	v_lshrrev_b32_e32 v62, 16, v62
	v_pk_fma_f16 v64, v64, v60, v109
	v_pk_fma_f16 v106, v65, v89, v107
	;; [unrolled: 1-line block ×4, first 2 shown]
	v_mul_u32_u24_e32 v79, 0x10001, v79
	v_mul_u32_u24_e32 v61, 0x10001, v61
	;; [unrolled: 1-line block ×4, first 2 shown]
	v_pk_fma_f16 v66, v66, v60, v80
	s_wait_dscnt 0x1
	v_pk_fma_f16 v80, v51, v79, v90
	v_pk_fma_f16 v90, v51, v61, v91
	;; [unrolled: 1-line block ×16, first 2 shown]
	s_wait_dscnt 0x0
	v_pk_fma_f16 v100, v55, v79, v101
	v_pk_fma_f16 v101, v55, v61, v102
	;; [unrolled: 1-line block ×6, first 2 shown]
	ds_load_2addr_b64 v[51:54], v49 offset1:32
	v_pk_fma_f16 v75, v56, v88, v75
	v_pk_fma_f16 v56, v56, v89, v64
	;; [unrolled: 1-line block ×9, first 2 shown]
	ds_load_2addr_b64 v[59:62], v49 offset0:64 offset1:96
	v_and_b32_e32 v85, 0xffff, v67
	v_lshrrev_b32_e32 v67, 16, v67
	v_and_b32_e32 v88, 0xffff, v68
	v_lshrrev_b32_e32 v68, 16, v68
	v_pk_fma_f16 v66, v58, v89, v66
	v_mul_u32_u24_e32 v85, 0x10001, v85
	v_mul_u32_u24_e32 v67, 0x10001, v67
	;; [unrolled: 1-line block ×4, first 2 shown]
	s_or_b32 s26, s4, 64
	s_wait_dscnt 0x1
	v_pk_fma_f16 v80, v51, v85, v80
	v_pk_fma_f16 v89, v51, v67, v90
	;; [unrolled: 1-line block ×16, first 2 shown]
	s_wait_dscnt 0x0
	v_pk_fma_f16 v99, v59, v85, v100
	v_pk_fma_f16 v100, v59, v67, v101
	;; [unrolled: 1-line block ×6, first 2 shown]
	ds_load_2addr_b64 v[51:54], v49 offset0:128 offset1:160
	v_pk_fma_f16 v75, v60, v88, v75
	v_pk_fma_f16 v60, v60, v68, v56
	;; [unrolled: 1-line block ×6, first 2 shown]
	ds_load_2addr_b64 v[55:58], v49 offset0:192 offset1:224
	v_pk_fma_f16 v65, v62, v85, v65
	v_pk_fma_f16 v67, v62, v67, v79
	;; [unrolled: 1-line block ×3, first 2 shown]
	v_and_b32_e32 v81, 0xffff, v69
	v_lshrrev_b32_e32 v69, 16, v69
	v_and_b32_e32 v85, 0xffff, v70
	v_lshrrev_b32_e32 v70, 16, v70
	v_pk_fma_f16 v66, v62, v68, v66
	v_mul_u32_u24_e32 v81, 0x10001, v81
	v_mul_u32_u24_e32 v69, 0x10001, v69
	;; [unrolled: 1-line block ×4, first 2 shown]
	s_wait_alu 0xfffe
	s_ashr_i32 s27, s26, 31
	s_wait_dscnt 0x1
	v_pk_fma_f16 v68, v51, v81, v80
	v_pk_fma_f16 v80, v51, v69, v89
	;; [unrolled: 1-line block ×16, first 2 shown]
	s_wait_dscnt 0x0
	v_pk_fma_f16 v97, v55, v81, v99
	v_pk_fma_f16 v98, v55, v69, v100
	;; [unrolled: 1-line block ×6, first 2 shown]
	ds_load_2addr_b64 v[51:54], v50 offset1:32
	v_pk_fma_f16 v75, v56, v85, v75
	v_pk_fma_f16 v56, v56, v70, v60
	;; [unrolled: 1-line block ×6, first 2 shown]
	ds_load_2addr_b64 v[59:62], v50 offset0:64 offset1:96
	v_pk_fma_f16 v65, v58, v81, v65
	v_pk_fma_f16 v67, v58, v69, v67
	;; [unrolled: 1-line block ×3, first 2 shown]
	v_and_b32_e32 v79, 0xffff, v71
	v_lshrrev_b32_e32 v71, 16, v71
	v_and_b32_e32 v81, 0xffff, v72
	v_lshrrev_b32_e32 v72, 16, v72
	v_pk_fma_f16 v66, v58, v70, v66
	v_mul_u32_u24_e32 v79, 0x10001, v79
	v_mul_u32_u24_e32 v71, 0x10001, v71
	;; [unrolled: 1-line block ×4, first 2 shown]
	s_wait_alu 0xfffe
	s_mul_u64 s[26:27], s[26:27], s[14:15]
	s_wait_dscnt 0x1
	v_pk_fma_f16 v68, v51, v79, v68
	v_pk_fma_f16 v70, v51, v71, v80
	;; [unrolled: 1-line block ×16, first 2 shown]
	s_wait_dscnt 0x0
	v_pk_fma_f16 v155, v59, v72, v55
	ds_load_2addr_b64 v[51:54], v50 offset0:128 offset1:160
	v_pk_fma_f16 v159, v60, v72, v56
	v_pk_fma_f16 v163, v61, v72, v57
	ds_load_2addr_b64 v[55:58], v50 offset0:192 offset1:224
	s_wait_alu 0xfffe
	s_lshl_b64 s[26:27], s[26:27], 2
	v_pk_fma_f16 v158, v60, v81, v75
	s_wait_alu 0xfffe
	s_add_nc_u64 s[26:27], s[8:9], s[26:27]
	v_pk_fma_f16 v95, v59, v79, v97
	s_wait_alu 0xfffe
	v_add_co_u32 v75, vcc_lo, s26, v27
	v_pk_fma_f16 v96, v59, v71, v98
	v_pk_fma_f16 v86, v59, v81, v86
	;; [unrolled: 1-line block ×7, first 2 shown]
	v_and_b32_e32 v59, 0xffff, v73
	v_lshrrev_b32_e32 v60, 16, v73
	v_and_b32_e32 v61, 0xffff, v74
	v_lshrrev_b32_e32 v63, 16, v74
	s_wait_alu 0xfffd
	v_add_co_ci_u32_e64 v76, null, s27, v28, vcc_lo
	v_add_co_u32 v139, vcc_lo, s26, v29
	s_wait_alu 0xfffd
	v_add_co_ci_u32_e64 v140, null, s27, v30, vcc_lo
	v_add_co_u32 v75, vcc_lo, v75, v78
	v_mul_u32_u24_e32 v167, 0x10001, v59
	v_mul_u32_u24_e32 v168, 0x10001, v60
	;; [unrolled: 1-line block ×4, first 2 shown]
	s_wait_alu 0xfffd
	v_add_co_ci_u32_e64 v76, null, 0, v76, vcc_lo
	v_add_co_u32 v151, vcc_lo, v139, v78
	s_wait_alu 0xfffd
	v_add_co_ci_u32_e64 v152, null, 0, v140, vcc_lo
	v_pk_fma_f16 v164, v62, v79, v65
	v_pk_fma_f16 v165, v62, v71, v67
	;; [unrolled: 1-line block ×4, first 2 shown]
	s_wait_dscnt 0x1
	v_pk_fma_f16 v172, v51, v167, v68
	v_pk_fma_f16 v173, v51, v168, v70
	;; [unrolled: 1-line block ×16, first 2 shown]
	s_wait_dscnt 0x0
	v_pk_fma_f16 v187, v55, v167, v95
	v_pk_fma_f16 v188, v55, v168, v96
	;; [unrolled: 1-line block ×3, first 2 shown]
	ds_load_2addr_b64 v[51:54], v48 offset1:32
	ds_load_2addr_b64 v[59:62], v48 offset0:64 offset1:96
	ds_load_2addr_b64 v[63:66], v48 offset0:128 offset1:160
	ds_load_2addr_b64 v[67:70], v48 offset0:192 offset1:224
	ds_load_2addr_b64 v[71:74], v47 offset1:32
	ds_load_2addr_b64 v[79:82], v47 offset0:64 offset1:96
	ds_load_b128 v[83:86], v40 offset:448
	ds_load_b128 v[87:90], v40 offset:464
	ds_load_2addr_b64 v[91:94], v47 offset0:128 offset1:160
	ds_load_2addr_b64 v[95:98], v47 offset0:192 offset1:224
	ds_load_2addr_b64 v[99:102], v46 offset1:32
	ds_load_2addr_b64 v[103:106], v46 offset0:64 offset1:96
	ds_load_2addr_b64 v[107:110], v46 offset0:128 offset1:160
	;; [unrolled: 1-line block ×3, first 2 shown]
	ds_load_2addr_b64 v[115:118], v15 offset1:32
	ds_load_2addr_b64 v[119:122], v15 offset0:64 offset1:96
	ds_load_b128 v[123:126], v40 offset:480
	ds_load_b128 v[127:130], v40 offset:496
	ds_load_2addr_b64 v[131:134], v15 offset0:128 offset1:160
	ds_load_2addr_b64 v[135:138], v15 offset0:192 offset1:224
	s_wait_loadcnt_dscnt 0x0
	s_barrier_signal -1
	s_barrier_wait -1
	global_inv scope:SCOPE_SE
	s_clause 0x3
	global_load_b128 v[139:142], v[75:76], off
	global_load_b128 v[143:146], v[75:76], off offset:512
	global_load_b128 v[147:150], v[151:152], off
	global_load_b128 v[151:154], v[151:152], off offset:512
	v_pk_fma_f16 v55, v55, v170, v155
	v_pk_fma_f16 v76, v56, v168, v157
	;; [unrolled: 1-line block ×5, first 2 shown]
	v_and_b32_e32 v161, 0xffff, v83
	v_lshrrev_b32_e32 v83, 16, v83
	v_and_b32_e32 v162, 0xffff, v84
	v_lshrrev_b32_e32 v84, 16, v84
	v_pk_fma_f16 v75, v56, v167, v156
	v_pk_fma_f16 v56, v56, v170, v159
	;; [unrolled: 1-line block ×3, first 2 shown]
	v_mul_u32_u24_e32 v161, 0x10001, v161
	v_mul_u32_u24_e32 v83, 0x10001, v83
	;; [unrolled: 1-line block ×4, first 2 shown]
	v_pk_fma_f16 v57, v57, v170, v163
	v_pk_fma_f16 v159, v58, v167, v164
	;; [unrolled: 1-line block ×21, first 2 shown]
	v_and_b32_e32 v157, 0xffff, v85
	v_lshrrev_b32_e32 v85, 16, v85
	v_and_b32_e32 v158, 0xffff, v86
	v_lshrrev_b32_e32 v86, 16, v86
	v_pk_fma_f16 v58, v58, v170, v171
	v_pk_fma_f16 v169, v52, v162, v178
	;; [unrolled: 1-line block ×13, first 2 shown]
	v_mul_u32_u24_e32 v157, 0x10001, v157
	v_mul_u32_u24_e32 v85, 0x10001, v85
	;; [unrolled: 1-line block ×4, first 2 shown]
	v_pk_fma_f16 v61, v62, v161, v159
	v_pk_fma_f16 v159, v62, v162, v163
	;; [unrolled: 1-line block ×32, first 2 shown]
	v_and_b32_e32 v83, 0xffff, v87
	v_lshrrev_b32_e32 v85, 16, v87
	v_and_b32_e32 v87, 0xffff, v88
	v_lshrrev_b32_e32 v88, 16, v88
	v_pk_fma_f16 v61, v70, v157, v61
	v_mul_u32_u24_e32 v83, 0x10001, v83
	v_mul_u32_u24_e32 v85, 0x10001, v85
	;; [unrolled: 1-line block ×4, first 2 shown]
	v_pk_fma_f16 v155, v70, v158, v159
	v_pk_fma_f16 v59, v80, v83, v59
	;; [unrolled: 1-line block ×5, first 2 shown]
	v_lshrrev_b32_e32 v80, 16, v89
	v_pk_fma_f16 v58, v70, v86, v58
	v_pk_fma_f16 v62, v71, v83, v62
	;; [unrolled: 1-line block ×20, first 2 shown]
	v_mul_u32_u24_e32 v80, 0x10001, v80
	v_pk_fma_f16 v66, v79, v83, v66
	v_pk_fma_f16 v157, v79, v87, v167
	;; [unrolled: 1-line block ×12, first 2 shown]
	v_lshrrev_b32_e32 v80, 16, v123
	v_pk_fma_f16 v76, v81, v87, v76
	v_pk_fma_f16 v57, v81, v88, v57
	v_and_b32_e32 v79, 0xffff, v89
	v_and_b32_e32 v81, 0xffff, v90
	v_mul_u32_u24_e32 v80, 0x10001, v80
	v_pk_fma_f16 v61, v82, v83, v61
	v_lshrrev_b32_e32 v83, 16, v90
	v_pk_fma_f16 v85, v82, v87, v155
	v_mul_u32_u24_e32 v79, 0x10001, v79
	v_mul_u32_u24_e32 v81, 0x10001, v81
	v_pk_fma_f16 v58, v82, v88, v58
	v_and_b32_e32 v88, 0xffff, v124
	v_pk_fma_f16 v70, v99, v80, v70
	v_pk_fma_f16 v71, v100, v80, v71
	;; [unrolled: 1-line block ×8, first 2 shown]
	v_lshrrev_b32_e32 v80, 16, v125
	v_mul_u32_u24_e32 v83, 0x10001, v83
	v_pk_fma_f16 v62, v91, v79, v62
	v_pk_fma_f16 v82, v91, v81, v84
	;; [unrolled: 1-line block ×15, first 2 shown]
	v_and_b32_e32 v79, 0xffff, v123
	v_lshrrev_b32_e32 v89, 16, v124
	v_pk_fma_f16 v81, v98, v81, v85
	v_mul_u32_u24_e32 v85, 0x10001, v88
	v_mul_u32_u24_e32 v80, 0x10001, v80
	v_pk_fma_f16 v51, v91, v83, v51
	v_pk_fma_f16 v52, v92, v83, v52
	;; [unrolled: 1-line block ×7, first 2 shown]
	v_mul_u32_u24_e32 v79, 0x10001, v79
	v_mul_u32_u24_e32 v88, 0x10001, v89
	v_pk_fma_f16 v58, v98, v83, v58
	v_pk_fma_f16 v83, v100, v85, v84
	;; [unrolled: 1-line block ×4, first 2 shown]
	v_and_b32_e32 v87, 0xffff, v126
	v_lshrrev_b32_e32 v89, 16, v126
	v_pk_fma_f16 v70, v107, v80, v70
	v_pk_fma_f16 v71, v108, v80, v71
	;; [unrolled: 1-line block ×8, first 2 shown]
	v_lshrrev_b32_e32 v80, 16, v127
	v_pk_fma_f16 v62, v99, v79, v62
	v_pk_fma_f16 v82, v99, v85, v82
	;; [unrolled: 1-line block ×19, first 2 shown]
	v_and_b32_e32 v79, 0xffff, v125
	v_pk_fma_f16 v81, v106, v85, v81
	v_mul_u32_u24_e32 v85, 0x10001, v87
	v_mul_u32_u24_e32 v87, 0x10001, v89
	v_pk_fma_f16 v58, v106, v88, v58
	v_and_b32_e32 v88, 0xffff, v128
	v_lshrrev_b32_e32 v89, 16, v128
	v_mul_u32_u24_e32 v80, 0x10001, v80
	v_mul_u32_u24_e32 v79, 0x10001, v79
	v_pk_fma_f16 v82, v107, v85, v82
	v_pk_fma_f16 v51, v107, v87, v51
	;; [unrolled: 1-line block ×12, first 2 shown]
	v_mul_u32_u24_e32 v85, 0x10001, v88
	v_mul_u32_u24_e32 v88, 0x10001, v89
	v_pk_fma_f16 v70, v115, v80, v70
	v_pk_fma_f16 v71, v116, v80, v71
	;; [unrolled: 1-line block ×8, first 2 shown]
	v_lshrrev_b32_e32 v80, 16, v130
	v_pk_fma_f16 v62, v107, v79, v62
	v_pk_fma_f16 v63, v108, v79, v63
	;; [unrolled: 1-line block ×11, first 2 shown]
	v_and_b32_e32 v79, 0xffff, v127
	v_pk_fma_f16 v58, v114, v87, v58
	v_pk_fma_f16 v51, v115, v88, v51
	;; [unrolled: 1-line block ×5, first 2 shown]
	v_and_b32_e32 v54, 0xffff, v129
	v_mul_u32_u24_e32 v80, 0x10001, v80
	v_mul_u32_u24_e32 v79, 0x10001, v79
	v_pk_fma_f16 v82, v115, v85, v82
	v_pk_fma_f16 v83, v116, v85, v83
	;; [unrolled: 1-line block ×8, first 2 shown]
	v_mul_u32_u24_e32 v85, 0x10001, v54
	v_pk_fma_f16 v93, v131, v80, v51
	v_pk_fma_f16 v96, v132, v80, v52
	;; [unrolled: 1-line block ×3, first 2 shown]
	s_wait_loadcnt 0x3
	ds_store_b128 v41, v[139:142]
	s_wait_loadcnt 0x2
	ds_store_b128 v42, v[143:146]
	;; [unrolled: 2-line block ×4, first 2 shown]
	s_wait_dscnt 0x0
	s_barrier_signal -1
	s_barrier_wait -1
	global_inv scope:SCOPE_SE
	ds_load_b128 v[51:54], v40 offset:512
	v_pk_fma_f16 v63, v116, v79, v63
	v_pk_fma_f16 v64, v117, v79, v64
	;; [unrolled: 1-line block ×7, first 2 shown]
	v_lshrrev_b32_e32 v57, 16, v129
	v_pk_fma_f16 v88, v122, v88, v58
	v_pk_fma_f16 v94, v132, v85, v63
	;; [unrolled: 1-line block ×4, first 2 shown]
	v_mul_u32_u24_e32 v90, 0x10001, v57
	v_pk_fma_f16 v102, v135, v85, v66
	v_pk_fma_f16 v104, v135, v80, v55
	;; [unrolled: 1-line block ×3, first 2 shown]
	ds_load_2addr_b64 v[55:58], v14 offset1:32
	ds_load_2addr_b64 v[63:66], v14 offset0:64 offset1:96
	v_pk_fma_f16 v62, v115, v79, v62
	v_pk_fma_f16 v59, v120, v79, v59
	;; [unrolled: 1-line block ×4, first 2 shown]
	v_and_b32_e32 v79, 0xffff, v130
	v_pk_fma_f16 v91, v131, v85, v62
	v_pk_fma_f16 v105, v136, v85, v59
	;; [unrolled: 1-line block ×4, first 2 shown]
	v_mul_u32_u24_e32 v79, 0x10001, v79
	v_pk_fma_f16 v109, v137, v90, v68
	v_pk_fma_f16 v85, v138, v85, v61
	ds_load_b128 v[59:62], v40 offset:528
	s_wait_dscnt 0x3
	v_and_b32_e32 v67, 0xffff, v51
	v_lshrrev_b32_e32 v51, 16, v51
	v_and_b32_e32 v68, 0xffff, v52
	v_lshrrev_b32_e32 v52, 16, v52
	v_pk_fma_f16 v92, v131, v90, v70
	v_pk_fma_f16 v82, v131, v79, v82
	;; [unrolled: 1-line block ×17, first 2 shown]
	v_mul_u32_u24_e32 v81, 0x10001, v67
	v_mul_u32_u24_e32 v51, 0x10001, v51
	;; [unrolled: 1-line block ×4, first 2 shown]
	ds_load_b128 v[67:70], v40 offset:544
	ds_load_b128 v[71:74], v40 offset:560
	s_wait_dscnt 0x4
	v_pk_fma_f16 v91, v55, v81, v91
	v_pk_fma_f16 v92, v55, v51, v92
	v_pk_fma_f16 v82, v55, v88, v82
	v_pk_fma_f16 v93, v55, v110, v93
	v_pk_fma_f16 v94, v56, v81, v94
	v_pk_fma_f16 v95, v56, v51, v95
	v_pk_fma_f16 v83, v56, v88, v83
	v_pk_fma_f16 v96, v56, v110, v96
	v_pk_fma_f16 v97, v57, v81, v97
	v_pk_fma_f16 v98, v57, v51, v98
	v_pk_fma_f16 v84, v57, v88, v84
	v_pk_fma_f16 v99, v57, v110, v99
	v_pk_fma_f16 v100, v58, v81, v100
	v_pk_fma_f16 v101, v58, v51, v101
	v_pk_fma_f16 v77, v58, v88, v77
	v_pk_fma_f16 v87, v58, v110, v87
	s_wait_dscnt 0x3
	v_pk_fma_f16 v102, v63, v81, v102
	v_pk_fma_f16 v103, v63, v51, v103
	v_pk_fma_f16 v86, v63, v88, v86
	v_pk_fma_f16 v63, v63, v110, v104
	v_pk_fma_f16 v104, v64, v81, v105
	v_pk_fma_f16 v105, v64, v51, v106
	ds_load_2addr_b64 v[55:58], v14 offset0:128 offset1:160
	v_pk_fma_f16 v75, v64, v88, v75
	v_pk_fma_f16 v64, v64, v110, v107
	;; [unrolled: 1-line block ×9, first 2 shown]
	v_and_b32_e32 v88, 0xffff, v53
	v_lshrrev_b32_e32 v89, 16, v53
	v_and_b32_e32 v90, 0xffff, v54
	v_lshrrev_b32_e32 v108, 16, v54
	ds_load_2addr_b64 v[51:54], v14 offset0:192 offset1:224
	v_mul_u32_u24_e32 v88, 0x10001, v88
	v_mul_u32_u24_e32 v89, 0x10001, v89
	;; [unrolled: 1-line block ×4, first 2 shown]
	v_pk_fma_f16 v80, v66, v110, v80
	s_wait_dscnt 0x1
	v_pk_fma_f16 v91, v55, v88, v91
	v_pk_fma_f16 v92, v55, v89, v92
	;; [unrolled: 1-line block ×16, first 2 shown]
	s_wait_dscnt 0x0
	v_pk_fma_f16 v102, v51, v88, v102
	v_pk_fma_f16 v103, v51, v89, v103
	;; [unrolled: 1-line block ×4, first 2 shown]
	ds_load_2addr_b64 v[55:58], v13 offset1:32
	v_pk_fma_f16 v109, v52, v108, v64
	v_pk_fma_f16 v110, v53, v108, v65
	ds_load_2addr_b64 v[63:66], v13 offset0:64 offset1:96
	v_pk_fma_f16 v104, v52, v88, v104
	v_pk_fma_f16 v105, v52, v89, v105
	;; [unrolled: 1-line block ×6, first 2 shown]
	v_and_b32_e32 v52, 0xffff, v59
	v_lshrrev_b32_e32 v53, 16, v59
	v_and_b32_e32 v59, 0xffff, v60
	v_lshrrev_b32_e32 v60, 16, v60
	v_pk_fma_f16 v81, v54, v88, v81
	v_pk_fma_f16 v85, v54, v89, v85
	v_mul_u32_u24_e32 v88, 0x10001, v52
	v_mul_u32_u24_e32 v89, 0x10001, v53
	;; [unrolled: 1-line block ×4, first 2 shown]
	v_pk_fma_f16 v79, v54, v90, v79
	v_pk_fma_f16 v80, v54, v108, v80
	s_wait_dscnt 0x1
	v_pk_fma_f16 v90, v55, v88, v91
	v_pk_fma_f16 v91, v55, v89, v92
	;; [unrolled: 1-line block ×16, first 2 shown]
	s_wait_dscnt 0x0
	v_pk_fma_f16 v101, v63, v88, v102
	v_pk_fma_f16 v102, v63, v89, v103
	;; [unrolled: 1-line block ×4, first 2 shown]
	ds_load_2addr_b64 v[51:54], v13 offset0:128 offset1:160
	ds_load_2addr_b64 v[55:58], v13 offset0:192 offset1:224
	v_pk_fma_f16 v103, v64, v88, v104
	v_pk_fma_f16 v104, v64, v89, v105
	;; [unrolled: 1-line block ×7, first 2 shown]
	v_and_b32_e32 v79, 0xffff, v61
	v_lshrrev_b32_e32 v61, 16, v61
	v_and_b32_e32 v88, 0xffff, v62
	v_lshrrev_b32_e32 v62, 16, v62
	v_pk_fma_f16 v64, v64, v60, v109
	v_pk_fma_f16 v106, v65, v89, v107
	;; [unrolled: 1-line block ×4, first 2 shown]
	v_mul_u32_u24_e32 v79, 0x10001, v79
	v_mul_u32_u24_e32 v61, 0x10001, v61
	;; [unrolled: 1-line block ×4, first 2 shown]
	v_pk_fma_f16 v66, v66, v60, v80
	s_wait_dscnt 0x1
	v_pk_fma_f16 v80, v51, v79, v90
	v_pk_fma_f16 v90, v51, v61, v91
	;; [unrolled: 1-line block ×16, first 2 shown]
	s_wait_dscnt 0x0
	v_pk_fma_f16 v100, v55, v79, v101
	v_pk_fma_f16 v101, v55, v61, v102
	;; [unrolled: 1-line block ×6, first 2 shown]
	ds_load_2addr_b64 v[51:54], v49 offset1:32
	v_pk_fma_f16 v75, v56, v88, v75
	v_pk_fma_f16 v56, v56, v89, v64
	;; [unrolled: 1-line block ×9, first 2 shown]
	ds_load_2addr_b64 v[59:62], v49 offset0:64 offset1:96
	v_and_b32_e32 v85, 0xffff, v67
	v_lshrrev_b32_e32 v67, 16, v67
	v_and_b32_e32 v88, 0xffff, v68
	v_lshrrev_b32_e32 v68, 16, v68
	v_pk_fma_f16 v66, v58, v89, v66
	v_mul_u32_u24_e32 v85, 0x10001, v85
	v_mul_u32_u24_e32 v67, 0x10001, v67
	;; [unrolled: 1-line block ×4, first 2 shown]
	s_or_b32 s26, s4, 0x50
	s_wait_dscnt 0x1
	v_pk_fma_f16 v80, v51, v85, v80
	v_pk_fma_f16 v89, v51, v67, v90
	;; [unrolled: 1-line block ×16, first 2 shown]
	s_wait_dscnt 0x0
	v_pk_fma_f16 v99, v59, v85, v100
	v_pk_fma_f16 v100, v59, v67, v101
	;; [unrolled: 1-line block ×6, first 2 shown]
	ds_load_2addr_b64 v[51:54], v49 offset0:128 offset1:160
	v_pk_fma_f16 v75, v60, v88, v75
	v_pk_fma_f16 v60, v60, v68, v56
	;; [unrolled: 1-line block ×6, first 2 shown]
	ds_load_2addr_b64 v[55:58], v49 offset0:192 offset1:224
	v_pk_fma_f16 v65, v62, v85, v65
	v_pk_fma_f16 v67, v62, v67, v79
	;; [unrolled: 1-line block ×3, first 2 shown]
	v_and_b32_e32 v81, 0xffff, v69
	v_lshrrev_b32_e32 v69, 16, v69
	v_and_b32_e32 v85, 0xffff, v70
	v_lshrrev_b32_e32 v70, 16, v70
	v_pk_fma_f16 v66, v62, v68, v66
	v_mul_u32_u24_e32 v81, 0x10001, v81
	v_mul_u32_u24_e32 v69, 0x10001, v69
	;; [unrolled: 1-line block ×4, first 2 shown]
	s_wait_alu 0xfffe
	s_ashr_i32 s27, s26, 31
	s_wait_dscnt 0x1
	v_pk_fma_f16 v68, v51, v81, v80
	v_pk_fma_f16 v80, v51, v69, v89
	;; [unrolled: 1-line block ×16, first 2 shown]
	s_wait_dscnt 0x0
	v_pk_fma_f16 v97, v55, v81, v99
	v_pk_fma_f16 v98, v55, v69, v100
	v_pk_fma_f16 v86, v55, v85, v86
	v_pk_fma_f16 v55, v55, v70, v59
	v_pk_fma_f16 v63, v56, v81, v63
	v_pk_fma_f16 v99, v56, v69, v101
	ds_load_2addr_b64 v[51:54], v50 offset1:32
	v_pk_fma_f16 v75, v56, v85, v75
	v_pk_fma_f16 v56, v56, v70, v60
	;; [unrolled: 1-line block ×6, first 2 shown]
	ds_load_2addr_b64 v[59:62], v50 offset0:64 offset1:96
	v_pk_fma_f16 v65, v58, v81, v65
	v_pk_fma_f16 v67, v58, v69, v67
	;; [unrolled: 1-line block ×3, first 2 shown]
	v_and_b32_e32 v79, 0xffff, v71
	v_lshrrev_b32_e32 v71, 16, v71
	v_and_b32_e32 v81, 0xffff, v72
	v_lshrrev_b32_e32 v72, 16, v72
	v_pk_fma_f16 v66, v58, v70, v66
	v_mul_u32_u24_e32 v79, 0x10001, v79
	v_mul_u32_u24_e32 v71, 0x10001, v71
	;; [unrolled: 1-line block ×4, first 2 shown]
	s_wait_alu 0xfffe
	s_mul_u64 s[26:27], s[26:27], s[14:15]
	s_wait_dscnt 0x1
	v_pk_fma_f16 v68, v51, v79, v68
	v_pk_fma_f16 v70, v51, v71, v80
	v_pk_fma_f16 v80, v51, v81, v82
	v_pk_fma_f16 v82, v51, v72, v88
	v_pk_fma_f16 v85, v52, v79, v89
	v_pk_fma_f16 v88, v52, v71, v90
	v_pk_fma_f16 v83, v52, v81, v83
	v_pk_fma_f16 v89, v52, v72, v91
	v_pk_fma_f16 v90, v53, v79, v92
	v_pk_fma_f16 v91, v53, v71, v93
	v_pk_fma_f16 v84, v53, v81, v84
	v_pk_fma_f16 v92, v53, v72, v94
	v_pk_fma_f16 v93, v54, v79, v95
	v_pk_fma_f16 v94, v54, v71, v96
	v_pk_fma_f16 v77, v54, v81, v77
	v_pk_fma_f16 v87, v54, v72, v87
	s_wait_dscnt 0x0
	v_pk_fma_f16 v155, v59, v72, v55
	ds_load_2addr_b64 v[51:54], v50 offset0:128 offset1:160
	v_pk_fma_f16 v159, v60, v72, v56
	v_pk_fma_f16 v163, v61, v72, v57
	ds_load_2addr_b64 v[55:58], v50 offset0:192 offset1:224
	s_wait_alu 0xfffe
	s_lshl_b64 s[26:27], s[26:27], 2
	v_pk_fma_f16 v158, v60, v81, v75
	s_wait_alu 0xfffe
	s_add_nc_u64 s[26:27], s[8:9], s[26:27]
	v_pk_fma_f16 v95, v59, v79, v97
	s_wait_alu 0xfffe
	v_add_co_u32 v75, vcc_lo, s26, v27
	v_pk_fma_f16 v96, v59, v71, v98
	v_pk_fma_f16 v86, v59, v81, v86
	;; [unrolled: 1-line block ×7, first 2 shown]
	v_and_b32_e32 v59, 0xffff, v73
	v_lshrrev_b32_e32 v60, 16, v73
	v_and_b32_e32 v61, 0xffff, v74
	v_lshrrev_b32_e32 v63, 16, v74
	s_wait_alu 0xfffd
	v_add_co_ci_u32_e64 v76, null, s27, v28, vcc_lo
	v_add_co_u32 v139, vcc_lo, s26, v29
	s_wait_alu 0xfffd
	v_add_co_ci_u32_e64 v140, null, s27, v30, vcc_lo
	v_add_co_u32 v75, vcc_lo, v75, v78
	v_mul_u32_u24_e32 v167, 0x10001, v59
	v_mul_u32_u24_e32 v168, 0x10001, v60
	;; [unrolled: 1-line block ×4, first 2 shown]
	s_wait_alu 0xfffd
	v_add_co_ci_u32_e64 v76, null, 0, v76, vcc_lo
	v_add_co_u32 v151, vcc_lo, v139, v78
	s_wait_alu 0xfffd
	v_add_co_ci_u32_e64 v152, null, 0, v140, vcc_lo
	v_pk_fma_f16 v164, v62, v79, v65
	v_pk_fma_f16 v165, v62, v71, v67
	;; [unrolled: 1-line block ×4, first 2 shown]
	s_wait_dscnt 0x1
	v_pk_fma_f16 v172, v51, v167, v68
	v_pk_fma_f16 v173, v51, v168, v70
	;; [unrolled: 1-line block ×16, first 2 shown]
	s_wait_dscnt 0x0
	v_pk_fma_f16 v187, v55, v167, v95
	v_pk_fma_f16 v188, v55, v168, v96
	;; [unrolled: 1-line block ×3, first 2 shown]
	ds_load_2addr_b64 v[51:54], v48 offset1:32
	ds_load_2addr_b64 v[59:62], v48 offset0:64 offset1:96
	ds_load_2addr_b64 v[63:66], v48 offset0:128 offset1:160
	;; [unrolled: 1-line block ×3, first 2 shown]
	ds_load_2addr_b64 v[71:74], v47 offset1:32
	ds_load_2addr_b64 v[79:82], v47 offset0:64 offset1:96
	ds_load_b128 v[83:86], v40 offset:576
	ds_load_b128 v[87:90], v40 offset:592
	ds_load_2addr_b64 v[91:94], v47 offset0:128 offset1:160
	ds_load_2addr_b64 v[95:98], v47 offset0:192 offset1:224
	ds_load_2addr_b64 v[99:102], v46 offset1:32
	ds_load_2addr_b64 v[103:106], v46 offset0:64 offset1:96
	ds_load_2addr_b64 v[107:110], v46 offset0:128 offset1:160
	ds_load_2addr_b64 v[111:114], v46 offset0:192 offset1:224
	ds_load_2addr_b64 v[115:118], v15 offset1:32
	ds_load_2addr_b64 v[119:122], v15 offset0:64 offset1:96
	ds_load_b128 v[123:126], v40 offset:608
	ds_load_b128 v[127:130], v40 offset:624
	ds_load_2addr_b64 v[131:134], v15 offset0:128 offset1:160
	ds_load_2addr_b64 v[135:138], v15 offset0:192 offset1:224
	s_wait_loadcnt_dscnt 0x0
	s_barrier_signal -1
	s_barrier_wait -1
	global_inv scope:SCOPE_SE
	s_clause 0x3
	global_load_b128 v[139:142], v[75:76], off
	global_load_b128 v[143:146], v[75:76], off offset:512
	global_load_b128 v[147:150], v[151:152], off
	global_load_b128 v[151:154], v[151:152], off offset:512
	v_pk_fma_f16 v55, v55, v170, v155
	v_pk_fma_f16 v76, v56, v168, v157
	;; [unrolled: 1-line block ×5, first 2 shown]
	v_and_b32_e32 v161, 0xffff, v83
	v_lshrrev_b32_e32 v83, 16, v83
	v_and_b32_e32 v162, 0xffff, v84
	v_lshrrev_b32_e32 v84, 16, v84
	v_pk_fma_f16 v75, v56, v167, v156
	v_pk_fma_f16 v56, v56, v170, v159
	;; [unrolled: 1-line block ×3, first 2 shown]
	v_mul_u32_u24_e32 v161, 0x10001, v161
	v_mul_u32_u24_e32 v83, 0x10001, v83
	;; [unrolled: 1-line block ×4, first 2 shown]
	v_pk_fma_f16 v57, v57, v170, v163
	v_pk_fma_f16 v159, v58, v167, v164
	;; [unrolled: 1-line block ×21, first 2 shown]
	v_and_b32_e32 v157, 0xffff, v85
	v_lshrrev_b32_e32 v85, 16, v85
	v_and_b32_e32 v158, 0xffff, v86
	v_lshrrev_b32_e32 v86, 16, v86
	v_pk_fma_f16 v58, v58, v170, v171
	v_pk_fma_f16 v169, v52, v162, v178
	;; [unrolled: 1-line block ×13, first 2 shown]
	v_mul_u32_u24_e32 v157, 0x10001, v157
	v_mul_u32_u24_e32 v85, 0x10001, v85
	;; [unrolled: 1-line block ×4, first 2 shown]
	v_pk_fma_f16 v61, v62, v161, v159
	v_pk_fma_f16 v159, v62, v162, v163
	;; [unrolled: 1-line block ×32, first 2 shown]
	v_and_b32_e32 v83, 0xffff, v87
	v_lshrrev_b32_e32 v85, 16, v87
	v_and_b32_e32 v87, 0xffff, v88
	v_lshrrev_b32_e32 v88, 16, v88
	v_pk_fma_f16 v61, v70, v157, v61
	v_mul_u32_u24_e32 v83, 0x10001, v83
	v_mul_u32_u24_e32 v85, 0x10001, v85
	v_mul_u32_u24_e32 v87, 0x10001, v87
	v_mul_u32_u24_e32 v88, 0x10001, v88
	v_pk_fma_f16 v155, v70, v158, v159
	v_pk_fma_f16 v59, v80, v83, v59
	;; [unrolled: 1-line block ×5, first 2 shown]
	v_lshrrev_b32_e32 v80, 16, v89
	v_pk_fma_f16 v58, v70, v86, v58
	v_pk_fma_f16 v62, v71, v83, v62
	;; [unrolled: 1-line block ×20, first 2 shown]
	v_mul_u32_u24_e32 v80, 0x10001, v80
	v_pk_fma_f16 v66, v79, v83, v66
	v_pk_fma_f16 v157, v79, v87, v167
	;; [unrolled: 1-line block ×12, first 2 shown]
	v_lshrrev_b32_e32 v80, 16, v123
	v_pk_fma_f16 v76, v81, v87, v76
	v_pk_fma_f16 v57, v81, v88, v57
	v_and_b32_e32 v79, 0xffff, v89
	v_and_b32_e32 v81, 0xffff, v90
	v_mul_u32_u24_e32 v80, 0x10001, v80
	v_pk_fma_f16 v61, v82, v83, v61
	v_lshrrev_b32_e32 v83, 16, v90
	v_pk_fma_f16 v85, v82, v87, v155
	v_mul_u32_u24_e32 v79, 0x10001, v79
	v_mul_u32_u24_e32 v81, 0x10001, v81
	v_pk_fma_f16 v58, v82, v88, v58
	v_and_b32_e32 v88, 0xffff, v124
	v_pk_fma_f16 v70, v99, v80, v70
	v_pk_fma_f16 v71, v100, v80, v71
	;; [unrolled: 1-line block ×8, first 2 shown]
	v_lshrrev_b32_e32 v80, 16, v125
	v_mul_u32_u24_e32 v83, 0x10001, v83
	v_pk_fma_f16 v62, v91, v79, v62
	v_pk_fma_f16 v82, v91, v81, v84
	;; [unrolled: 1-line block ×15, first 2 shown]
	v_and_b32_e32 v79, 0xffff, v123
	v_lshrrev_b32_e32 v89, 16, v124
	v_pk_fma_f16 v81, v98, v81, v85
	v_mul_u32_u24_e32 v85, 0x10001, v88
	v_mul_u32_u24_e32 v80, 0x10001, v80
	v_pk_fma_f16 v51, v91, v83, v51
	v_pk_fma_f16 v52, v92, v83, v52
	;; [unrolled: 1-line block ×7, first 2 shown]
	v_mul_u32_u24_e32 v79, 0x10001, v79
	v_mul_u32_u24_e32 v88, 0x10001, v89
	v_pk_fma_f16 v58, v98, v83, v58
	v_pk_fma_f16 v83, v100, v85, v84
	;; [unrolled: 1-line block ×4, first 2 shown]
	v_and_b32_e32 v87, 0xffff, v126
	v_lshrrev_b32_e32 v89, 16, v126
	v_pk_fma_f16 v70, v107, v80, v70
	v_pk_fma_f16 v71, v108, v80, v71
	;; [unrolled: 1-line block ×8, first 2 shown]
	v_lshrrev_b32_e32 v80, 16, v127
	v_pk_fma_f16 v62, v99, v79, v62
	v_pk_fma_f16 v82, v99, v85, v82
	;; [unrolled: 1-line block ×19, first 2 shown]
	v_and_b32_e32 v79, 0xffff, v125
	v_pk_fma_f16 v81, v106, v85, v81
	v_mul_u32_u24_e32 v85, 0x10001, v87
	v_mul_u32_u24_e32 v87, 0x10001, v89
	v_pk_fma_f16 v58, v106, v88, v58
	v_and_b32_e32 v88, 0xffff, v128
	v_lshrrev_b32_e32 v89, 16, v128
	v_mul_u32_u24_e32 v80, 0x10001, v80
	v_mul_u32_u24_e32 v79, 0x10001, v79
	v_pk_fma_f16 v82, v107, v85, v82
	v_pk_fma_f16 v51, v107, v87, v51
	;; [unrolled: 1-line block ×12, first 2 shown]
	v_mul_u32_u24_e32 v85, 0x10001, v88
	v_mul_u32_u24_e32 v88, 0x10001, v89
	v_pk_fma_f16 v70, v115, v80, v70
	v_pk_fma_f16 v71, v116, v80, v71
	;; [unrolled: 1-line block ×8, first 2 shown]
	v_lshrrev_b32_e32 v80, 16, v130
	v_pk_fma_f16 v62, v107, v79, v62
	v_pk_fma_f16 v63, v108, v79, v63
	;; [unrolled: 1-line block ×11, first 2 shown]
	v_and_b32_e32 v79, 0xffff, v127
	v_pk_fma_f16 v58, v114, v87, v58
	v_pk_fma_f16 v51, v115, v88, v51
	;; [unrolled: 1-line block ×5, first 2 shown]
	v_and_b32_e32 v54, 0xffff, v129
	v_mul_u32_u24_e32 v80, 0x10001, v80
	v_mul_u32_u24_e32 v79, 0x10001, v79
	v_pk_fma_f16 v82, v115, v85, v82
	v_pk_fma_f16 v83, v116, v85, v83
	;; [unrolled: 1-line block ×8, first 2 shown]
	v_mul_u32_u24_e32 v85, 0x10001, v54
	v_pk_fma_f16 v93, v131, v80, v51
	v_pk_fma_f16 v96, v132, v80, v52
	;; [unrolled: 1-line block ×3, first 2 shown]
	s_wait_loadcnt 0x3
	ds_store_b128 v41, v[139:142]
	s_wait_loadcnt 0x2
	ds_store_b128 v42, v[143:146]
	;; [unrolled: 2-line block ×4, first 2 shown]
	s_wait_dscnt 0x0
	s_barrier_signal -1
	s_barrier_wait -1
	global_inv scope:SCOPE_SE
	ds_load_b128 v[51:54], v40 offset:640
	v_pk_fma_f16 v63, v116, v79, v63
	v_pk_fma_f16 v64, v117, v79, v64
	;; [unrolled: 1-line block ×7, first 2 shown]
	v_lshrrev_b32_e32 v57, 16, v129
	v_pk_fma_f16 v88, v122, v88, v58
	v_pk_fma_f16 v94, v132, v85, v63
	;; [unrolled: 1-line block ×4, first 2 shown]
	v_mul_u32_u24_e32 v90, 0x10001, v57
	v_pk_fma_f16 v102, v135, v85, v66
	v_pk_fma_f16 v104, v135, v80, v55
	;; [unrolled: 1-line block ×3, first 2 shown]
	ds_load_2addr_b64 v[55:58], v14 offset1:32
	ds_load_2addr_b64 v[63:66], v14 offset0:64 offset1:96
	v_pk_fma_f16 v62, v115, v79, v62
	v_pk_fma_f16 v59, v120, v79, v59
	;; [unrolled: 1-line block ×4, first 2 shown]
	v_and_b32_e32 v79, 0xffff, v130
	v_pk_fma_f16 v91, v131, v85, v62
	v_pk_fma_f16 v105, v136, v85, v59
	;; [unrolled: 1-line block ×4, first 2 shown]
	v_mul_u32_u24_e32 v79, 0x10001, v79
	v_pk_fma_f16 v109, v137, v90, v68
	v_pk_fma_f16 v85, v138, v85, v61
	ds_load_b128 v[59:62], v40 offset:656
	s_wait_dscnt 0x3
	v_and_b32_e32 v67, 0xffff, v51
	v_lshrrev_b32_e32 v51, 16, v51
	v_and_b32_e32 v68, 0xffff, v52
	v_lshrrev_b32_e32 v52, 16, v52
	v_pk_fma_f16 v92, v131, v90, v70
	v_pk_fma_f16 v82, v131, v79, v82
	;; [unrolled: 1-line block ×17, first 2 shown]
	v_mul_u32_u24_e32 v81, 0x10001, v67
	v_mul_u32_u24_e32 v51, 0x10001, v51
	;; [unrolled: 1-line block ×4, first 2 shown]
	ds_load_b128 v[67:70], v40 offset:672
	ds_load_b128 v[71:74], v40 offset:688
	s_wait_dscnt 0x4
	v_pk_fma_f16 v91, v55, v81, v91
	v_pk_fma_f16 v92, v55, v51, v92
	;; [unrolled: 1-line block ×16, first 2 shown]
	s_wait_dscnt 0x3
	v_pk_fma_f16 v102, v63, v81, v102
	v_pk_fma_f16 v103, v63, v51, v103
	;; [unrolled: 1-line block ×6, first 2 shown]
	ds_load_2addr_b64 v[55:58], v14 offset0:128 offset1:160
	v_pk_fma_f16 v75, v64, v88, v75
	v_pk_fma_f16 v64, v64, v110, v107
	;; [unrolled: 1-line block ×9, first 2 shown]
	v_and_b32_e32 v88, 0xffff, v53
	v_lshrrev_b32_e32 v89, 16, v53
	v_and_b32_e32 v90, 0xffff, v54
	v_lshrrev_b32_e32 v108, 16, v54
	ds_load_2addr_b64 v[51:54], v14 offset0:192 offset1:224
	v_mul_u32_u24_e32 v88, 0x10001, v88
	v_mul_u32_u24_e32 v89, 0x10001, v89
	;; [unrolled: 1-line block ×4, first 2 shown]
	v_pk_fma_f16 v80, v66, v110, v80
	s_wait_dscnt 0x1
	v_pk_fma_f16 v91, v55, v88, v91
	v_pk_fma_f16 v92, v55, v89, v92
	;; [unrolled: 1-line block ×16, first 2 shown]
	s_wait_dscnt 0x0
	v_pk_fma_f16 v102, v51, v88, v102
	v_pk_fma_f16 v103, v51, v89, v103
	;; [unrolled: 1-line block ×4, first 2 shown]
	ds_load_2addr_b64 v[55:58], v13 offset1:32
	v_pk_fma_f16 v109, v52, v108, v64
	v_pk_fma_f16 v110, v53, v108, v65
	ds_load_2addr_b64 v[63:66], v13 offset0:64 offset1:96
	v_pk_fma_f16 v104, v52, v88, v104
	v_pk_fma_f16 v105, v52, v89, v105
	;; [unrolled: 1-line block ×6, first 2 shown]
	v_and_b32_e32 v52, 0xffff, v59
	v_lshrrev_b32_e32 v53, 16, v59
	v_and_b32_e32 v59, 0xffff, v60
	v_lshrrev_b32_e32 v60, 16, v60
	v_pk_fma_f16 v81, v54, v88, v81
	v_pk_fma_f16 v85, v54, v89, v85
	v_mul_u32_u24_e32 v88, 0x10001, v52
	v_mul_u32_u24_e32 v89, 0x10001, v53
	;; [unrolled: 1-line block ×4, first 2 shown]
	v_pk_fma_f16 v79, v54, v90, v79
	v_pk_fma_f16 v80, v54, v108, v80
	s_wait_dscnt 0x1
	v_pk_fma_f16 v90, v55, v88, v91
	v_pk_fma_f16 v91, v55, v89, v92
	;; [unrolled: 1-line block ×16, first 2 shown]
	s_wait_dscnt 0x0
	v_pk_fma_f16 v101, v63, v88, v102
	v_pk_fma_f16 v102, v63, v89, v103
	v_pk_fma_f16 v86, v63, v59, v86
	v_pk_fma_f16 v63, v63, v60, v51
	ds_load_2addr_b64 v[51:54], v13 offset0:128 offset1:160
	ds_load_2addr_b64 v[55:58], v13 offset0:192 offset1:224
	v_pk_fma_f16 v103, v64, v88, v104
	v_pk_fma_f16 v104, v64, v89, v105
	;; [unrolled: 1-line block ×7, first 2 shown]
	v_and_b32_e32 v79, 0xffff, v61
	v_lshrrev_b32_e32 v61, 16, v61
	v_and_b32_e32 v88, 0xffff, v62
	v_lshrrev_b32_e32 v62, 16, v62
	v_pk_fma_f16 v64, v64, v60, v109
	v_pk_fma_f16 v106, v65, v89, v107
	v_pk_fma_f16 v65, v65, v60, v110
	v_pk_fma_f16 v85, v66, v89, v85
	v_mul_u32_u24_e32 v79, 0x10001, v79
	v_mul_u32_u24_e32 v61, 0x10001, v61
	;; [unrolled: 1-line block ×4, first 2 shown]
	v_pk_fma_f16 v66, v66, v60, v80
	s_wait_dscnt 0x1
	v_pk_fma_f16 v80, v51, v79, v90
	v_pk_fma_f16 v90, v51, v61, v91
	;; [unrolled: 1-line block ×16, first 2 shown]
	s_wait_dscnt 0x0
	v_pk_fma_f16 v100, v55, v79, v101
	v_pk_fma_f16 v101, v55, v61, v102
	;; [unrolled: 1-line block ×6, first 2 shown]
	ds_load_2addr_b64 v[51:54], v49 offset1:32
	v_pk_fma_f16 v75, v56, v88, v75
	v_pk_fma_f16 v56, v56, v89, v64
	;; [unrolled: 1-line block ×9, first 2 shown]
	ds_load_2addr_b64 v[59:62], v49 offset0:64 offset1:96
	v_and_b32_e32 v85, 0xffff, v67
	v_lshrrev_b32_e32 v67, 16, v67
	v_and_b32_e32 v88, 0xffff, v68
	v_lshrrev_b32_e32 v68, 16, v68
	v_pk_fma_f16 v66, v58, v89, v66
	v_mul_u32_u24_e32 v85, 0x10001, v85
	v_mul_u32_u24_e32 v67, 0x10001, v67
	;; [unrolled: 1-line block ×4, first 2 shown]
	s_or_b32 s26, s4, 0x60
	s_wait_dscnt 0x1
	v_pk_fma_f16 v80, v51, v85, v80
	v_pk_fma_f16 v89, v51, v67, v90
	;; [unrolled: 1-line block ×16, first 2 shown]
	s_wait_dscnt 0x0
	v_pk_fma_f16 v99, v59, v85, v100
	v_pk_fma_f16 v100, v59, v67, v101
	;; [unrolled: 1-line block ×6, first 2 shown]
	ds_load_2addr_b64 v[51:54], v49 offset0:128 offset1:160
	v_pk_fma_f16 v75, v60, v88, v75
	v_pk_fma_f16 v60, v60, v68, v56
	;; [unrolled: 1-line block ×6, first 2 shown]
	ds_load_2addr_b64 v[55:58], v49 offset0:192 offset1:224
	v_pk_fma_f16 v65, v62, v85, v65
	v_pk_fma_f16 v67, v62, v67, v79
	;; [unrolled: 1-line block ×3, first 2 shown]
	v_and_b32_e32 v81, 0xffff, v69
	v_lshrrev_b32_e32 v69, 16, v69
	v_and_b32_e32 v85, 0xffff, v70
	v_lshrrev_b32_e32 v70, 16, v70
	v_pk_fma_f16 v66, v62, v68, v66
	v_mul_u32_u24_e32 v81, 0x10001, v81
	v_mul_u32_u24_e32 v69, 0x10001, v69
	;; [unrolled: 1-line block ×4, first 2 shown]
	s_wait_alu 0xfffe
	s_ashr_i32 s27, s26, 31
	s_wait_dscnt 0x1
	v_pk_fma_f16 v68, v51, v81, v80
	v_pk_fma_f16 v80, v51, v69, v89
	;; [unrolled: 1-line block ×16, first 2 shown]
	s_wait_dscnt 0x0
	v_pk_fma_f16 v97, v55, v81, v99
	v_pk_fma_f16 v98, v55, v69, v100
	v_pk_fma_f16 v86, v55, v85, v86
	v_pk_fma_f16 v55, v55, v70, v59
	v_pk_fma_f16 v63, v56, v81, v63
	v_pk_fma_f16 v99, v56, v69, v101
	ds_load_2addr_b64 v[51:54], v50 offset1:32
	v_pk_fma_f16 v75, v56, v85, v75
	v_pk_fma_f16 v56, v56, v70, v60
	;; [unrolled: 1-line block ×6, first 2 shown]
	ds_load_2addr_b64 v[59:62], v50 offset0:64 offset1:96
	v_pk_fma_f16 v65, v58, v81, v65
	v_pk_fma_f16 v67, v58, v69, v67
	;; [unrolled: 1-line block ×3, first 2 shown]
	v_and_b32_e32 v79, 0xffff, v71
	v_lshrrev_b32_e32 v71, 16, v71
	v_and_b32_e32 v81, 0xffff, v72
	v_lshrrev_b32_e32 v72, 16, v72
	v_pk_fma_f16 v66, v58, v70, v66
	v_mul_u32_u24_e32 v79, 0x10001, v79
	v_mul_u32_u24_e32 v71, 0x10001, v71
	;; [unrolled: 1-line block ×4, first 2 shown]
	s_wait_alu 0xfffe
	s_mul_u64 s[26:27], s[26:27], s[14:15]
	s_wait_dscnt 0x1
	v_pk_fma_f16 v68, v51, v79, v68
	v_pk_fma_f16 v70, v51, v71, v80
	;; [unrolled: 1-line block ×16, first 2 shown]
	s_wait_dscnt 0x0
	v_pk_fma_f16 v155, v59, v72, v55
	ds_load_2addr_b64 v[51:54], v50 offset0:128 offset1:160
	v_pk_fma_f16 v159, v60, v72, v56
	v_pk_fma_f16 v163, v61, v72, v57
	ds_load_2addr_b64 v[55:58], v50 offset0:192 offset1:224
	s_wait_alu 0xfffe
	s_lshl_b64 s[26:27], s[26:27], 2
	v_pk_fma_f16 v158, v60, v81, v75
	s_wait_alu 0xfffe
	s_add_nc_u64 s[26:27], s[8:9], s[26:27]
	v_pk_fma_f16 v95, v59, v79, v97
	s_wait_alu 0xfffe
	v_add_co_u32 v75, vcc_lo, s26, v27
	v_pk_fma_f16 v96, v59, v71, v98
	v_pk_fma_f16 v86, v59, v81, v86
	;; [unrolled: 1-line block ×7, first 2 shown]
	v_and_b32_e32 v59, 0xffff, v73
	v_lshrrev_b32_e32 v60, 16, v73
	v_and_b32_e32 v61, 0xffff, v74
	v_lshrrev_b32_e32 v63, 16, v74
	s_wait_alu 0xfffd
	v_add_co_ci_u32_e64 v76, null, s27, v28, vcc_lo
	v_add_co_u32 v139, vcc_lo, s26, v29
	s_wait_alu 0xfffd
	v_add_co_ci_u32_e64 v140, null, s27, v30, vcc_lo
	v_add_co_u32 v75, vcc_lo, v75, v78
	v_mul_u32_u24_e32 v167, 0x10001, v59
	v_mul_u32_u24_e32 v168, 0x10001, v60
	;; [unrolled: 1-line block ×4, first 2 shown]
	s_wait_alu 0xfffd
	v_add_co_ci_u32_e64 v76, null, 0, v76, vcc_lo
	v_add_co_u32 v151, vcc_lo, v139, v78
	s_wait_alu 0xfffd
	v_add_co_ci_u32_e64 v152, null, 0, v140, vcc_lo
	v_pk_fma_f16 v164, v62, v79, v65
	v_pk_fma_f16 v165, v62, v71, v67
	;; [unrolled: 1-line block ×4, first 2 shown]
	s_wait_dscnt 0x1
	v_pk_fma_f16 v172, v51, v167, v68
	v_pk_fma_f16 v173, v51, v168, v70
	;; [unrolled: 1-line block ×16, first 2 shown]
	s_wait_dscnt 0x0
	v_pk_fma_f16 v187, v55, v167, v95
	v_pk_fma_f16 v188, v55, v168, v96
	;; [unrolled: 1-line block ×3, first 2 shown]
	ds_load_2addr_b64 v[51:54], v48 offset1:32
	ds_load_2addr_b64 v[59:62], v48 offset0:64 offset1:96
	ds_load_2addr_b64 v[63:66], v48 offset0:128 offset1:160
	ds_load_2addr_b64 v[67:70], v48 offset0:192 offset1:224
	ds_load_2addr_b64 v[71:74], v47 offset1:32
	ds_load_2addr_b64 v[79:82], v47 offset0:64 offset1:96
	ds_load_b128 v[83:86], v40 offset:704
	ds_load_b128 v[87:90], v40 offset:720
	ds_load_2addr_b64 v[91:94], v47 offset0:128 offset1:160
	ds_load_2addr_b64 v[95:98], v47 offset0:192 offset1:224
	ds_load_2addr_b64 v[99:102], v46 offset1:32
	ds_load_2addr_b64 v[103:106], v46 offset0:64 offset1:96
	ds_load_2addr_b64 v[107:110], v46 offset0:128 offset1:160
	;; [unrolled: 1-line block ×3, first 2 shown]
	ds_load_2addr_b64 v[115:118], v15 offset1:32
	ds_load_2addr_b64 v[119:122], v15 offset0:64 offset1:96
	ds_load_b128 v[123:126], v40 offset:736
	ds_load_b128 v[127:130], v40 offset:752
	ds_load_2addr_b64 v[131:134], v15 offset0:128 offset1:160
	ds_load_2addr_b64 v[135:138], v15 offset0:192 offset1:224
	s_wait_loadcnt_dscnt 0x0
	s_barrier_signal -1
	s_barrier_wait -1
	global_inv scope:SCOPE_SE
	s_clause 0x3
	global_load_b128 v[139:142], v[75:76], off
	global_load_b128 v[143:146], v[75:76], off offset:512
	global_load_b128 v[147:150], v[151:152], off
	global_load_b128 v[151:154], v[151:152], off offset:512
	v_pk_fma_f16 v55, v55, v170, v155
	v_pk_fma_f16 v76, v56, v168, v157
	;; [unrolled: 1-line block ×5, first 2 shown]
	v_and_b32_e32 v161, 0xffff, v83
	v_lshrrev_b32_e32 v83, 16, v83
	v_and_b32_e32 v162, 0xffff, v84
	v_lshrrev_b32_e32 v84, 16, v84
	v_pk_fma_f16 v75, v56, v167, v156
	v_pk_fma_f16 v56, v56, v170, v159
	;; [unrolled: 1-line block ×3, first 2 shown]
	v_mul_u32_u24_e32 v161, 0x10001, v161
	v_mul_u32_u24_e32 v83, 0x10001, v83
	;; [unrolled: 1-line block ×4, first 2 shown]
	v_pk_fma_f16 v57, v57, v170, v163
	v_pk_fma_f16 v159, v58, v167, v164
	v_pk_fma_f16 v160, v58, v168, v165
	v_pk_fma_f16 v163, v58, v169, v166
	v_pk_fma_f16 v164, v51, v161, v172
	v_pk_fma_f16 v165, v51, v83, v173
	v_pk_fma_f16 v166, v51, v162, v174
	v_pk_fma_f16 v51, v51, v84, v175
	v_pk_fma_f16 v167, v52, v161, v176
	v_pk_fma_f16 v168, v52, v83, v177
	v_pk_fma_f16 v175, v59, v161, v187
	v_pk_fma_f16 v176, v59, v83, v188
	v_pk_fma_f16 v177, v59, v162, v189
	v_pk_fma_f16 v55, v59, v84, v55
	v_pk_fma_f16 v59, v60, v161, v75
	v_pk_fma_f16 v75, v60, v83, v76
	v_pk_fma_f16 v76, v60, v162, v155
	v_pk_fma_f16 v56, v60, v84, v56
	v_pk_fma_f16 v60, v61, v161, v156
	v_pk_fma_f16 v155, v61, v83, v157
	v_pk_fma_f16 v156, v61, v162, v158
	v_and_b32_e32 v157, 0xffff, v85
	v_lshrrev_b32_e32 v85, 16, v85
	v_and_b32_e32 v158, 0xffff, v86
	v_lshrrev_b32_e32 v86, 16, v86
	v_pk_fma_f16 v58, v58, v170, v171
	v_pk_fma_f16 v169, v52, v162, v178
	;; [unrolled: 1-line block ×13, first 2 shown]
	v_mul_u32_u24_e32 v157, 0x10001, v157
	v_mul_u32_u24_e32 v85, 0x10001, v85
	;; [unrolled: 1-line block ×4, first 2 shown]
	v_pk_fma_f16 v61, v62, v161, v159
	v_pk_fma_f16 v159, v62, v162, v163
	;; [unrolled: 1-line block ×32, first 2 shown]
	v_and_b32_e32 v83, 0xffff, v87
	v_lshrrev_b32_e32 v85, 16, v87
	v_and_b32_e32 v87, 0xffff, v88
	v_lshrrev_b32_e32 v88, 16, v88
	v_pk_fma_f16 v61, v70, v157, v61
	v_mul_u32_u24_e32 v83, 0x10001, v83
	v_mul_u32_u24_e32 v85, 0x10001, v85
	;; [unrolled: 1-line block ×4, first 2 shown]
	v_pk_fma_f16 v155, v70, v158, v159
	v_pk_fma_f16 v59, v80, v83, v59
	;; [unrolled: 1-line block ×5, first 2 shown]
	v_lshrrev_b32_e32 v80, 16, v89
	v_pk_fma_f16 v58, v70, v86, v58
	v_pk_fma_f16 v62, v71, v83, v62
	;; [unrolled: 1-line block ×20, first 2 shown]
	v_mul_u32_u24_e32 v80, 0x10001, v80
	v_pk_fma_f16 v66, v79, v83, v66
	v_pk_fma_f16 v157, v79, v87, v167
	;; [unrolled: 1-line block ×12, first 2 shown]
	v_lshrrev_b32_e32 v80, 16, v123
	v_pk_fma_f16 v76, v81, v87, v76
	v_pk_fma_f16 v57, v81, v88, v57
	v_and_b32_e32 v79, 0xffff, v89
	v_and_b32_e32 v81, 0xffff, v90
	v_mul_u32_u24_e32 v80, 0x10001, v80
	v_pk_fma_f16 v61, v82, v83, v61
	v_lshrrev_b32_e32 v83, 16, v90
	v_pk_fma_f16 v85, v82, v87, v155
	v_mul_u32_u24_e32 v79, 0x10001, v79
	v_mul_u32_u24_e32 v81, 0x10001, v81
	v_pk_fma_f16 v58, v82, v88, v58
	v_and_b32_e32 v88, 0xffff, v124
	v_pk_fma_f16 v70, v99, v80, v70
	v_pk_fma_f16 v71, v100, v80, v71
	;; [unrolled: 1-line block ×8, first 2 shown]
	v_lshrrev_b32_e32 v80, 16, v125
	v_mul_u32_u24_e32 v83, 0x10001, v83
	v_pk_fma_f16 v62, v91, v79, v62
	v_pk_fma_f16 v82, v91, v81, v84
	;; [unrolled: 1-line block ×15, first 2 shown]
	v_and_b32_e32 v79, 0xffff, v123
	v_lshrrev_b32_e32 v89, 16, v124
	v_pk_fma_f16 v81, v98, v81, v85
	v_mul_u32_u24_e32 v85, 0x10001, v88
	v_mul_u32_u24_e32 v80, 0x10001, v80
	v_pk_fma_f16 v51, v91, v83, v51
	v_pk_fma_f16 v52, v92, v83, v52
	;; [unrolled: 1-line block ×7, first 2 shown]
	v_mul_u32_u24_e32 v79, 0x10001, v79
	v_mul_u32_u24_e32 v88, 0x10001, v89
	v_pk_fma_f16 v58, v98, v83, v58
	v_pk_fma_f16 v83, v100, v85, v84
	v_pk_fma_f16 v84, v101, v85, v86
	v_pk_fma_f16 v86, v103, v85, v87
	v_and_b32_e32 v87, 0xffff, v126
	v_lshrrev_b32_e32 v89, 16, v126
	v_pk_fma_f16 v70, v107, v80, v70
	v_pk_fma_f16 v71, v108, v80, v71
	v_pk_fma_f16 v72, v109, v80, v72
	v_pk_fma_f16 v73, v110, v80, v73
	v_pk_fma_f16 v74, v111, v80, v74
	v_pk_fma_f16 v67, v112, v80, v67
	v_pk_fma_f16 v68, v113, v80, v68
	v_pk_fma_f16 v69, v114, v80, v69
	v_lshrrev_b32_e32 v80, 16, v127
	v_pk_fma_f16 v62, v99, v79, v62
	v_pk_fma_f16 v82, v99, v85, v82
	;; [unrolled: 1-line block ×19, first 2 shown]
	v_and_b32_e32 v79, 0xffff, v125
	v_pk_fma_f16 v81, v106, v85, v81
	v_mul_u32_u24_e32 v85, 0x10001, v87
	v_mul_u32_u24_e32 v87, 0x10001, v89
	v_pk_fma_f16 v58, v106, v88, v58
	v_and_b32_e32 v88, 0xffff, v128
	v_lshrrev_b32_e32 v89, 16, v128
	v_mul_u32_u24_e32 v80, 0x10001, v80
	v_mul_u32_u24_e32 v79, 0x10001, v79
	v_pk_fma_f16 v82, v107, v85, v82
	v_pk_fma_f16 v51, v107, v87, v51
	;; [unrolled: 1-line block ×12, first 2 shown]
	v_mul_u32_u24_e32 v85, 0x10001, v88
	v_mul_u32_u24_e32 v88, 0x10001, v89
	v_pk_fma_f16 v70, v115, v80, v70
	v_pk_fma_f16 v71, v116, v80, v71
	;; [unrolled: 1-line block ×8, first 2 shown]
	v_lshrrev_b32_e32 v80, 16, v130
	v_pk_fma_f16 v62, v107, v79, v62
	v_pk_fma_f16 v63, v108, v79, v63
	;; [unrolled: 1-line block ×11, first 2 shown]
	v_and_b32_e32 v79, 0xffff, v127
	v_pk_fma_f16 v58, v114, v87, v58
	v_pk_fma_f16 v51, v115, v88, v51
	;; [unrolled: 1-line block ×5, first 2 shown]
	v_and_b32_e32 v54, 0xffff, v129
	v_mul_u32_u24_e32 v80, 0x10001, v80
	v_mul_u32_u24_e32 v79, 0x10001, v79
	v_pk_fma_f16 v82, v115, v85, v82
	v_pk_fma_f16 v83, v116, v85, v83
	;; [unrolled: 1-line block ×8, first 2 shown]
	v_mul_u32_u24_e32 v85, 0x10001, v54
	v_pk_fma_f16 v93, v131, v80, v51
	v_pk_fma_f16 v96, v132, v80, v52
	;; [unrolled: 1-line block ×3, first 2 shown]
	s_wait_loadcnt 0x3
	ds_store_b128 v41, v[139:142]
	s_wait_loadcnt 0x2
	ds_store_b128 v42, v[143:146]
	;; [unrolled: 2-line block ×4, first 2 shown]
	s_wait_dscnt 0x0
	s_barrier_signal -1
	s_barrier_wait -1
	global_inv scope:SCOPE_SE
	ds_load_b128 v[51:54], v40 offset:768
	v_pk_fma_f16 v63, v116, v79, v63
	v_pk_fma_f16 v64, v117, v79, v64
	;; [unrolled: 1-line block ×7, first 2 shown]
	v_lshrrev_b32_e32 v57, 16, v129
	v_pk_fma_f16 v88, v122, v88, v58
	v_pk_fma_f16 v94, v132, v85, v63
	;; [unrolled: 1-line block ×4, first 2 shown]
	v_mul_u32_u24_e32 v90, 0x10001, v57
	v_pk_fma_f16 v102, v135, v85, v66
	v_pk_fma_f16 v104, v135, v80, v55
	;; [unrolled: 1-line block ×3, first 2 shown]
	ds_load_2addr_b64 v[55:58], v14 offset1:32
	ds_load_2addr_b64 v[63:66], v14 offset0:64 offset1:96
	v_pk_fma_f16 v62, v115, v79, v62
	v_pk_fma_f16 v59, v120, v79, v59
	v_pk_fma_f16 v60, v121, v79, v60
	v_pk_fma_f16 v61, v122, v79, v61
	v_and_b32_e32 v79, 0xffff, v130
	v_pk_fma_f16 v91, v131, v85, v62
	v_pk_fma_f16 v105, v136, v85, v59
	;; [unrolled: 1-line block ×4, first 2 shown]
	v_mul_u32_u24_e32 v79, 0x10001, v79
	v_pk_fma_f16 v109, v137, v90, v68
	v_pk_fma_f16 v85, v138, v85, v61
	ds_load_b128 v[59:62], v40 offset:784
	s_wait_dscnt 0x3
	v_and_b32_e32 v67, 0xffff, v51
	v_lshrrev_b32_e32 v51, 16, v51
	v_and_b32_e32 v68, 0xffff, v52
	v_lshrrev_b32_e32 v52, 16, v52
	v_pk_fma_f16 v92, v131, v90, v70
	v_pk_fma_f16 v82, v131, v79, v82
	;; [unrolled: 1-line block ×17, first 2 shown]
	v_mul_u32_u24_e32 v81, 0x10001, v67
	v_mul_u32_u24_e32 v51, 0x10001, v51
	;; [unrolled: 1-line block ×4, first 2 shown]
	ds_load_b128 v[67:70], v40 offset:800
	ds_load_b128 v[71:74], v40 offset:816
	s_wait_dscnt 0x4
	v_pk_fma_f16 v91, v55, v81, v91
	v_pk_fma_f16 v92, v55, v51, v92
	;; [unrolled: 1-line block ×16, first 2 shown]
	s_wait_dscnt 0x3
	v_pk_fma_f16 v102, v63, v81, v102
	v_pk_fma_f16 v103, v63, v51, v103
	;; [unrolled: 1-line block ×6, first 2 shown]
	ds_load_2addr_b64 v[55:58], v14 offset0:128 offset1:160
	v_pk_fma_f16 v75, v64, v88, v75
	v_pk_fma_f16 v64, v64, v110, v107
	;; [unrolled: 1-line block ×9, first 2 shown]
	v_and_b32_e32 v88, 0xffff, v53
	v_lshrrev_b32_e32 v89, 16, v53
	v_and_b32_e32 v90, 0xffff, v54
	v_lshrrev_b32_e32 v108, 16, v54
	ds_load_2addr_b64 v[51:54], v14 offset0:192 offset1:224
	v_mul_u32_u24_e32 v88, 0x10001, v88
	v_mul_u32_u24_e32 v89, 0x10001, v89
	;; [unrolled: 1-line block ×4, first 2 shown]
	v_pk_fma_f16 v80, v66, v110, v80
	s_wait_dscnt 0x1
	v_pk_fma_f16 v91, v55, v88, v91
	v_pk_fma_f16 v92, v55, v89, v92
	;; [unrolled: 1-line block ×16, first 2 shown]
	s_wait_dscnt 0x0
	v_pk_fma_f16 v102, v51, v88, v102
	v_pk_fma_f16 v103, v51, v89, v103
	;; [unrolled: 1-line block ×4, first 2 shown]
	ds_load_2addr_b64 v[55:58], v13 offset1:32
	v_pk_fma_f16 v109, v52, v108, v64
	v_pk_fma_f16 v110, v53, v108, v65
	ds_load_2addr_b64 v[63:66], v13 offset0:64 offset1:96
	v_pk_fma_f16 v104, v52, v88, v104
	v_pk_fma_f16 v105, v52, v89, v105
	;; [unrolled: 1-line block ×6, first 2 shown]
	v_and_b32_e32 v52, 0xffff, v59
	v_lshrrev_b32_e32 v53, 16, v59
	v_and_b32_e32 v59, 0xffff, v60
	v_lshrrev_b32_e32 v60, 16, v60
	v_pk_fma_f16 v81, v54, v88, v81
	v_pk_fma_f16 v85, v54, v89, v85
	v_mul_u32_u24_e32 v88, 0x10001, v52
	v_mul_u32_u24_e32 v89, 0x10001, v53
	;; [unrolled: 1-line block ×4, first 2 shown]
	v_pk_fma_f16 v79, v54, v90, v79
	v_pk_fma_f16 v80, v54, v108, v80
	s_wait_dscnt 0x1
	v_pk_fma_f16 v90, v55, v88, v91
	v_pk_fma_f16 v91, v55, v89, v92
	;; [unrolled: 1-line block ×11, first 2 shown]
	s_wait_dscnt 0x0
	v_pk_fma_f16 v101, v63, v88, v102
	v_pk_fma_f16 v102, v63, v89, v103
	;; [unrolled: 1-line block ×4, first 2 shown]
	ds_load_2addr_b64 v[51:54], v13 offset0:128 offset1:160
	v_pk_fma_f16 v82, v55, v59, v82
	v_pk_fma_f16 v83, v56, v59, v83
	;; [unrolled: 1-line block ×12, first 2 shown]
	v_and_b32_e32 v79, 0xffff, v61
	v_lshrrev_b32_e32 v61, 16, v61
	v_and_b32_e32 v88, 0xffff, v62
	v_lshrrev_b32_e32 v62, 16, v62
	ds_load_2addr_b64 v[55:58], v13 offset0:192 offset1:224
	v_pk_fma_f16 v106, v65, v89, v107
	v_pk_fma_f16 v85, v66, v89, v85
	v_mul_u32_u24_e32 v79, 0x10001, v79
	v_mul_u32_u24_e32 v61, 0x10001, v61
	;; [unrolled: 1-line block ×4, first 2 shown]
	v_pk_fma_f16 v66, v66, v60, v80
	s_wait_dscnt 0x1
	v_pk_fma_f16 v80, v51, v79, v90
	v_pk_fma_f16 v90, v51, v61, v91
	;; [unrolled: 1-line block ×16, first 2 shown]
	ds_load_2addr_b64 v[51:54], v49 offset1:32
	v_pk_fma_f16 v64, v64, v60, v109
	v_pk_fma_f16 v65, v65, v60, v110
	s_wait_dscnt 0x1
	v_pk_fma_f16 v100, v55, v79, v101
	v_pk_fma_f16 v101, v55, v61, v102
	;; [unrolled: 1-line block ×15, first 2 shown]
	v_and_b32_e32 v85, 0xffff, v67
	v_lshrrev_b32_e32 v67, 16, v67
	v_and_b32_e32 v88, 0xffff, v68
	v_lshrrev_b32_e32 v68, 16, v68
	ds_load_2addr_b64 v[59:62], v49 offset0:64 offset1:96
	v_mul_u32_u24_e32 v85, 0x10001, v85
	v_mul_u32_u24_e32 v67, 0x10001, v67
	v_mul_u32_u24_e32 v88, 0x10001, v88
	v_mul_u32_u24_e32 v68, 0x10001, v68
	v_pk_fma_f16 v66, v58, v89, v66
	s_wait_dscnt 0x1
	v_pk_fma_f16 v80, v51, v85, v80
	v_pk_fma_f16 v89, v51, v67, v90
	;; [unrolled: 1-line block ×16, first 2 shown]
	ds_load_2addr_b64 v[51:54], v49 offset0:128 offset1:160
	s_wait_dscnt 0x1
	v_pk_fma_f16 v99, v59, v85, v100
	v_pk_fma_f16 v100, v59, v67, v101
	;; [unrolled: 1-line block ×15, first 2 shown]
	v_and_b32_e32 v81, 0xffff, v69
	v_lshrrev_b32_e32 v69, 16, v69
	v_and_b32_e32 v85, 0xffff, v70
	v_lshrrev_b32_e32 v70, 16, v70
	ds_load_2addr_b64 v[55:58], v49 offset0:192 offset1:224
	v_mul_u32_u24_e32 v81, 0x10001, v81
	v_mul_u32_u24_e32 v69, 0x10001, v69
	;; [unrolled: 1-line block ×4, first 2 shown]
	v_pk_fma_f16 v66, v62, v68, v66
	s_wait_dscnt 0x1
	v_pk_fma_f16 v68, v51, v81, v80
	v_pk_fma_f16 v80, v51, v69, v89
	;; [unrolled: 1-line block ×16, first 2 shown]
	ds_load_2addr_b64 v[51:54], v50 offset1:32
	s_wait_dscnt 0x1
	v_pk_fma_f16 v97, v55, v81, v99
	v_pk_fma_f16 v98, v55, v69, v100
	;; [unrolled: 1-line block ×15, first 2 shown]
	v_and_b32_e32 v79, 0xffff, v71
	v_lshrrev_b32_e32 v71, 16, v71
	v_and_b32_e32 v81, 0xffff, v72
	v_lshrrev_b32_e32 v72, 16, v72
	ds_load_2addr_b64 v[59:62], v50 offset0:64 offset1:96
	v_mul_u32_u24_e32 v79, 0x10001, v79
	v_mul_u32_u24_e32 v71, 0x10001, v71
	;; [unrolled: 1-line block ×4, first 2 shown]
	v_pk_fma_f16 v66, v58, v70, v66
	s_wait_dscnt 0x1
	v_pk_fma_f16 v68, v51, v79, v68
	v_pk_fma_f16 v70, v51, v71, v80
	;; [unrolled: 1-line block ×16, first 2 shown]
	ds_load_2addr_b64 v[51:54], v50 offset0:128 offset1:160
	s_or_b32 s26, s4, 0x70
	s_wait_dscnt 0x1
	v_pk_fma_f16 v151, v59, v72, v55
	v_pk_fma_f16 v155, v60, v72, v56
	;; [unrolled: 1-line block ×6, first 2 shown]
	v_and_b32_e32 v61, 0xffff, v74
	ds_load_2addr_b64 v[55:58], v50 offset0:192 offset1:224
	s_wait_alu 0xfffe
	s_ashr_i32 s27, s26, 31
	v_pk_fma_f16 v154, v60, v81, v75
	s_wait_alu 0xfffe
	s_mul_u64 s[26:27], s[26:27], s[14:15]
	v_mul_u32_u24_e32 v165, 0x10001, v61
	s_wait_alu 0xfffe
	s_lshl_b64 s[26:27], s[26:27], 2
	v_pk_fma_f16 v95, v59, v79, v97
	s_wait_alu 0xfffe
	s_add_nc_u64 s[26:27], s[8:9], s[26:27]
	v_pk_fma_f16 v96, v59, v71, v98
	s_wait_alu 0xfffe
	v_add_co_u32 v75, vcc_lo, s26, v27
	v_pk_fma_f16 v86, v59, v81, v86
	v_pk_fma_f16 v152, v60, v79, v63
	v_pk_fma_f16 v153, v60, v71, v99
	v_and_b32_e32 v59, 0xffff, v73
	v_lshrrev_b32_e32 v60, 16, v73
	v_lshrrev_b32_e32 v63, 16, v74
	s_wait_dscnt 0x1
	v_pk_fma_f16 v182, v54, v165, v77
	s_wait_alu 0xfffd
	v_add_co_ci_u32_e64 v76, null, s27, v28, vcc_lo
	v_add_co_u32 v77, vcc_lo, s26, v29
	s_wait_alu 0xfffd
	v_add_co_ci_u32_e64 v141, null, s27, v30, vcc_lo
	v_add_co_u32 v139, vcc_lo, v75, v78
	v_mul_u32_u24_e32 v163, 0x10001, v59
	v_mul_u32_u24_e32 v164, 0x10001, v60
	;; [unrolled: 1-line block ×3, first 2 shown]
	s_wait_alu 0xfffd
	v_add_co_ci_u32_e64 v140, null, 0, v76, vcc_lo
	v_add_co_u32 v147, vcc_lo, v77, v78
	s_wait_alu 0xfffd
	v_add_co_ci_u32_e64 v148, null, 0, v141, vcc_lo
	v_pk_fma_f16 v160, v62, v79, v65
	v_pk_fma_f16 v161, v62, v71, v67
	;; [unrolled: 1-line block ×19, first 2 shown]
	s_wait_dscnt 0x0
	v_pk_fma_f16 v184, v55, v163, v95
	v_pk_fma_f16 v185, v55, v164, v96
	;; [unrolled: 1-line block ×3, first 2 shown]
	ds_load_2addr_b64 v[51:54], v48 offset1:32
	ds_load_2addr_b64 v[59:62], v48 offset0:64 offset1:96
	ds_load_2addr_b64 v[63:66], v48 offset0:128 offset1:160
	;; [unrolled: 1-line block ×3, first 2 shown]
	ds_load_2addr_b64 v[71:74], v47 offset1:32
	ds_load_2addr_b64 v[79:82], v47 offset0:64 offset1:96
	ds_load_b128 v[83:86], v40 offset:832
	ds_load_b128 v[87:90], v40 offset:848
	ds_load_2addr_b64 v[91:94], v47 offset0:128 offset1:160
	ds_load_2addr_b64 v[95:98], v47 offset0:192 offset1:224
	ds_load_2addr_b64 v[99:102], v46 offset1:32
	ds_load_2addr_b64 v[103:106], v46 offset0:64 offset1:96
	ds_load_2addr_b64 v[107:110], v46 offset0:128 offset1:160
	ds_load_2addr_b64 v[111:114], v46 offset0:192 offset1:224
	ds_load_2addr_b64 v[115:118], v15 offset1:32
	ds_load_2addr_b64 v[119:122], v15 offset0:64 offset1:96
	ds_load_b128 v[123:126], v40 offset:864
	ds_load_b128 v[127:130], v40 offset:880
	ds_load_2addr_b64 v[131:134], v15 offset0:128 offset1:160
	ds_load_2addr_b64 v[135:138], v15 offset0:192 offset1:224
	s_wait_loadcnt_dscnt 0x0
	s_barrier_signal -1
	s_barrier_wait -1
	global_inv scope:SCOPE_SE
	s_clause 0x3
	global_load_b128 v[75:78], v[139:140], off
	global_load_b128 v[139:142], v[139:140], off offset:512
	global_load_b128 v[143:146], v[147:148], off
	global_load_b128 v[147:150], v[147:148], off offset:512
	v_pk_fma_f16 v55, v55, v166, v151
	v_pk_fma_f16 v151, v56, v163, v152
	;; [unrolled: 1-line block ×10, first 2 shown]
	v_and_b32_e32 v159, 0xffff, v83
	v_lshrrev_b32_e32 v83, 16, v83
	v_and_b32_e32 v160, 0xffff, v84
	v_lshrrev_b32_e32 v84, 16, v84
	v_pk_fma_f16 v158, v58, v164, v161
	v_mul_u32_u24_e32 v159, 0x10001, v159
	v_mul_u32_u24_e32 v83, 0x10001, v83
	v_mul_u32_u24_e32 v160, 0x10001, v160
	v_mul_u32_u24_e32 v84, 0x10001, v84
	v_pk_fma_f16 v161, v58, v165, v162
	v_pk_fma_f16 v58, v58, v166, v167
	v_pk_fma_f16 v162, v51, v159, v168
	v_pk_fma_f16 v165, v52, v159, v172
	v_pk_fma_f16 v166, v52, v83, v173
	v_pk_fma_f16 v167, v52, v160, v174
	v_pk_fma_f16 v52, v52, v84, v175
	v_pk_fma_f16 v168, v53, v159, v176
	v_pk_fma_f16 v174, v59, v159, v184
	v_pk_fma_f16 v175, v59, v83, v185
	v_pk_fma_f16 v176, v59, v160, v186
	v_pk_fma_f16 v55, v59, v84, v55
	v_pk_fma_f16 v59, v60, v159, v151
	v_pk_fma_f16 v151, v60, v83, v152
	v_pk_fma_f16 v152, v60, v160, v153
	v_pk_fma_f16 v56, v60, v84, v56
	v_pk_fma_f16 v60, v61, v159, v154
	v_pk_fma_f16 v153, v61, v83, v155
	v_pk_fma_f16 v154, v61, v160, v156
	v_and_b32_e32 v155, 0xffff, v85
	v_lshrrev_b32_e32 v85, 16, v85
	v_and_b32_e32 v156, 0xffff, v86
	v_lshrrev_b32_e32 v86, 16, v86
	v_pk_fma_f16 v163, v51, v83, v169
	v_pk_fma_f16 v164, v51, v160, v170
	;; [unrolled: 1-line block ×12, first 2 shown]
	v_mul_u32_u24_e32 v155, 0x10001, v155
	v_mul_u32_u24_e32 v85, 0x10001, v85
	;; [unrolled: 1-line block ×4, first 2 shown]
	v_pk_fma_f16 v61, v62, v159, v157
	v_pk_fma_f16 v157, v62, v160, v161
	;; [unrolled: 1-line block ×32, first 2 shown]
	v_and_b32_e32 v83, 0xffff, v87
	v_pk_fma_f16 v61, v70, v155, v61
	v_lshrrev_b32_e32 v85, 16, v87
	v_and_b32_e32 v87, 0xffff, v88
	v_lshrrev_b32_e32 v88, 16, v88
	v_mul_u32_u24_e32 v83, 0x10001, v83
	v_pk_fma_f16 v153, v70, v156, v157
	v_mul_u32_u24_e32 v85, 0x10001, v85
	v_mul_u32_u24_e32 v87, 0x10001, v87
	;; [unrolled: 1-line block ×3, first 2 shown]
	v_pk_fma_f16 v62, v71, v83, v62
	v_pk_fma_f16 v63, v72, v83, v63
	;; [unrolled: 1-line block ×8, first 2 shown]
	v_lshrrev_b32_e32 v83, 16, v89
	v_pk_fma_f16 v58, v70, v86, v58
	v_pk_fma_f16 v70, v71, v85, v84
	;; [unrolled: 1-line block ×17, first 2 shown]
	v_mul_u32_u24_e32 v83, 0x10001, v83
	v_pk_fma_f16 v156, v79, v87, v166
	v_pk_fma_f16 v55, v79, v88, v55
	;; [unrolled: 1-line block ×6, first 2 shown]
	v_and_b32_e32 v81, 0xffff, v89
	v_and_b32_e32 v85, 0xffff, v90
	v_lshrrev_b32_e32 v89, 16, v90
	v_pk_fma_f16 v70, v91, v83, v70
	v_pk_fma_f16 v71, v92, v83, v71
	;; [unrolled: 1-line block ×8, first 2 shown]
	v_lshrrev_b32_e32 v83, 16, v123
	v_mul_u32_u24_e32 v81, 0x10001, v81
	v_mul_u32_u24_e32 v85, 0x10001, v85
	v_mul_u32_u24_e32 v89, 0x10001, v89
	v_pk_fma_f16 v87, v82, v87, v153
	v_mul_u32_u24_e32 v83, 0x10001, v83
	v_pk_fma_f16 v58, v82, v88, v58
	v_pk_fma_f16 v62, v91, v81, v62
	;; [unrolled: 1-line block ×11, first 2 shown]
	v_and_b32_e32 v81, 0xffff, v123
	v_and_b32_e32 v91, 0xffff, v124
	v_pk_fma_f16 v70, v99, v83, v70
	v_pk_fma_f16 v71, v100, v83, v71
	;; [unrolled: 1-line block ×8, first 2 shown]
	v_lshrrev_b32_e32 v83, 16, v125
	v_pk_fma_f16 v84, v92, v85, v86
	v_pk_fma_f16 v52, v92, v89, v52
	;; [unrolled: 1-line block ×7, first 2 shown]
	v_lshrrev_b32_e32 v92, 16, v124
	v_pk_fma_f16 v85, v98, v85, v87
	v_mul_u32_u24_e32 v81, 0x10001, v81
	v_mul_u32_u24_e32 v87, 0x10001, v91
	;; [unrolled: 1-line block ×3, first 2 shown]
	v_pk_fma_f16 v53, v93, v89, v53
	v_pk_fma_f16 v54, v94, v89, v54
	;; [unrolled: 1-line block ×5, first 2 shown]
	v_mul_u32_u24_e32 v91, 0x10001, v92
	v_pk_fma_f16 v58, v98, v89, v58
	v_pk_fma_f16 v62, v99, v81, v62
	;; [unrolled: 1-line block ×10, first 2 shown]
	v_and_b32_e32 v81, 0xffff, v125
	v_and_b32_e32 v90, 0xffff, v126
	v_lshrrev_b32_e32 v92, 16, v126
	v_pk_fma_f16 v70, v107, v83, v70
	v_pk_fma_f16 v71, v108, v83, v71
	;; [unrolled: 1-line block ×8, first 2 shown]
	v_lshrrev_b32_e32 v83, 16, v127
	v_pk_fma_f16 v82, v99, v87, v82
	v_pk_fma_f16 v51, v99, v91, v51
	;; [unrolled: 1-line block ×14, first 2 shown]
	v_mul_u32_u24_e32 v81, 0x10001, v81
	v_mul_u32_u24_e32 v87, 0x10001, v90
	;; [unrolled: 1-line block ×3, first 2 shown]
	v_pk_fma_f16 v58, v106, v91, v58
	v_and_b32_e32 v91, 0xffff, v128
	v_lshrrev_b32_e32 v92, 16, v128
	v_mul_u32_u24_e32 v83, 0x10001, v83
	v_pk_fma_f16 v62, v107, v81, v62
	v_pk_fma_f16 v82, v107, v87, v82
	;; [unrolled: 1-line block ×19, first 2 shown]
	v_and_b32_e32 v81, 0xffff, v127
	v_pk_fma_f16 v85, v114, v87, v85
	v_mul_u32_u24_e32 v87, 0x10001, v91
	v_mul_u32_u24_e32 v91, 0x10001, v92
	v_pk_fma_f16 v70, v115, v83, v70
	v_pk_fma_f16 v71, v116, v83, v71
	;; [unrolled: 1-line block ×8, first 2 shown]
	v_lshrrev_b32_e32 v83, 16, v130
	v_pk_fma_f16 v55, v111, v90, v55
	v_pk_fma_f16 v56, v112, v90, v56
	;; [unrolled: 1-line block ×3, first 2 shown]
	v_mul_u32_u24_e32 v81, 0x10001, v81
	v_pk_fma_f16 v58, v114, v90, v58
	v_pk_fma_f16 v51, v115, v91, v51
	;; [unrolled: 1-line block ×5, first 2 shown]
	v_and_b32_e32 v54, 0xffff, v129
	v_mul_u32_u24_e32 v83, 0x10001, v83
	v_pk_fma_f16 v62, v115, v81, v62
	v_pk_fma_f16 v82, v115, v87, v82
	;; [unrolled: 1-line block ×15, first 2 shown]
	v_and_b32_e32 v81, 0xffff, v130
	v_pk_fma_f16 v85, v122, v87, v85
	v_mul_u32_u24_e32 v87, 0x10001, v54
	v_pk_fma_f16 v96, v131, v83, v51
	v_pk_fma_f16 v99, v132, v83, v52
	;; [unrolled: 1-line block ×3, first 2 shown]
	s_wait_loadcnt 0x3
	ds_store_b128 v41, v[75:78]
	s_wait_loadcnt 0x2
	ds_store_b128 v42, v[139:142]
	;; [unrolled: 2-line block ×4, first 2 shown]
	s_wait_dscnt 0x0
	s_barrier_signal -1
	s_barrier_wait -1
	global_inv scope:SCOPE_SE
	ds_load_b128 v[51:54], v40 offset:896
	v_pk_fma_f16 v55, v119, v91, v55
	v_pk_fma_f16 v56, v120, v91, v56
	;; [unrolled: 1-line block ×3, first 2 shown]
	v_lshrrev_b32_e32 v57, 16, v129
	v_mul_u32_u24_e32 v81, 0x10001, v81
	v_pk_fma_f16 v91, v122, v91, v58
	v_pk_fma_f16 v97, v132, v87, v63
	;; [unrolled: 1-line block ×3, first 2 shown]
	v_mul_u32_u24_e32 v93, 0x10001, v57
	v_pk_fma_f16 v103, v134, v87, v65
	v_pk_fma_f16 v76, v135, v87, v66
	;; [unrolled: 1-line block ×5, first 2 shown]
	ds_load_2addr_b64 v[55:58], v14 offset1:32
	ds_load_2addr_b64 v[63:66], v14 offset0:64 offset1:96
	v_pk_fma_f16 v94, v131, v87, v62
	v_pk_fma_f16 v75, v134, v83, v90
	;; [unrolled: 1-line block ×7, first 2 shown]
	ds_load_b128 v[59:62], v40 offset:912
	s_wait_dscnt 0x3
	v_and_b32_e32 v67, 0xffff, v51
	v_lshrrev_b32_e32 v51, 16, v51
	v_and_b32_e32 v68, 0xffff, v52
	v_lshrrev_b32_e32 v52, 16, v52
	v_pk_fma_f16 v95, v131, v93, v70
	v_pk_fma_f16 v82, v131, v81, v82
	;; [unrolled: 1-line block ×15, first 2 shown]
	v_mul_u32_u24_e32 v85, 0x10001, v67
	v_mul_u32_u24_e32 v51, 0x10001, v51
	;; [unrolled: 1-line block ×4, first 2 shown]
	ds_load_b128 v[67:70], v40 offset:928
	ds_load_b128 v[71:74], v40 offset:944
	s_wait_dscnt 0x4
	v_pk_fma_f16 v94, v55, v85, v94
	v_pk_fma_f16 v95, v55, v51, v95
	;; [unrolled: 1-line block ×12, first 2 shown]
	s_wait_dscnt 0x3
	v_pk_fma_f16 v76, v63, v85, v76
	v_pk_fma_f16 v77, v63, v51, v77
	;; [unrolled: 1-line block ×15, first 2 shown]
	v_and_b32_e32 v91, 0xffff, v53
	v_lshrrev_b32_e32 v92, 16, v53
	v_and_b32_e32 v93, 0xffff, v54
	v_lshrrev_b32_e32 v107, 16, v54
	ds_load_2addr_b64 v[51:54], v14 offset0:192 offset1:224
	v_pk_fma_f16 v96, v55, v109, v96
	v_pk_fma_f16 v99, v56, v109, v99
	;; [unrolled: 1-line block ×4, first 2 shown]
	ds_load_2addr_b64 v[55:58], v14 offset0:128 offset1:160
	v_mul_u32_u24_e32 v14, 0x10001, v91
	v_mul_u32_u24_e32 v91, 0x10001, v92
	;; [unrolled: 1-line block ×4, first 2 shown]
	v_pk_fma_f16 v83, v66, v109, v83
	s_wait_dscnt 0x1
	v_pk_fma_f16 v76, v51, v14, v76
	v_pk_fma_f16 v77, v51, v91, v77
	;; [unrolled: 1-line block ×6, first 2 shown]
	ds_load_2addr_b64 v[63:66], v13 offset0:64 offset1:96
	s_wait_dscnt 0x1
	v_pk_fma_f16 v94, v55, v14, v94
	v_pk_fma_f16 v95, v55, v91, v95
	;; [unrolled: 1-line block ×18, first 2 shown]
	ds_load_2addr_b64 v[55:58], v13 offset1:32
	v_pk_fma_f16 v79, v52, v92, v79
	v_pk_fma_f16 v105, v53, v14, v105
	;; [unrolled: 1-line block ×4, first 2 shown]
	v_and_b32_e32 v52, 0xffff, v59
	v_lshrrev_b32_e32 v53, 16, v59
	v_and_b32_e32 v59, 0xffff, v60
	v_lshrrev_b32_e32 v60, 16, v60
	v_pk_fma_f16 v14, v54, v14, v85
	v_pk_fma_f16 v85, v54, v91, v87
	v_mul_u32_u24_e32 v87, 0x10001, v52
	v_mul_u32_u24_e32 v91, 0x10001, v53
	;; [unrolled: 1-line block ×4, first 2 shown]
	v_pk_fma_f16 v81, v54, v92, v81
	v_pk_fma_f16 v83, v54, v93, v83
	s_wait_dscnt 0x1
	v_pk_fma_f16 v76, v63, v87, v76
	v_pk_fma_f16 v77, v63, v91, v77
	;; [unrolled: 1-line block ×4, first 2 shown]
	ds_load_2addr_b64 v[51:54], v13 offset0:128 offset1:160
	s_wait_dscnt 0x1
	v_pk_fma_f16 v92, v55, v87, v94
	v_pk_fma_f16 v93, v55, v91, v95
	;; [unrolled: 1-line block ×22, first 2 shown]
	v_and_b32_e32 v81, 0xffff, v61
	v_lshrrev_b32_e32 v61, 16, v61
	v_and_b32_e32 v87, 0xffff, v62
	v_lshrrev_b32_e32 v62, 16, v62
	ds_load_2addr_b64 v[55:58], v13 offset0:192 offset1:224
	v_mul_u32_u24_e32 v13, 0x10001, v81
	v_mul_u32_u24_e32 v61, 0x10001, v61
	;; [unrolled: 1-line block ×4, first 2 shown]
	v_pk_fma_f16 v90, v64, v91, v90
	v_pk_fma_f16 v104, v65, v91, v106
	;; [unrolled: 1-line block ×4, first 2 shown]
	s_wait_dscnt 0x1
	v_pk_fma_f16 v83, v51, v13, v92
	v_pk_fma_f16 v91, v51, v61, v93
	;; [unrolled: 1-line block ×16, first 2 shown]
	ds_load_2addr_b64 v[51:54], v49 offset1:32
	v_pk_fma_f16 v64, v64, v60, v107
	v_pk_fma_f16 v65, v65, v60, v108
	s_wait_dscnt 0x1
	v_pk_fma_f16 v76, v55, v13, v76
	v_pk_fma_f16 v77, v55, v61, v77
	;; [unrolled: 1-line block ×15, first 2 shown]
	v_and_b32_e32 v81, 0xffff, v67
	v_lshrrev_b32_e32 v67, 16, v67
	v_and_b32_e32 v85, 0xffff, v68
	v_lshrrev_b32_e32 v68, 16, v68
	ds_load_2addr_b64 v[59:62], v49 offset0:64 offset1:96
	v_mul_u32_u24_e32 v81, 0x10001, v81
	v_mul_u32_u24_e32 v67, 0x10001, v67
	;; [unrolled: 1-line block ×4, first 2 shown]
	v_pk_fma_f16 v66, v58, v87, v66
	s_wait_dscnt 0x1
	v_pk_fma_f16 v83, v51, v81, v83
	v_pk_fma_f16 v87, v51, v67, v91
	;; [unrolled: 1-line block ×16, first 2 shown]
	ds_load_2addr_b64 v[51:54], v49 offset0:128 offset1:160
	s_wait_dscnt 0x1
	v_pk_fma_f16 v76, v59, v81, v76
	v_pk_fma_f16 v77, v59, v67, v77
	;; [unrolled: 1-line block ×14, first 2 shown]
	v_and_b32_e32 v67, 0xffff, v69
	v_lshrrev_b32_e32 v69, 16, v69
	v_and_b32_e32 v81, 0xffff, v70
	v_lshrrev_b32_e32 v70, 16, v70
	ds_load_2addr_b64 v[55:58], v49 offset0:192 offset1:224
	v_mul_u32_u24_e32 v49, 0x10001, v67
	v_mul_u32_u24_e32 v67, 0x10001, v69
	;; [unrolled: 1-line block ×4, first 2 shown]
	v_pk_fma_f16 v65, v62, v85, v65
	v_pk_fma_f16 v66, v62, v68, v66
	s_wait_dscnt 0x1
	v_pk_fma_f16 v68, v51, v49, v83
	v_pk_fma_f16 v81, v51, v67, v87
	;; [unrolled: 1-line block ×16, first 2 shown]
	ds_load_2addr_b64 v[51:54], v50 offset1:32
	s_wait_dscnt 0x1
	v_pk_fma_f16 v76, v55, v49, v76
	v_pk_fma_f16 v77, v55, v67, v77
	;; [unrolled: 1-line block ×15, first 2 shown]
	v_and_b32_e32 v65, 0xffff, v71
	v_lshrrev_b32_e32 v67, 16, v71
	v_and_b32_e32 v69, 0xffff, v72
	v_lshrrev_b32_e32 v71, 16, v72
	ds_load_2addr_b64 v[59:62], v50 offset0:64 offset1:96
	v_mul_u32_u24_e32 v65, 0x10001, v65
	v_mul_u32_u24_e32 v67, 0x10001, v67
	;; [unrolled: 1-line block ×4, first 2 shown]
	v_pk_fma_f16 v66, v58, v70, v66
	s_wait_dscnt 0x1
	v_pk_fma_f16 v68, v51, v65, v68
	v_pk_fma_f16 v70, v51, v67, v81
	;; [unrolled: 1-line block ×16, first 2 shown]
	ds_load_2addr_b64 v[51:54], v50 offset0:128 offset1:160
	s_wait_dscnt 0x1
	v_pk_fma_f16 v76, v59, v65, v76
	v_pk_fma_f16 v77, v59, v67, v77
	v_pk_fma_f16 v78, v59, v69, v78
	v_pk_fma_f16 v59, v59, v71, v55
	v_pk_fma_f16 v63, v60, v65, v63
	v_pk_fma_f16 v89, v60, v67, v89
	v_pk_fma_f16 v79, v60, v69, v79
	v_pk_fma_f16 v95, v60, v71, v56
	v_pk_fma_f16 v64, v61, v65, v64
	v_pk_fma_f16 v90, v61, v67, v90
	v_pk_fma_f16 v80, v61, v69, v80
	v_pk_fma_f16 v96, v61, v71, v57
	v_pk_fma_f16 v13, v62, v65, v13
	v_pk_fma_f16 v14, v62, v67, v14
	v_pk_fma_f16 v65, v62, v69, v49
	v_and_b32_e32 v49, 0xffff, v73
	v_lshrrev_b32_e32 v60, 16, v73
	v_and_b32_e32 v61, 0xffff, v74
	v_lshrrev_b32_e32 v67, 16, v74
	ds_load_2addr_b64 v[55:58], v50 offset0:192 offset1:224
	v_mul_u32_u24_e32 v69, 0x10001, v49
	v_mul_u32_u24_e32 v73, 0x10001, v60
	v_mul_u32_u24_e32 v74, 0x10001, v61
	v_mul_u32_u24_e32 v67, 0x10001, v67
	v_pk_fma_f16 v71, v62, v71, v66
	s_wait_dscnt 0x1
	v_pk_fma_f16 v68, v51, v69, v68
	v_pk_fma_f16 v70, v51, v73, v70
	;; [unrolled: 1-line block ×8, first 2 shown]
	ds_load_b128 v[49:52], v40 offset:960
	v_pk_fma_f16 v87, v53, v69, v87
	v_pk_fma_f16 v93, v54, v69, v93
	;; [unrolled: 1-line block ×5, first 2 shown]
	s_wait_dscnt 0x1
	v_pk_fma_f16 v76, v55, v69, v76
	v_pk_fma_f16 v97, v55, v67, v59
	;; [unrolled: 1-line block ×3, first 2 shown]
	ds_load_2addr_b64 v[59:62], v48 offset1:32
	v_pk_fma_f16 v99, v57, v69, v64
	v_pk_fma_f16 v13, v58, v69, v13
	;; [unrolled: 1-line block ×3, first 2 shown]
	ds_load_2addr_b64 v[63:66], v48 offset0:64 offset1:96
	v_pk_fma_f16 v94, v54, v73, v94
	v_pk_fma_f16 v88, v54, v74, v88
	;; [unrolled: 1-line block ×12, first 2 shown]
	ds_load_b128 v[53:56], v40 offset:976
	s_wait_dscnt 0x3
	v_and_b32_e32 v57, 0xffff, v49
	v_lshrrev_b32_e32 v49, 16, v49
	v_and_b32_e32 v73, 0xffff, v50
	v_lshrrev_b32_e32 v50, 16, v50
	v_pk_fma_f16 v67, v58, v67, v71
	v_mul_u32_u24_e32 v74, 0x10001, v57
	v_mul_u32_u24_e32 v49, 0x10001, v49
	;; [unrolled: 1-line block ×4, first 2 shown]
	s_wait_dscnt 0x2
	v_pk_fma_f16 v68, v59, v74, v68
	v_pk_fma_f16 v70, v59, v49, v70
	;; [unrolled: 1-line block ×16, first 2 shown]
	s_wait_dscnt 0x1
	v_pk_fma_f16 v75, v63, v74, v76
	v_pk_fma_f16 v76, v63, v49, v77
	;; [unrolled: 1-line block ×5, first 2 shown]
	ds_load_2addr_b64 v[57:60], v48 offset0:128 offset1:160
	v_pk_fma_f16 v79, v64, v73, v79
	v_pk_fma_f16 v93, v65, v74, v99
	;; [unrolled: 1-line block ×7, first 2 shown]
	v_and_b32_e32 v73, 0xffff, v51
	v_lshrrev_b32_e32 v74, 16, v51
	ds_load_2addr_b64 v[48:51], v48 offset0:192 offset1:224
	v_and_b32_e32 v94, 0xffff, v52
	v_lshrrev_b32_e32 v52, 16, v52
	v_pk_fma_f16 v63, v63, v100, v97
	v_pk_fma_f16 v64, v64, v100, v95
	v_mul_u32_u24_e32 v73, 0x10001, v73
	v_mul_u32_u24_e32 v74, 0x10001, v74
	;; [unrolled: 1-line block ×4, first 2 shown]
	v_pk_fma_f16 v65, v65, v100, v96
	v_pk_fma_f16 v66, v66, v100, v67
	s_wait_dscnt 0x1
	v_pk_fma_f16 v67, v57, v73, v68
	v_pk_fma_f16 v68, v57, v74, v70
	;; [unrolled: 1-line block ×12, first 2 shown]
	s_wait_dscnt 0x0
	v_pk_fma_f16 v75, v48, v73, v75
	v_pk_fma_f16 v76, v48, v74, v76
	;; [unrolled: 1-line block ×5, first 2 shown]
	ds_load_2addr_b64 v[61:64], v47 offset0:64 offset1:96
	v_pk_fma_f16 v86, v59, v94, v86
	v_pk_fma_f16 v91, v60, v73, v91
	;; [unrolled: 1-line block ×6, first 2 shown]
	ds_load_2addr_b64 v[57:60], v47 offset1:32
	v_pk_fma_f16 v79, v49, v94, v79
	v_pk_fma_f16 v93, v50, v73, v93
	;; [unrolled: 1-line block ×5, first 2 shown]
	v_and_b32_e32 v49, 0xffff, v53
	v_lshrrev_b32_e32 v50, 16, v53
	v_and_b32_e32 v53, 0xffff, v54
	v_lshrrev_b32_e32 v54, 16, v54
	v_pk_fma_f16 v13, v51, v73, v13
	v_pk_fma_f16 v14, v51, v74, v14
	;; [unrolled: 1-line block ×3, first 2 shown]
	v_mul_u32_u24_e32 v73, 0x10001, v49
	v_mul_u32_u24_e32 v74, 0x10001, v50
	;; [unrolled: 1-line block ×4, first 2 shown]
	v_pk_fma_f16 v66, v51, v52, v66
	s_wait_dscnt 0x1
	v_pk_fma_f16 v75, v61, v73, v75
	v_pk_fma_f16 v76, v61, v74, v76
	;; [unrolled: 1-line block ×4, first 2 shown]
	ds_load_2addr_b64 v[48:51], v47 offset0:128 offset1:160
	s_wait_dscnt 0x1
	v_pk_fma_f16 v67, v57, v73, v67
	v_pk_fma_f16 v68, v57, v74, v68
	;; [unrolled: 1-line block ×25, first 2 shown]
	v_and_b32_e32 v69, 0xffff, v55
	v_lshrrev_b32_e32 v73, 16, v55
	v_and_b32_e32 v74, 0xffff, v56
	v_lshrrev_b32_e32 v56, 16, v56
	ds_load_2addr_b64 v[52:55], v47 offset0:192 offset1:224
	v_mul_u32_u24_e32 v69, 0x10001, v69
	v_mul_u32_u24_e32 v73, 0x10001, v73
	;; [unrolled: 1-line block ×4, first 2 shown]
	v_pk_fma_f16 v64, v64, v94, v66
	s_wait_dscnt 0x1
	v_pk_fma_f16 v66, v48, v69, v67
	v_pk_fma_f16 v67, v48, v73, v68
	;; [unrolled: 1-line block ×12, first 2 shown]
	ds_load_b128 v[47:50], v40 offset:992
	v_pk_fma_f16 v60, v60, v94, v95
	v_pk_fma_f16 v62, v62, v94, v96
	s_wait_dscnt 0x1
	v_pk_fma_f16 v95, v52, v91, v61
	ds_load_2addr_b64 v[56:59], v46 offset1:32
	v_pk_fma_f16 v97, v54, v91, v63
	v_pk_fma_f16 v94, v51, v91, v60
	;; [unrolled: 1-line block ×3, first 2 shown]
	ds_load_2addr_b64 v[60:63], v46 offset0:64 offset1:96
	v_pk_fma_f16 v85, v51, v69, v85
	v_pk_fma_f16 v86, v51, v73, v86
	;; [unrolled: 1-line block ×14, first 2 shown]
	ds_load_b128 v[51:54], v40 offset:1008
	s_wait_dscnt 0x3
	v_and_b32_e32 v69, 0xffff, v47
	v_lshrrev_b32_e32 v47, 16, v47
	v_and_b32_e32 v73, 0xffff, v48
	v_lshrrev_b32_e32 v48, 16, v48
	v_pk_fma_f16 v65, v55, v74, v65
	v_mul_u32_u24_e32 v69, 0x10001, v69
	v_mul_u32_u24_e32 v47, 0x10001, v47
	;; [unrolled: 1-line block ×4, first 2 shown]
	v_pk_fma_f16 v64, v55, v91, v64
	s_wait_dscnt 0x2
	v_pk_fma_f16 v66, v56, v69, v66
	v_pk_fma_f16 v67, v56, v47, v67
	;; [unrolled: 1-line block ×15, first 2 shown]
	s_wait_dscnt 0x1
	v_pk_fma_f16 v75, v60, v69, v75
	v_pk_fma_f16 v76, v60, v47, v76
	;; [unrolled: 1-line block ×5, first 2 shown]
	ds_load_2addr_b64 v[55:58], v46 offset0:128 offset1:160
	v_pk_fma_f16 v79, v61, v73, v79
	v_pk_fma_f16 v89, v62, v69, v89
	;; [unrolled: 1-line block ×7, first 2 shown]
	v_and_b32_e32 v69, 0xffff, v49
	v_lshrrev_b32_e32 v73, 16, v49
	ds_load_2addr_b64 v[46:49], v46 offset0:192 offset1:224
	v_and_b32_e32 v93, 0xffff, v50
	v_lshrrev_b32_e32 v50, 16, v50
	v_pk_fma_f16 v59, v59, v74, v94
	v_pk_fma_f16 v60, v60, v74, v95
	;; [unrolled: 1-line block ×4, first 2 shown]
	v_mul_u32_u24_e32 v69, 0x10001, v69
	v_mul_u32_u24_e32 v73, 0x10001, v73
	;; [unrolled: 1-line block ×4, first 2 shown]
	v_pk_fma_f16 v63, v63, v74, v64
	s_wait_dscnt 0x1
	v_pk_fma_f16 v64, v55, v69, v66
	v_pk_fma_f16 v66, v55, v73, v67
	;; [unrolled: 1-line block ×16, first 2 shown]
	s_wait_dscnt 0x0
	v_pk_fma_f16 v75, v46, v69, v75
	v_pk_fma_f16 v76, v46, v73, v76
	;; [unrolled: 1-line block ×4, first 2 shown]
	ds_load_2addr_b64 v[55:58], v15 offset1:32
	v_pk_fma_f16 v92, v47, v50, v61
	v_pk_fma_f16 v94, v48, v50, v62
	ds_load_2addr_b64 v[59:62], v15 offset0:64 offset1:96
	v_pk_fma_f16 v78, v47, v69, v78
	v_pk_fma_f16 v88, v47, v73, v88
	;; [unrolled: 1-line block ×6, first 2 shown]
	v_and_b32_e32 v47, 0xffff, v51
	v_lshrrev_b32_e32 v48, 16, v51
	v_and_b32_e32 v51, 0xffff, v52
	v_lshrrev_b32_e32 v52, 16, v52
	v_pk_fma_f16 v13, v49, v69, v13
	v_pk_fma_f16 v14, v49, v73, v14
	v_mul_u32_u24_e32 v69, 0x10001, v47
	v_mul_u32_u24_e32 v73, 0x10001, v48
	;; [unrolled: 1-line block ×4, first 2 shown]
	v_pk_fma_f16 v65, v49, v93, v65
	v_pk_fma_f16 v63, v49, v50, v63
	s_wait_dscnt 0x1
	v_pk_fma_f16 v64, v55, v69, v64
	v_pk_fma_f16 v66, v55, v73, v66
	;; [unrolled: 1-line block ×16, first 2 shown]
	s_wait_dscnt 0x0
	v_pk_fma_f16 v91, v59, v69, v75
	v_pk_fma_f16 v93, v59, v73, v76
	;; [unrolled: 1-line block ×5, first 2 shown]
	ds_load_2addr_b64 v[47:50], v15 offset0:128 offset1:160
	v_pk_fma_f16 v96, v60, v51, v79
	v_pk_fma_f16 v97, v61, v51, v80
	ds_load_2addr_b64 v[78:81], v15 offset0:192 offset1:224
	s_wait_loadcnt_dscnt 0x0
	s_barrier_signal -1
	s_barrier_wait -1
	global_inv scope:SCOPE_SE
	s_load_b32 s3, s[24:25], 0x4
	v_pk_fma_f16 v98, v62, v51, v65
	v_and_b32_e32 v51, 0xffff, v53
	v_lshrrev_b32_e32 v53, 16, v53
	v_and_b32_e32 v58, 0xffff, v54
	v_lshrrev_b32_e32 v54, 16, v54
	v_pk_fma_f16 v88, v60, v73, v88
	v_pk_fma_f16 v92, v60, v52, v92
	;; [unrolled: 1-line block ×8, first 2 shown]
	v_mul_u32_u24_e32 v100, 0x10001, v51
	v_mul_u32_u24_e32 v101, 0x10001, v53
	;; [unrolled: 1-line block ×4, first 2 shown]
	s_delay_alu instid0(VALU_DEP_4)
	v_pk_fma_f16 v70, v47, v100, v64
	s_wait_kmcnt 0x0
	s_lshl_b32 s3, s3, 7
	v_pk_fma_f16 v62, v47, v101, v66
	v_pk_fma_f16 v54, v47, v102, v67
	v_pk_fma_f16 v52, v47, v103, v55
	v_pk_fma_f16 v76, v48, v100, v68
	v_pk_fma_f16 v69, v48, v101, v71
	v_pk_fma_f16 v61, v48, v102, v72
	v_pk_fma_f16 v53, v48, v103, v56
	v_pk_fma_f16 v75, v49, v100, v74
	v_pk_fma_f16 v66, v49, v101, v82
	v_pk_fma_f16 v58, v49, v102, v83
	v_pk_fma_f16 v49, v49, v103, v57
	v_pk_fma_f16 v77, v50, v100, v84
	v_pk_fma_f16 v68, v50, v101, v85
	v_pk_fma_f16 v60, v50, v102, v86
	v_pk_fma_f16 v51, v50, v103, v87
	v_pk_fma_f16 v73, v78, v100, v91
	v_pk_fma_f16 v65, v78, v101, v93
	v_pk_fma_f16 v57, v78, v102, v95
	v_pk_fma_f16 v48, v78, v103, v46
	v_pk_fma_f16 v74, v79, v100, v59
	v_pk_fma_f16 v67, v79, v101, v88
	v_pk_fma_f16 v59, v79, v102, v96
	v_pk_fma_f16 v50, v79, v103, v92
	v_pk_fma_f16 v71, v80, v100, v89
	v_pk_fma_f16 v63, v80, v101, v90
	v_pk_fma_f16 v55, v80, v102, v97
	v_pk_fma_f16 v47, v80, v103, v94
	v_pk_fma_f16 v72, v81, v100, v13
	v_pk_fma_f16 v64, v81, v101, v14
	v_pk_fma_f16 v56, v81, v102, v98
	v_pk_fma_f16 v46, v81, v103, v99
	s_wait_alu 0xfffe
	s_add_co_i32 s4, s3, s4
	s_wait_alu 0xfffe
	s_cmp_ge_i32 s4, s34
	s_cbranch_scc1 .LBB9_23
; %bb.22:                               ;   in Loop: Header=BB9_17 Depth=1
	v_dual_mov_b32 v83, v0 :: v_dual_mov_b32 v86, v1
	v_dual_mov_b32 v85, v2 :: v_dual_mov_b32 v84, v3
	;; [unrolled: 1-line block ×4, first 2 shown]
	s_branch .LBB9_17
.LBB9_23:
	v_dual_mov_b32 v13, 32 :: v_dual_mov_b32 v14, v34
.LBB9_24:
	s_delay_alu instid0(VALU_DEP_1)
	v_cmp_lt_i32_e32 vcc_lo, v4, v13
	s_cmp_lg_u64 s[12:13], 0
	s_cselect_b32 s3, -1, 0
	s_cmp_eq_u32 s2, 0
	s_wait_alu 0xfffd
	v_cndmask_b32_e32 v4, v14, v4, vcc_lo
	v_cmp_lt_i32_e32 vcc_lo, v5, v13
	s_cselect_b32 s4, -1, 0
	s_wait_alu 0xfffe
	s_and_b32 s3, s4, s3
	s_wait_alu 0xfffd
	v_cndmask_b32_e32 v5, v14, v5, vcc_lo
	v_cmp_lt_i32_e32 vcc_lo, v6, v13
	s_delay_alu instid0(VALU_DEP_2)
	v_lshlrev_b32_e32 v5, 2, v5
	v_lshlrev_b32_e32 v4, 2, v4
	s_wait_alu 0xfffd
	v_cndmask_b32_e32 v6, v14, v6, vcc_lo
	v_cmp_lt_i32_e32 vcc_lo, v7, v13
	ds_bpermute_b32 v18, v4, v11
	s_wait_alu 0xfffd
	v_cndmask_b32_e32 v7, v14, v7, vcc_lo
	v_cmp_lt_i32_e32 vcc_lo, v8, v13
	s_delay_alu instid0(VALU_DEP_2)
	v_lshlrev_b32_e32 v7, 2, v7
	s_wait_dscnt 0x0
	v_add_f32_e32 v11, v11, v18
	ds_bpermute_b32 v15, v4, v12
	ds_bpermute_b32 v19, v4, v10
	;; [unrolled: 1-line block ×3, first 2 shown]
	s_wait_dscnt 0x2
	v_add_f32_e32 v12, v12, v15
	ds_bpermute_b32 v15, v5, v11
	s_wait_dscnt 0x1
	v_add_f32_e32 v4, v9, v4
	ds_bpermute_b32 v9, v5, v12
	v_add_f32_e32 v10, v10, v19
	s_wait_dscnt 0x1
	v_add_f32_e32 v11, v11, v15
	s_wait_dscnt 0x0
	v_add_f32_e32 v9, v12, v9
	ds_bpermute_b32 v18, v5, v10
	ds_bpermute_b32 v5, v5, v4
	v_lshlrev_b32_e32 v6, 2, v6
	s_wait_dscnt 0x0
	v_add_f32_e32 v4, v4, v5
	ds_bpermute_b32 v5, v6, v9
	s_wait_dscnt 0x0
	v_add_f32_e32 v5, v9, v5
	ds_bpermute_b32 v12, v6, v11
	s_wait_dscnt 0x0
	v_dual_add_f32 v10, v10, v18 :: v_dual_add_f32 v9, v11, v12
	ds_bpermute_b32 v15, v6, v10
	ds_bpermute_b32 v6, v6, v4
	;; [unrolled: 1-line block ×3, first 2 shown]
	s_wait_dscnt 0x1
	v_add_f32_e32 v4, v4, v6
	ds_bpermute_b32 v6, v7, v5
	s_wait_dscnt 0x0
	v_dual_add_f32 v10, v10, v15 :: v_dual_add_f32 v5, v5, v6
	ds_bpermute_b32 v12, v7, v10
	s_wait_dscnt 0x0
	v_dual_add_f32 v6, v9, v11 :: v_dual_add_f32 v9, v10, v12
	ds_bpermute_b32 v7, v7, v4
	s_wait_alu 0xfffd
	v_cndmask_b32_e32 v8, v14, v8, vcc_lo
	s_wait_alu 0xfffe
	s_and_b32 vcc_lo, exec_lo, s3
	s_wait_dscnt 0x0
	s_delay_alu instid0(VALU_DEP_1)
	v_dual_add_f32 v7, v4, v7 :: v_dual_lshlrev_b32 v8, 2, v8
	ds_bpermute_b32 v4, v8, v5
	ds_bpermute_b32 v10, v8, v6
	s_wait_dscnt 0x0
	v_dual_add_f32 v4, v5, v4 :: v_dual_add_f32 v5, v6, v10
	ds_bpermute_b32 v11, v8, v9
	ds_bpermute_b32 v8, v8, v7
	s_wait_dscnt 0x0
	v_dual_add_f32 v6, v9, v11 :: v_dual_add_f32 v7, v7, v8
	s_wait_alu 0xfffe
	s_cbranch_vccz .LBB9_27
; %bb.25:
	s_ashr_i32 s31, s30, 31
	v_dual_mov_b32 v8, 0 :: v_dual_max_num_f32 v13, v1, v1
	s_lshl_b64 s[4:5], s[30:31], 2
	s_wait_alu 0xfffe
	s_add_nc_u64 s[4:5], s[12:13], s[4:5]
	global_load_b128 v[8:11], v8, s[4:5]
	v_max_num_f32_e32 v12, v0, v0
	s_wait_loadcnt 0x0
	v_dual_max_num_f32 v14, v2, v2 :: v_dual_max_num_f32 v15, v8, v8
	v_dual_max_num_f32 v19, v9, v9 :: v_dual_max_num_f32 v20, v10, v10
	v_max_num_f32_e32 v21, v11, v11
	s_delay_alu instid0(VALU_DEP_2) | instskip(NEXT) | instid1(VALU_DEP_1)
	v_dual_max_num_f32 v13, v13, v19 :: v_dual_max_num_f32 v14, v14, v20
	v_dual_max_num_f32 v18, v3, v3 :: v_dual_sub_f32 v19, v1, v13
	s_delay_alu instid0(VALU_DEP_1) | instskip(NEXT) | instid1(VALU_DEP_3)
	v_dual_max_num_f32 v12, v12, v15 :: v_dual_max_num_f32 v15, v18, v21
	v_dual_sub_f32 v20, v2, v14 :: v_dual_sub_f32 v9, v9, v13
	v_sub_f32_e32 v10, v10, v14
	s_delay_alu instid0(VALU_DEP_3) | instskip(NEXT) | instid1(VALU_DEP_4)
	v_sub_f32_e32 v18, v0, v12
	v_dual_sub_f32 v8, v8, v12 :: v_dual_sub_f32 v21, v3, v15
	v_dual_mov_b32 v0, v12 :: v_dual_mov_b32 v3, v15
	v_dual_mov_b32 v1, v13 :: v_dual_mov_b32 v2, v14
	s_delay_alu instid0(VALU_DEP_3) | instskip(SKIP_3) | instid1(VALU_DEP_4)
	v_dual_mul_f32 v13, 0x3fb8aa3b, v8 :: v_dual_mul_f32 v12, 0x3fb8aa3b, v18
	v_sub_f32_e32 v11, v11, v15
	v_dual_mul_f32 v14, 0x3fb8aa3b, v19 :: v_dual_mul_f32 v23, 0x3fb8aa3b, v10
	v_mul_f32_e32 v15, 0x3fb8aa3b, v9
	v_fma_f32 v26, 0x3fb8aa3b, v18, -v12
	v_rndne_f32_e32 v27, v12
	v_fma_f32 v28, 0x3fb8aa3b, v8, -v13
	v_rndne_f32_e32 v29, v13
	v_fma_f32 v33, 0x3fb8aa3b, v9, -v15
	v_fma_f32 v37, 0x3fb8aa3b, v10, -v23
	v_fmac_f32_e32 v26, 0x32a5705f, v18
	v_sub_f32_e32 v12, v12, v27
	v_dual_mul_f32 v22, 0x3fb8aa3b, v20 :: v_dual_mul_f32 v25, 0x3fb8aa3b, v11
	v_fma_f32 v30, 0x3fb8aa3b, v19, -v14
	v_rndne_f32_e32 v32, v14
	v_dual_fmac_f32 v28, 0x32a5705f, v8 :: v_dual_fmac_f32 v37, 0x32a5705f, v10
	v_sub_f32_e32 v13, v13, v29
	v_dual_fmac_f32 v33, 0x32a5705f, v9 :: v_dual_add_f32 v12, v12, v26
	v_rndne_f32_e32 v34, v15
	v_mul_f32_e32 v24, 0x3fb8aa3b, v21
	v_fma_f32 v35, 0x3fb8aa3b, v20, -v22
	v_rndne_f32_e32 v38, v23
	v_fmac_f32_e32 v30, 0x32a5705f, v19
	v_sub_f32_e32 v14, v14, v32
	v_add_f32_e32 v13, v13, v28
	v_exp_f32_e32 v12, v12
	v_rndne_f32_e32 v36, v22
	v_fma_f32 v41, 0x3fb8aa3b, v11, -v25
	v_rndne_f32_e32 v42, v25
	v_cvt_i32_f32_e32 v27, v27
	v_sub_f32_e32 v15, v15, v34
	v_fma_f32 v39, 0x3fb8aa3b, v21, -v24
	v_rndne_f32_e32 v40, v24
	v_fmac_f32_e32 v35, 0x32a5705f, v20
	v_sub_f32_e32 v23, v23, v38
	v_dual_add_f32 v14, v14, v30 :: v_dual_add_f32 v15, v15, v33
	v_exp_f32_e32 v13, v13
	v_cvt_i32_f32_e32 v29, v29
	v_dual_sub_f32 v22, v22, v36 :: v_dual_fmac_f32 v39, 0x32a5705f, v21
	v_dual_sub_f32 v24, v24, v40 :: v_dual_fmac_f32 v41, 0x32a5705f, v11
	s_delay_alu instid0(VALU_DEP_2)
	v_dual_sub_f32 v25, v25, v42 :: v_dual_add_f32 v22, v22, v35
	v_exp_f32_e32 v14, v14
	v_ldexp_f32 v12, v12, v27
	v_cmp_ngt_f32_e32 vcc_lo, 0xc2ce8ed0, v18
	v_cvt_i32_f32_e32 v32, v32
	v_add_f32_e32 v25, v25, v41
	v_exp_f32_e32 v15, v15
	v_ldexp_f32 v13, v13, v29
	s_wait_alu 0xfffd
	v_cndmask_b32_e32 v12, 0, v12, vcc_lo
	v_cmp_ngt_f32_e32 vcc_lo, 0xc2ce8ed0, v8
	v_cvt_i32_f32_e32 v34, v34
	v_dual_add_f32 v23, v23, v37 :: v_dual_add_f32 v24, v24, v39
	v_exp_f32_e32 v22, v22
	v_ldexp_f32 v14, v14, v32
	s_wait_alu 0xfffd
	v_cndmask_b32_e32 v13, 0, v13, vcc_lo
	v_cmp_ngt_f32_e32 vcc_lo, 0xc2ce8ed0, v19
	v_cvt_i32_f32_e32 v36, v36
	v_exp_f32_e32 v23, v23
	v_ldexp_f32 v15, v15, v34
	v_cvt_i32_f32_e32 v38, v38
	s_wait_alu 0xfffd
	v_cndmask_b32_e32 v14, 0, v14, vcc_lo
	v_cmp_ngt_f32_e32 vcc_lo, 0xc2ce8ed0, v9
	v_exp_f32_e32 v24, v24
	v_ldexp_f32 v22, v22, v36
	v_exp_f32_e32 v25, v25
	v_cvt_i32_f32_e32 v26, v40
	s_wait_alu 0xfffd
	v_cndmask_b32_e32 v15, 0, v15, vcc_lo
	v_cmp_ngt_f32_e32 vcc_lo, 0xc2ce8ed0, v20
	v_ldexp_f32 v23, v23, v38
	v_cvt_i32_f32_e32 v28, v42
	s_wait_alu 0xfffd
	v_cndmask_b32_e32 v22, 0, v22, vcc_lo
	v_cmp_ngt_f32_e32 vcc_lo, 0xc2ce8ed0, v10
	v_ldexp_f32 v24, v24, v26
	v_ldexp_f32 v25, v25, v28
	s_wait_alu 0xfffd
	v_cndmask_b32_e32 v23, 0, v23, vcc_lo
	v_cmp_ngt_f32_e32 vcc_lo, 0xc2ce8ed0, v21
	s_wait_alu 0xfffd
	v_cndmask_b32_e32 v24, 0, v24, vcc_lo
	v_cmp_ngt_f32_e32 vcc_lo, 0xc2ce8ed0, v11
	s_wait_alu 0xfffd
	v_cndmask_b32_e32 v25, 0, v25, vcc_lo
	v_cmp_nlt_f32_e32 vcc_lo, 0x42b17218, v18
	s_wait_alu 0xfffd
	v_cndmask_b32_e32 v12, 0x7f800000, v12, vcc_lo
	v_cmp_nlt_f32_e32 vcc_lo, 0x42b17218, v8
	;; [unrolled: 3-line block ×7, first 2 shown]
	s_wait_alu 0xfffd
	s_delay_alu instid0(VALU_DEP_2)
	v_dual_fmac_f32 v10, v6, v14 :: v_dual_cndmask_b32 v15, 0x7f800000, v24
	v_cmp_nlt_f32_e32 vcc_lo, 0x42b17218, v11
	v_dual_fmac_f32 v9, v5, v13 :: v_dual_fmac_f32 v8, v4, v12
	v_cvt_f16_f32_e32 v4, v12
	s_wait_alu 0xfffd
	v_cndmask_b32_e32 v11, 0x7f800000, v25, vcc_lo
	s_delay_alu instid0(VALU_DEP_1) | instskip(NEXT) | instid1(VALU_DEP_3)
	v_fmac_f32_e32 v11, v7, v15
	v_dual_mov_b32 v4, v8 :: v_dual_and_b32 v7, 0xffff, v4
	v_cvt_f16_f32_e32 v5, v13
	s_delay_alu instid0(VALU_DEP_2) | instskip(NEXT) | instid1(VALU_DEP_2)
	v_mul_u32_u24_e32 v7, 0x10001, v7
	v_and_b32_e32 v13, 0xffff, v5
	v_mov_b32_e32 v5, v9
	v_cvt_f16_f32_e32 v6, v14
	s_delay_alu instid0(VALU_DEP_4)
	v_pk_mul_f16 v70, v70, v7
	v_pk_mul_f16 v76, v76, v7
	v_mul_u32_u24_e32 v13, 0x10001, v13
	v_pk_mul_f16 v75, v75, v7
	v_and_b32_e32 v14, 0xffff, v6
	v_mov_b32_e32 v6, v10
	v_cvt_f16_f32_e32 v12, v15
	v_pk_mul_f16 v77, v77, v7
	v_pk_mul_f16 v73, v73, v7
	v_mul_u32_u24_e32 v14, 0x10001, v14
	v_pk_mul_f16 v74, v74, v7
	v_and_b32_e32 v12, 0xffff, v12
	v_pk_mul_f16 v71, v71, v7
	v_pk_mul_f16 v72, v72, v7
	;; [unrolled: 1-line block ×4, first 2 shown]
	v_mul_u32_u24_e32 v12, 0x10001, v12
	v_pk_mul_f16 v66, v66, v13
	v_pk_mul_f16 v68, v68, v13
	;; [unrolled: 1-line block ×22, first 2 shown]
	v_mov_b32_e32 v7, v11
	s_mov_b32 s3, exec_lo
	v_cmpx_gt_i32_e64 s22, v16
	s_cbranch_execnz .LBB9_28
.LBB9_26:
	s_nop 0
	s_sendmsg sendmsg(MSG_DEALLOC_VGPRS)
	s_endpgm
.LBB9_27:
	s_delay_alu instid0(VALU_DEP_1)
	v_dual_mov_b32 v11, v7 :: v_dual_mov_b32 v10, v6
	v_dual_mov_b32 v9, v5 :: v_dual_mov_b32 v8, v4
	s_mov_b32 s3, exec_lo
	v_cmpx_gt_i32_e64 s22, v16
	s_cbranch_execz .LBB9_26
.LBB9_28:
	s_load_b32 s1, s[0:1], 0xd4
	v_mov_b32_e32 v14, 1.0
	s_wait_kmcnt 0x0
	s_cmp_lg_u32 s1, 1
	s_cselect_b32 s4, -1, 0
	s_cmp_eq_u32 s1, 1
	s_cselect_b32 s3, -1, 0
	s_wait_alu 0xfffe
	s_and_b32 vcc_lo, exec_lo, s4
	s_wait_alu 0xfffe
	s_cbranch_vccnz .LBB9_30
; %bb.29:
	v_div_scale_f32 v12, null, v4, v4, 1.0
	s_delay_alu instid0(VALU_DEP_1) | instskip(NEXT) | instid1(TRANS32_DEP_1)
	v_rcp_f32_e32 v13, v12
	v_fma_f32 v14, -v12, v13, 1.0
	s_delay_alu instid0(VALU_DEP_1) | instskip(SKIP_1) | instid1(VALU_DEP_1)
	v_fmac_f32_e32 v13, v14, v13
	v_div_scale_f32 v14, vcc_lo, 1.0, v4, 1.0
	v_mul_f32_e32 v15, v14, v13
	s_delay_alu instid0(VALU_DEP_1) | instskip(NEXT) | instid1(VALU_DEP_1)
	v_fma_f32 v18, -v12, v15, v14
	v_fmac_f32_e32 v15, v18, v13
	s_delay_alu instid0(VALU_DEP_1) | instskip(SKIP_1) | instid1(VALU_DEP_1)
	v_fma_f32 v12, -v12, v15, v14
	s_wait_alu 0xfffd
	v_div_fmas_f32 v12, v12, v13, v15
	s_delay_alu instid0(VALU_DEP_1)
	v_div_fixup_f32 v14, v12, v4, 1.0
.LBB9_30:
	v_mad_co_u64_u32 v[12:13], null, s28, s22, v[16:17]
	v_lshrrev_b32_e32 v4, 16, v76
	v_cvt_f32_f16_e32 v15, v76
	v_cvt_f32_f16_e32 v18, v70
	v_mov_b32_e32 v28, 0
	v_lshrrev_b32_e32 v19, 16, v77
	v_cvt_f32_f16_e32 v23, v75
	v_mad_co_u64_u32 v[12:13], null, v12, s23, s[30:31]
	v_cvt_f32_f16_e32 v4, v4
	v_cmp_eq_u32_e32 vcc_lo, 0, v17
	v_mul_f32_e32 v17, v14, v15
	v_dual_mul_f32 v15, v14, v18 :: v_dual_mov_b32 v24, v28
	v_cvt_f32_f16_e32 v29, v19
	v_mad_co_u64_u32 v[12:13], null, s1, v12, s[2:3]
	v_mul_f32_e32 v19, v14, v23
	v_lshrrev_b32_e32 v16, 16, v70
	v_lshrrev_b32_e32 v13, 16, v74
	v_cvt_f32_f16_e32 v20, v77
	v_lshrrev_b32_e32 v22, 16, v75
	v_cvt_f32_f16_e32 v36, v73
	v_lshl_add_u32 v27, v12, 9, v31
	v_mul_f32_e32 v18, v14, v4
	v_cvt_f32_f16_e32 v16, v16
	v_lshrrev_b32_e32 v4, 16, v73
	v_cvt_f32_f16_e32 v13, v13
	v_add_nc_u32_e32 v23, 0x80, v27
	v_lshlrev_b64_e32 v[25:26], 2, v[27:28]
	v_mul_f32_e32 v21, v14, v20
	v_mul_f32_e32 v16, v14, v16
	v_cvt_f32_f16_e32 v4, v4
	v_lshlrev_b64_e32 v[23:24], 2, v[23:24]
	v_cvt_f32_f16_e32 v20, v22
	v_add_co_u32 v32, s0, s16, v25
	s_wait_alu 0xf1ff
	v_add_co_ci_u32_e64 v33, null, s17, v26, s0
	s_delay_alu instid0(VALU_DEP_4)
	v_add_co_u32 v34, s0, s16, v23
	s_wait_alu 0xf1ff
	v_add_co_ci_u32_e64 v35, null, s17, v24, s0
	v_dual_mov_b32 v24, v28 :: v_dual_add_nc_u32 v23, 0x100, v27
	v_dual_mul_f32 v22, v14, v29 :: v_dual_add_nc_u32 v27, 0x180, v27
	v_mul_f32_e32 v26, v14, v13
	v_lshrrev_b32_e32 v13, 16, v71
	s_delay_alu instid0(VALU_DEP_4)
	v_lshlrev_b64_e32 v[29:30], 2, v[23:24]
	v_mul_f32_e32 v24, v14, v4
	v_lshrrev_b32_e32 v4, 16, v72
	v_lshlrev_b64_e32 v[38:39], 2, v[27:28]
	v_cvt_f32_f16_e32 v13, v13
	v_cvt_f32_f16_e32 v25, v74
	v_mul_f32_e32 v23, v14, v36
	v_add_co_u32 v36, s0, s16, v29
	v_cvt_f32_f16_e32 v4, v4
	v_cvt_f32_f16_e32 v29, v72
	;; [unrolled: 1-line block ×3, first 2 shown]
	v_mul_f32_e32 v20, v14, v20
	s_wait_alu 0xf1ff
	v_add_co_ci_u32_e64 v37, null, s17, v30, s0
	v_mul_f32_e32 v28, v14, v13
	v_add_co_u32 v13, s0, s16, v38
	v_mul_f32_e32 v25, v14, v25
	v_mul_f32_e32 v30, v14, v4
	;; [unrolled: 1-line block ×4, first 2 shown]
	s_wait_alu 0xf1ff
	v_add_co_ci_u32_e64 v14, null, s17, v39, s0
	s_and_b32 s0, vcc_lo, s4
	s_clause 0x3
	global_store_b128 v[32:33], v[15:18], off
	global_store_b128 v[34:35], v[19:22], off
	;; [unrolled: 1-line block ×4, first 2 shown]
	s_wait_alu 0xfffe
	s_and_saveexec_b32 s2, s0
	s_cbranch_execz .LBB9_32
; %bb.31:
	v_ashrrev_i32_e32 v13, 31, v12
	v_dual_mov_b32 v15, v0 :: v_dual_mov_b32 v16, v8
	s_delay_alu instid0(VALU_DEP_2) | instskip(NEXT) | instid1(VALU_DEP_1)
	v_lshlrev_b64_e32 v[13:14], 3, v[12:13]
	v_add_co_u32 v13, vcc_lo, s18, v13
	s_wait_alu 0xfffd
	s_delay_alu instid0(VALU_DEP_2)
	v_add_co_ci_u32_e64 v14, null, s19, v14, vcc_lo
	global_store_b64 v[13:14], v[15:16], off
.LBB9_32:
	s_wait_alu 0xfffe
	s_or_b32 exec_lo, exec_lo, s2
	v_cndmask_b32_e64 v13, 0, 1, s3
	v_mov_b32_e32 v0, 1.0
	s_and_not1_b32 vcc_lo, exec_lo, s3
	s_wait_alu 0xfffe
	s_cbranch_vccnz .LBB9_34
; %bb.33:
	v_div_scale_f32 v0, null, v5, v5, 1.0
	s_delay_alu instid0(VALU_DEP_1) | instskip(NEXT) | instid1(TRANS32_DEP_1)
	v_rcp_f32_e32 v4, v0
	v_fma_f32 v8, -v0, v4, 1.0
	s_delay_alu instid0(VALU_DEP_1) | instskip(SKIP_1) | instid1(VALU_DEP_1)
	v_fmac_f32_e32 v4, v8, v4
	v_div_scale_f32 v8, vcc_lo, 1.0, v5, 1.0
	v_mul_f32_e32 v14, v8, v4
	s_delay_alu instid0(VALU_DEP_1) | instskip(NEXT) | instid1(VALU_DEP_1)
	v_fma_f32 v15, -v0, v14, v8
	v_fmac_f32_e32 v14, v15, v4
	s_delay_alu instid0(VALU_DEP_1) | instskip(SKIP_1) | instid1(VALU_DEP_1)
	v_fma_f32 v0, -v0, v14, v8
	s_wait_alu 0xfffd
	v_div_fmas_f32 v0, v0, v4, v14
	s_delay_alu instid0(VALU_DEP_1)
	v_div_fixup_f32 v0, v0, v5, 1.0
.LBB9_34:
	v_dual_mov_b32 v27, 0 :: v_dual_add_nc_u32 v4, s1, v12
	v_lshrrev_b32_e32 v5, 16, v69
	v_cvt_f32_f16_e32 v8, v69
	v_lshrrev_b32_e32 v20, 16, v68
	s_delay_alu instid0(VALU_DEP_4)
	v_lshl_add_u32 v26, v4, 9, v31
	v_lshrrev_b32_e32 v12, 16, v62
	v_cvt_f32_f16_e32 v5, v5
	v_mul_f32_e32 v16, v0, v8
	v_cvt_f32_f16_e32 v8, v20
	v_lshlrev_b64_e32 v[18:19], 2, v[26:27]
	v_cvt_f32_f16_e32 v14, v62
	v_mul_f32_e32 v17, v0, v5
	v_lshrrev_b32_e32 v5, 16, v66
	v_cvt_f32_f16_e32 v12, v12
	v_mul_f32_e32 v21, v0, v8
	v_add_co_u32 v32, vcc_lo, s16, v18
	s_wait_alu 0xfffd
	v_add_co_ci_u32_e64 v33, null, s17, v19, vcc_lo
	v_dual_mov_b32 v19, v27 :: v_dual_add_nc_u32 v18, 0x80, v26
	v_cvt_f32_f16_e32 v5, v5
	v_lshrrev_b32_e32 v8, 16, v65
	v_mul_f32_e32 v14, v0, v14
	v_mul_f32_e32 v15, v0, v12
	v_lshlrev_b64_e32 v[22:23], 2, v[18:19]
	v_mul_f32_e32 v19, v0, v5
	v_lshrrev_b32_e32 v5, 16, v67
	v_cvt_f32_f16_e32 v12, v68
	v_cvt_f32_f16_e32 v8, v8
	;; [unrolled: 1-line block ×3, first 2 shown]
	v_add_co_u32 v34, vcc_lo, s16, v22
	s_wait_alu 0xfffd
	v_add_co_ci_u32_e64 v35, null, s17, v23, vcc_lo
	v_cvt_f32_f16_e32 v5, v5
	v_dual_mov_b32 v23, v27 :: v_dual_add_nc_u32 v22, 0x100, v26
	v_add_nc_u32_e32 v26, 0x180, v26
	v_mul_f32_e32 v20, v0, v12
	v_cvt_f32_f16_e32 v12, v67
	v_cvt_f32_f16_e32 v30, v65
	v_mul_f32_e32 v25, v0, v5
	v_lshlrev_b64_e32 v[28:29], 2, v[22:23]
	v_mul_f32_e32 v23, v0, v8
	v_lshrrev_b32_e32 v5, 16, v64
	v_lshrrev_b32_e32 v8, 16, v63
	v_lshlrev_b64_e32 v[38:39], 2, v[26:27]
	v_mul_f32_e32 v18, v0, v24
	v_mul_f32_e32 v24, v0, v12
	;; [unrolled: 1-line block ×3, first 2 shown]
	v_cvt_f32_f16_e32 v5, v5
	v_cvt_f32_f16_e32 v12, v64
	;; [unrolled: 1-line block ×4, first 2 shown]
	v_add_co_u32 v36, vcc_lo, s16, v28
	s_wait_alu 0xfffd
	v_add_co_ci_u32_e64 v37, null, s17, v29, vcc_lo
	v_add_co_u32 v38, vcc_lo, s16, v38
	v_mul_f32_e32 v29, v0, v5
	v_mul_f32_e32 v28, v0, v12
	v_mul_f32_e32 v27, v0, v8
	v_mul_f32_e32 v26, v0, v30
	s_wait_alu 0xfffd
	v_add_co_ci_u32_e64 v39, null, s17, v39, vcc_lo
	s_clause 0x3
	global_store_b128 v[32:33], v[14:17], off
	global_store_b128 v[34:35], v[18:21], off
	;; [unrolled: 1-line block ×4, first 2 shown]
	s_and_saveexec_b32 s2, s0
	s_cbranch_execz .LBB9_36
; %bb.35:
	v_ashrrev_i32_e32 v5, 31, v4
	v_mov_b32_e32 v8, v1
	s_delay_alu instid0(VALU_DEP_2) | instskip(NEXT) | instid1(VALU_DEP_1)
	v_lshlrev_b64_e32 v[14:15], 3, v[4:5]
	v_add_co_u32 v14, vcc_lo, s18, v14
	s_wait_alu 0xfffd
	s_delay_alu instid0(VALU_DEP_2)
	v_add_co_ci_u32_e64 v15, null, s19, v15, vcc_lo
	global_store_b64 v[14:15], v[8:9], off
.LBB9_36:
	s_wait_alu 0xfffe
	s_or_b32 exec_lo, exec_lo, s2
	v_cmp_ne_u32_e32 vcc_lo, 1, v13
	v_mov_b32_e32 v1, 1.0
	s_cbranch_vccnz .LBB9_38
; %bb.37:
	v_div_scale_f32 v0, null, v6, v6, 1.0
	s_delay_alu instid0(VALU_DEP_1) | instskip(NEXT) | instid1(TRANS32_DEP_1)
	v_rcp_f32_e32 v1, v0
	v_fma_f32 v5, -v0, v1, 1.0
	s_delay_alu instid0(VALU_DEP_1) | instskip(SKIP_1) | instid1(VALU_DEP_1)
	v_fmac_f32_e32 v1, v5, v1
	v_div_scale_f32 v5, vcc_lo, 1.0, v6, 1.0
	v_mul_f32_e32 v8, v5, v1
	s_delay_alu instid0(VALU_DEP_1) | instskip(NEXT) | instid1(VALU_DEP_1)
	v_fma_f32 v9, -v0, v8, v5
	v_fmac_f32_e32 v8, v9, v1
	s_delay_alu instid0(VALU_DEP_1) | instskip(SKIP_1) | instid1(VALU_DEP_1)
	v_fma_f32 v0, -v0, v8, v5
	s_wait_alu 0xfffd
	v_div_fmas_f32 v0, v0, v1, v8
	s_delay_alu instid0(VALU_DEP_1)
	v_div_fixup_f32 v1, v0, v6, 1.0
.LBB9_38:
	v_lshrrev_b32_e32 v6, 16, v61
	v_dual_mov_b32 v5, 0 :: v_dual_add_nc_u32 v0, s1, v4
	v_cvt_f32_f16_e32 v12, v61
	v_lshrrev_b32_e32 v18, 16, v60
	s_delay_alu instid0(VALU_DEP_4) | instskip(NEXT) | instid1(VALU_DEP_4)
	v_cvt_f32_f16_e32 v6, v6
	v_lshl_add_u32 v4, v0, 9, v31
	v_lshrrev_b32_e32 v8, 16, v54
	v_mul_f32_e32 v16, v1, v12
	v_cvt_f32_f16_e32 v12, v18
	s_delay_alu instid0(VALU_DEP_4)
	v_dual_mul_f32 v17, v1, v6 :: v_dual_add_nc_u32 v18, 0x80, v4
	v_lshrrev_b32_e32 v6, 16, v58
	v_mov_b32_e32 v19, v5
	v_cvt_f32_f16_e32 v15, v8
	v_lshlrev_b64_e32 v[8:9], 2, v[4:5]
	v_mul_f32_e32 v21, v1, v12
	v_cvt_f32_f16_e32 v6, v6
	v_lshlrev_b64_e32 v[22:23], 2, v[18:19]
	v_lshrrev_b32_e32 v12, 16, v57
	v_mul_f32_e32 v15, v1, v15
	v_add_co_u32 v8, vcc_lo, s16, v8
	v_mul_f32_e32 v19, v1, v6
	v_lshrrev_b32_e32 v6, 16, v59
	s_wait_alu 0xfffd
	v_add_co_ci_u32_e64 v9, null, s17, v9, vcc_lo
	v_add_co_u32 v32, vcc_lo, s16, v22
	s_wait_alu 0xfffd
	v_add_co_ci_u32_e64 v33, null, s17, v23, vcc_lo
	v_dual_mov_b32 v23, v5 :: v_dual_add_nc_u32 v22, 0x100, v4
	v_cvt_f32_f16_e32 v6, v6
	v_cvt_f32_f16_e32 v12, v12
	v_add_nc_u32_e32 v4, 0x180, v4
	v_cvt_f32_f16_e32 v24, v58
	v_lshlrev_b64_e32 v[26:27], 2, v[22:23]
	v_mul_f32_e32 v25, v1, v6
	v_mul_f32_e32 v23, v1, v12
	v_lshrrev_b32_e32 v6, 16, v56
	v_lshrrev_b32_e32 v12, 16, v55
	v_cvt_f32_f16_e32 v14, v54
	v_lshlrev_b64_e32 v[4:5], 2, v[4:5]
	v_cvt_f32_f16_e32 v20, v60
	v_mul_f32_e32 v18, v1, v24
	v_cvt_f32_f16_e32 v24, v59
	v_cvt_f32_f16_e32 v28, v57
	v_add_co_u32 v34, vcc_lo, s16, v26
	v_cvt_f32_f16_e32 v6, v6
	v_cvt_f32_f16_e32 v26, v56
	;; [unrolled: 1-line block ×4, first 2 shown]
	v_mul_f32_e32 v14, v1, v14
	v_mul_f32_e32 v20, v1, v20
	s_wait_alu 0xfffd
	v_add_co_ci_u32_e64 v35, null, s17, v27, vcc_lo
	v_add_co_u32 v4, vcc_lo, s16, v4
	v_mul_f32_e32 v24, v1, v24
	v_mul_f32_e32 v22, v1, v28
	;; [unrolled: 1-line block ×6, first 2 shown]
	s_wait_alu 0xfffd
	v_add_co_ci_u32_e64 v5, null, s17, v5, vcc_lo
	s_clause 0x3
	global_store_b128 v[8:9], v[14:17], off
	global_store_b128 v[32:33], v[18:21], off
	global_store_b128 v[34:35], v[22:25], off
	global_store_b128 v[4:5], v[26:29], off
	s_and_saveexec_b32 s2, s0
	s_cbranch_execz .LBB9_40
; %bb.39:
	v_ashrrev_i32_e32 v1, 31, v0
	v_mov_b32_e32 v9, v2
	s_delay_alu instid0(VALU_DEP_2) | instskip(NEXT) | instid1(VALU_DEP_1)
	v_lshlrev_b64_e32 v[4:5], 3, v[0:1]
	v_add_co_u32 v4, vcc_lo, s18, v4
	s_wait_alu 0xfffd
	s_delay_alu instid0(VALU_DEP_2)
	v_add_co_ci_u32_e64 v5, null, s19, v5, vcc_lo
	global_store_b64 v[4:5], v[9:10], off
.LBB9_40:
	s_wait_alu 0xfffe
	s_or_b32 exec_lo, exec_lo, s2
	v_cmp_ne_u32_e32 vcc_lo, 1, v13
	v_mov_b32_e32 v1, 1.0
	s_cbranch_vccnz .LBB9_42
; %bb.41:
	v_div_scale_f32 v1, null, v7, v7, 1.0
	s_delay_alu instid0(VALU_DEP_1) | instskip(NEXT) | instid1(TRANS32_DEP_1)
	v_rcp_f32_e32 v2, v1
	v_fma_f32 v4, -v1, v2, 1.0
	s_delay_alu instid0(VALU_DEP_1) | instskip(SKIP_1) | instid1(VALU_DEP_1)
	v_fmac_f32_e32 v2, v4, v2
	v_div_scale_f32 v4, vcc_lo, 1.0, v7, 1.0
	v_mul_f32_e32 v5, v4, v2
	s_delay_alu instid0(VALU_DEP_1) | instskip(NEXT) | instid1(VALU_DEP_1)
	v_fma_f32 v6, -v1, v5, v4
	v_fmac_f32_e32 v5, v6, v2
	s_delay_alu instid0(VALU_DEP_1) | instskip(SKIP_1) | instid1(VALU_DEP_1)
	v_fma_f32 v1, -v1, v5, v4
	s_wait_alu 0xfffd
	v_div_fmas_f32 v1, v1, v2, v5
	s_delay_alu instid0(VALU_DEP_1)
	v_div_fixup_f32 v1, v1, v7, 1.0
.LBB9_42:
	v_dual_mov_b32 v9, 0 :: v_dual_add_nc_u32 v0, s1, v0
	v_lshrrev_b32_e32 v2, 16, v53
	v_cvt_f32_f16_e32 v4, v53
	v_cvt_f32_f16_e32 v7, v52
	s_delay_alu instid0(VALU_DEP_4)
	v_lshl_add_u32 v8, v0, 9, v31
	v_lshrrev_b32_e32 v10, 16, v51
	v_cvt_f32_f16_e32 v2, v2
	v_mul_f32_e32 v6, v1, v4
	v_mul_f32_e32 v4, v1, v7
	v_lshlrev_b64_e32 v[12:13], 2, v[8:9]
	v_lshrrev_b32_e32 v5, 16, v52
	v_mul_f32_e32 v7, v1, v2
	v_lshrrev_b32_e32 v2, 16, v49
	v_cvt_f32_f16_e32 v10, v10
	v_cvt_f32_f16_e32 v18, v49
	v_add_co_u32 v24, vcc_lo, s16, v12
	s_wait_alu 0xfffd
	v_add_co_ci_u32_e64 v25, null, s17, v13, vcc_lo
	v_dual_mov_b32 v13, v9 :: v_dual_add_nc_u32 v12, 0x80, v8
	v_cvt_f32_f16_e32 v2, v2
	v_cvt_f32_f16_e32 v5, v5
	v_mul_f32_e32 v15, v1, v10
	v_lshrrev_b32_e32 v10, 16, v48
	v_lshlrev_b64_e32 v[16:17], 2, v[12:13]
	v_mul_f32_e32 v13, v1, v2
	v_lshrrev_b32_e32 v2, 16, v50
	v_mul_f32_e32 v5, v1, v5
	v_cvt_f32_f16_e32 v10, v10
	v_cvt_f32_f16_e32 v14, v51
	v_add_co_u32 v26, vcc_lo, s16, v16
	s_wait_alu 0xfffd
	v_add_co_ci_u32_e64 v27, null, s17, v17, vcc_lo
	v_dual_mov_b32 v17, v9 :: v_dual_add_nc_u32 v16, 0x100, v8
	v_cvt_f32_f16_e32 v2, v2
	v_add_nc_u32_e32 v8, 0x180, v8
	v_mul_f32_e32 v12, v1, v18
	v_cvt_f32_f16_e32 v18, v50
	v_lshlrev_b64_e32 v[20:21], 2, v[16:17]
	v_mul_f32_e32 v19, v1, v2
	v_mul_f32_e32 v17, v1, v10
	v_lshrrev_b32_e32 v2, 16, v46
	v_lshrrev_b32_e32 v10, 16, v47
	v_lshlrev_b64_e32 v[8:9], 2, v[8:9]
	v_cvt_f32_f16_e32 v22, v48
	v_add_co_u32 v28, vcc_lo, s16, v20
	v_cvt_f32_f16_e32 v2, v2
	v_cvt_f32_f16_e32 v20, v46
	v_cvt_f32_f16_e32 v10, v10
	v_cvt_f32_f16_e32 v30, v47
	v_mul_f32_e32 v14, v1, v14
	v_mul_f32_e32 v18, v1, v18
	;; [unrolled: 1-line block ×3, first 2 shown]
	s_wait_alu 0xfffd
	v_add_co_ci_u32_e64 v29, null, s17, v21, vcc_lo
	v_mul_f32_e32 v23, v1, v2
	v_mul_f32_e32 v22, v1, v20
	;; [unrolled: 1-line block ×4, first 2 shown]
	v_add_co_u32 v1, vcc_lo, s16, v8
	s_wait_alu 0xfffd
	v_add_co_ci_u32_e64 v2, null, s17, v9, vcc_lo
	s_clause 0x3
	global_store_b128 v[24:25], v[4:7], off
	global_store_b128 v[26:27], v[12:15], off
	;; [unrolled: 1-line block ×4, first 2 shown]
	s_and_b32 exec_lo, exec_lo, s0
	s_cbranch_execz .LBB9_26
; %bb.43:
	v_ashrrev_i32_e32 v1, 31, v0
	v_mov_b32_e32 v10, v3
	s_delay_alu instid0(VALU_DEP_2) | instskip(NEXT) | instid1(VALU_DEP_1)
	v_lshlrev_b64_e32 v[0:1], 3, v[0:1]
	v_add_co_u32 v0, vcc_lo, s18, v0
	s_wait_alu 0xfffd
	s_delay_alu instid0(VALU_DEP_2)
	v_add_co_ci_u32_e64 v1, null, s19, v1, vcc_lo
	global_store_b64 v[0:1], v[10:11], off
	s_nop 0
	s_sendmsg sendmsg(MSG_DEALLOC_VGPRS)
	s_endpgm
	.section	.rodata,"a",@progbits
	.p2align	6, 0x0
	.amdhsa_kernel _ZL15flash_attn_tileILi576ELi512ELi8ELi4ELb0EEvPKcS1_S1_S1_S1_PKiPfP15HIP_vector_typeIfLj2EEffffjfiS5_IjLj3EEiiiiiiiiiiiliiliiiiil
		.amdhsa_group_segment_fixed_size 63488
		.amdhsa_private_segment_fixed_size 0
		.amdhsa_kernarg_size 464
		.amdhsa_user_sgpr_count 2
		.amdhsa_user_sgpr_dispatch_ptr 0
		.amdhsa_user_sgpr_queue_ptr 0
		.amdhsa_user_sgpr_kernarg_segment_ptr 1
		.amdhsa_user_sgpr_dispatch_id 0
		.amdhsa_user_sgpr_private_segment_size 0
		.amdhsa_wavefront_size32 1
		.amdhsa_uses_dynamic_stack 0
		.amdhsa_enable_private_segment 0
		.amdhsa_system_sgpr_workgroup_id_x 1
		.amdhsa_system_sgpr_workgroup_id_y 1
		.amdhsa_system_sgpr_workgroup_id_z 1
		.amdhsa_system_sgpr_workgroup_info 0
		.amdhsa_system_vgpr_workitem_id 1
		.amdhsa_next_free_vgpr 241
		.amdhsa_next_free_sgpr 42
		.amdhsa_reserve_vcc 1
		.amdhsa_float_round_mode_32 0
		.amdhsa_float_round_mode_16_64 0
		.amdhsa_float_denorm_mode_32 3
		.amdhsa_float_denorm_mode_16_64 3
		.amdhsa_fp16_overflow 0
		.amdhsa_workgroup_processor_mode 1
		.amdhsa_memory_ordered 1
		.amdhsa_forward_progress 1
		.amdhsa_inst_pref_size 255
		.amdhsa_round_robin_scheduling 0
		.amdhsa_exception_fp_ieee_invalid_op 0
		.amdhsa_exception_fp_denorm_src 0
		.amdhsa_exception_fp_ieee_div_zero 0
		.amdhsa_exception_fp_ieee_overflow 0
		.amdhsa_exception_fp_ieee_underflow 0
		.amdhsa_exception_fp_ieee_inexact 0
		.amdhsa_exception_int_div_zero 0
	.end_amdhsa_kernel
	.section	.text._ZL15flash_attn_tileILi576ELi512ELi8ELi4ELb0EEvPKcS1_S1_S1_S1_PKiPfP15HIP_vector_typeIfLj2EEffffjfiS5_IjLj3EEiiiiiiiiiiiliiliiiiil,"axG",@progbits,_ZL15flash_attn_tileILi576ELi512ELi8ELi4ELb0EEvPKcS1_S1_S1_S1_PKiPfP15HIP_vector_typeIfLj2EEffffjfiS5_IjLj3EEiiiiiiiiiiiliiliiiiil,comdat
.Lfunc_end9:
	.size	_ZL15flash_attn_tileILi576ELi512ELi8ELi4ELb0EEvPKcS1_S1_S1_S1_PKiPfP15HIP_vector_typeIfLj2EEffffjfiS5_IjLj3EEiiiiiiiiiiiliiliiiiil, .Lfunc_end9-_ZL15flash_attn_tileILi576ELi512ELi8ELi4ELb0EEvPKcS1_S1_S1_S1_PKiPfP15HIP_vector_typeIfLj2EEffffjfiS5_IjLj3EEiiiiiiiiiiiliiliiiiil
                                        ; -- End function
	.set _ZL15flash_attn_tileILi576ELi512ELi8ELi4ELb0EEvPKcS1_S1_S1_S1_PKiPfP15HIP_vector_typeIfLj2EEffffjfiS5_IjLj3EEiiiiiiiiiiiliiliiiiil.num_vgpr, 190
	.set _ZL15flash_attn_tileILi576ELi512ELi8ELi4ELb0EEvPKcS1_S1_S1_S1_PKiPfP15HIP_vector_typeIfLj2EEffffjfiS5_IjLj3EEiiiiiiiiiiiliiliiiiil.num_agpr, 0
	.set _ZL15flash_attn_tileILi576ELi512ELi8ELi4ELb0EEvPKcS1_S1_S1_S1_PKiPfP15HIP_vector_typeIfLj2EEffffjfiS5_IjLj3EEiiiiiiiiiiiliiliiiiil.numbered_sgpr, 42
	.set _ZL15flash_attn_tileILi576ELi512ELi8ELi4ELb0EEvPKcS1_S1_S1_S1_PKiPfP15HIP_vector_typeIfLj2EEffffjfiS5_IjLj3EEiiiiiiiiiiiliiliiiiil.num_named_barrier, 0
	.set _ZL15flash_attn_tileILi576ELi512ELi8ELi4ELb0EEvPKcS1_S1_S1_S1_PKiPfP15HIP_vector_typeIfLj2EEffffjfiS5_IjLj3EEiiiiiiiiiiiliiliiiiil.private_seg_size, 0
	.set _ZL15flash_attn_tileILi576ELi512ELi8ELi4ELb0EEvPKcS1_S1_S1_S1_PKiPfP15HIP_vector_typeIfLj2EEffffjfiS5_IjLj3EEiiiiiiiiiiiliiliiiiil.uses_vcc, 1
	.set _ZL15flash_attn_tileILi576ELi512ELi8ELi4ELb0EEvPKcS1_S1_S1_S1_PKiPfP15HIP_vector_typeIfLj2EEffffjfiS5_IjLj3EEiiiiiiiiiiiliiliiiiil.uses_flat_scratch, 0
	.set _ZL15flash_attn_tileILi576ELi512ELi8ELi4ELb0EEvPKcS1_S1_S1_S1_PKiPfP15HIP_vector_typeIfLj2EEffffjfiS5_IjLj3EEiiiiiiiiiiiliiliiiiil.has_dyn_sized_stack, 0
	.set _ZL15flash_attn_tileILi576ELi512ELi8ELi4ELb0EEvPKcS1_S1_S1_S1_PKiPfP15HIP_vector_typeIfLj2EEffffjfiS5_IjLj3EEiiiiiiiiiiiliiliiiiil.has_recursion, 0
	.set _ZL15flash_attn_tileILi576ELi512ELi8ELi4ELb0EEvPKcS1_S1_S1_S1_PKiPfP15HIP_vector_typeIfLj2EEffffjfiS5_IjLj3EEiiiiiiiiiiiliiliiiiil.has_indirect_call, 0
	.section	.AMDGPU.csdata,"",@progbits
; Kernel info:
; codeLenInByte = 60212
; TotalNumSgprs: 44
; NumVgprs: 190
; ScratchSize: 0
; MemoryBound: 0
; FloatMode: 240
; IeeeMode: 1
; LDSByteSize: 63488 bytes/workgroup (compile time only)
; SGPRBlocks: 0
; VGPRBlocks: 30
; NumSGPRsForWavesPerEU: 44
; NumVGPRsForWavesPerEU: 241
; Occupancy: 4
; WaveLimiterHint : 1
; COMPUTE_PGM_RSRC2:SCRATCH_EN: 0
; COMPUTE_PGM_RSRC2:USER_SGPR: 2
; COMPUTE_PGM_RSRC2:TRAP_HANDLER: 0
; COMPUTE_PGM_RSRC2:TGID_X_EN: 1
; COMPUTE_PGM_RSRC2:TGID_Y_EN: 1
; COMPUTE_PGM_RSRC2:TGID_Z_EN: 1
; COMPUTE_PGM_RSRC2:TIDIG_COMP_CNT: 1
	.section	.text._ZL25flash_attn_mask_to_KV_maxILi8EEvPK7__half2Piiii,"axG",@progbits,_ZL25flash_attn_mask_to_KV_maxILi8EEvPK7__half2Piiii,comdat
	.globl	_ZL25flash_attn_mask_to_KV_maxILi8EEvPK7__half2Piiii ; -- Begin function _ZL25flash_attn_mask_to_KV_maxILi8EEvPK7__half2Piiii
	.p2align	8
	.type	_ZL25flash_attn_mask_to_KV_maxILi8EEvPK7__half2Piiii,@function
_ZL25flash_attn_mask_to_KV_maxILi8EEvPK7__half2Piiii: ; @_ZL25flash_attn_mask_to_KV_maxILi8EEvPK7__half2Piiii
; %bb.0:
	s_load_b64 s[8:9], s[0:1], 0x0
	s_mov_b32 s2, exec_lo
	v_cmpx_gt_u32_e32 32, v0
; %bb.1:
	v_dual_mov_b32 v2, 1 :: v_dual_lshlrev_b32 v1, 2, v0
	ds_store_b32 v1, v2
; %bb.2:
	s_or_b32 exec_lo, exec_lo, s2
	s_clause 0x2
	s_load_b96 s[4:6], s[0:1], 0x10
	s_load_b64 s[2:3], s[0:1], 0x8
	s_load_b32 s1, s[0:1], 0x20
	v_dual_mov_b32 v2, 0 :: v_dual_and_b32 v1, 31, v0
	v_lshrrev_b32_e32 v5, 3, v0
	s_wait_dscnt 0x0
	s_barrier_signal -1
	s_delay_alu instid0(VALU_DEP_2)
	v_lshlrev_b32_e32 v6, 2, v1
	s_barrier_wait -1
	global_inv scope:SCOPE_SE
	s_wait_kmcnt 0x0
	s_mul_i32 s0, ttmp9, s5
	s_mul_i32 s6, s6, ttmp7
	s_lshl_b32 s0, s0, 3
	s_delay_alu instid0(SALU_CYCLE_1) | instskip(SKIP_2) | instid1(SALU_CYCLE_1)
	s_add_co_i32 s6, s6, s0
	v_cmp_eq_u32_e64 s0, 0, v1
	s_ashr_i32 s7, s6, 31
	s_lshl_b64 s[6:7], s[6:7], 2
	s_delay_alu instid0(SALU_CYCLE_1)
	s_add_nc_u64 s[6:7], s[8:9], s[6:7]
	s_lshl_b32 s8, s4, 8
	s_branch .LBB10_4
.LBB10_3:                               ;   in Loop: Header=BB10_4 Depth=1
	s_wait_alu 0xfffe
	s_or_b32 exec_lo, exec_lo, s9
	s_wait_dscnt 0x0
	s_barrier_signal -1
	s_barrier_wait -1
	global_inv scope:SCOPE_SE
	ds_load_b32 v1, v6
	s_wait_loadcnt_dscnt 0x0
	s_barrier_signal -1
	s_barrier_wait -1
	global_inv scope:SCOPE_SE
	v_cmp_ne_u32_e32 vcc_lo, 0, v1
	s_cmp_lg_u32 vcc_lo, exec_lo
	s_cselect_b32 s9, -1, 0
	s_wait_alu 0xfffe
	s_and_b32 vcc_lo, exec_lo, s9
	s_wait_alu 0xfffe
	s_cbranch_vccnz .LBB10_36
.LBB10_4:                               ; =>This Inner Loop Header: Depth=1
	s_mov_b32 s4, s8
	s_addk_co_i32 s8, 0xff00
	s_wait_alu 0xfffe
	s_cmp_lt_i32 s8, 0
	s_cbranch_scc1 .LBB10_35
; %bb.5:                                ;   in Loop: Header=BB10_4 Depth=1
	s_lshr_b32 s9, s8, 1
	s_wait_alu 0xfffe
	v_add_nc_u32_e32 v1, s9, v0
	s_delay_alu instid0(VALU_DEP_1) | instskip(NEXT) | instid1(VALU_DEP_1)
	v_lshlrev_b64_e32 v[3:4], 2, v[1:2]
	v_add_co_u32 v3, vcc_lo, s6, v3
	s_wait_alu 0xfffd
	s_delay_alu instid0(VALU_DEP_2) | instskip(SKIP_4) | instid1(VALU_DEP_2)
	v_add_co_ci_u32_e64 v4, null, s7, v4, vcc_lo
	global_load_b32 v3, v[3:4], off
	s_wait_loadcnt 0x0
	v_lshrrev_b32_e32 v4, 16, v3
	v_cmp_class_f16_e64 s9, v3, 0x204
	v_cmp_class_f16_e64 s10, v4, 0x204
	s_and_b32 s11, s9, s10
	s_mov_b32 s10, 0
	s_wait_alu 0xfffe
	s_and_saveexec_b32 s9, s11
	s_cbranch_execz .LBB10_33
; %bb.6:                                ;   in Loop: Header=BB10_4 Depth=1
	v_add_nc_u32_e32 v3, s5, v1
	s_mov_b32 s11, 0
	s_delay_alu instid0(VALU_DEP_1) | instskip(NEXT) | instid1(VALU_DEP_1)
	v_ashrrev_i32_e32 v4, 31, v3
	v_lshlrev_b64_e32 v[7:8], 2, v[3:4]
	s_delay_alu instid0(VALU_DEP_1) | instskip(SKIP_1) | instid1(VALU_DEP_2)
	v_add_co_u32 v7, vcc_lo, s6, v7
	s_wait_alu 0xfffd
	v_add_co_ci_u32_e64 v8, null, s7, v8, vcc_lo
	global_load_b32 v1, v[7:8], off
	s_wait_loadcnt 0x0
	v_cmp_class_f16_e64 s12, v1, 0x204
	s_and_saveexec_b32 s10, s12
	s_cbranch_execz .LBB10_32
; %bb.7:                                ;   in Loop: Header=BB10_4 Depth=1
	v_lshrrev_b32_e32 v1, 16, v1
	s_mov_b32 s12, 0
	s_delay_alu instid0(VALU_DEP_1)
	v_cmp_class_f16_e64 s13, v1, 0x204
	s_and_saveexec_b32 s11, s13
	s_cbranch_execz .LBB10_31
; %bb.8:                                ;   in Loop: Header=BB10_4 Depth=1
	v_add_nc_u32_e32 v3, s5, v3
	s_mov_b32 s13, 0
	s_delay_alu instid0(VALU_DEP_1) | instskip(NEXT) | instid1(VALU_DEP_1)
	v_ashrrev_i32_e32 v4, 31, v3
	v_lshlrev_b64_e32 v[7:8], 2, v[3:4]
	s_delay_alu instid0(VALU_DEP_1) | instskip(SKIP_1) | instid1(VALU_DEP_2)
	v_add_co_u32 v7, vcc_lo, s6, v7
	s_wait_alu 0xfffd
	v_add_co_ci_u32_e64 v8, null, s7, v8, vcc_lo
	global_load_b32 v1, v[7:8], off
	s_wait_loadcnt 0x0
	v_cmp_class_f16_e64 s14, v1, 0x204
	s_and_saveexec_b32 s12, s14
	s_cbranch_execz .LBB10_30
; %bb.9:                                ;   in Loop: Header=BB10_4 Depth=1
	v_lshrrev_b32_e32 v1, 16, v1
	s_mov_b32 s14, 0
	s_delay_alu instid0(VALU_DEP_1)
	v_cmp_class_f16_e64 s15, v1, 0x204
	s_and_saveexec_b32 s13, s15
	s_cbranch_execz .LBB10_29
; %bb.10:                               ;   in Loop: Header=BB10_4 Depth=1
	v_add_nc_u32_e32 v3, s5, v3
	s_mov_b32 s15, 0
	s_delay_alu instid0(VALU_DEP_1) | instskip(NEXT) | instid1(VALU_DEP_1)
	v_ashrrev_i32_e32 v4, 31, v3
	v_lshlrev_b64_e32 v[7:8], 2, v[3:4]
	s_delay_alu instid0(VALU_DEP_1) | instskip(SKIP_1) | instid1(VALU_DEP_2)
	v_add_co_u32 v7, vcc_lo, s6, v7
	s_wait_alu 0xfffd
	v_add_co_ci_u32_e64 v8, null, s7, v8, vcc_lo
	global_load_b32 v1, v[7:8], off
	s_wait_loadcnt 0x0
	v_cmp_class_f16_e64 s16, v1, 0x204
	s_and_saveexec_b32 s14, s16
	s_cbranch_execz .LBB10_28
; %bb.11:                               ;   in Loop: Header=BB10_4 Depth=1
	v_lshrrev_b32_e32 v1, 16, v1
	s_mov_b32 s16, 0
	s_delay_alu instid0(VALU_DEP_1)
	v_cmp_class_f16_e64 s17, v1, 0x204
	s_and_saveexec_b32 s15, s17
	s_cbranch_execz .LBB10_27
; %bb.12:                               ;   in Loop: Header=BB10_4 Depth=1
	v_add_nc_u32_e32 v3, s5, v3
	s_mov_b32 s17, 0
	s_delay_alu instid0(VALU_DEP_1) | instskip(NEXT) | instid1(VALU_DEP_1)
	v_ashrrev_i32_e32 v4, 31, v3
	v_lshlrev_b64_e32 v[7:8], 2, v[3:4]
	s_delay_alu instid0(VALU_DEP_1) | instskip(SKIP_1) | instid1(VALU_DEP_2)
	v_add_co_u32 v7, vcc_lo, s6, v7
	s_wait_alu 0xfffd
	v_add_co_ci_u32_e64 v8, null, s7, v8, vcc_lo
	global_load_b32 v1, v[7:8], off
	s_wait_loadcnt 0x0
	v_cmp_class_f16_e64 s18, v1, 0x204
	s_and_saveexec_b32 s16, s18
	s_cbranch_execz .LBB10_26
; %bb.13:                               ;   in Loop: Header=BB10_4 Depth=1
	;; [unrolled: 22-line block ×4, first 2 shown]
	v_lshrrev_b32_e32 v1, 16, v1
	s_mov_b32 s22, 0
	s_delay_alu instid0(VALU_DEP_1)
	v_cmp_class_f16_e64 s23, v1, 0x204
	s_and_saveexec_b32 s21, s23
	s_cbranch_execz .LBB10_21
; %bb.18:                               ;   in Loop: Header=BB10_4 Depth=1
	v_add_nc_u32_e32 v3, s5, v3
	s_delay_alu instid0(VALU_DEP_1) | instskip(NEXT) | instid1(VALU_DEP_1)
	v_ashrrev_i32_e32 v4, 31, v3
	v_lshlrev_b64_e32 v[3:4], 2, v[3:4]
	s_delay_alu instid0(VALU_DEP_1) | instskip(SKIP_1) | instid1(VALU_DEP_2)
	v_add_co_u32 v3, vcc_lo, s6, v3
	s_wait_alu 0xfffd
	v_add_co_ci_u32_e64 v4, null, s7, v4, vcc_lo
	global_load_b32 v1, v[3:4], off
	s_wait_loadcnt 0x0
	v_cmp_class_f16_e64 s24, v1, 0x204
	s_and_saveexec_b32 s23, s24
; %bb.19:                               ;   in Loop: Header=BB10_4 Depth=1
	v_lshrrev_b32_e32 v1, 16, v1
	s_delay_alu instid0(VALU_DEP_1)
	v_cmp_class_f16_e64 s22, v1, 0x204
	s_and_b32 s22, s22, exec_lo
; %bb.20:                               ;   in Loop: Header=BB10_4 Depth=1
	s_or_b32 exec_lo, exec_lo, s23
	s_delay_alu instid0(SALU_CYCLE_1)
	s_and_b32 s22, s22, exec_lo
.LBB10_21:                              ;   in Loop: Header=BB10_4 Depth=1
	s_or_b32 exec_lo, exec_lo, s21
	s_delay_alu instid0(SALU_CYCLE_1)
	s_and_b32 s21, s22, exec_lo
.LBB10_22:                              ;   in Loop: Header=BB10_4 Depth=1
	s_or_b32 exec_lo, exec_lo, s20
	s_delay_alu instid0(SALU_CYCLE_1)
	s_and_b32 s20, s21, exec_lo
.LBB10_23:                              ;   in Loop: Header=BB10_4 Depth=1
	s_or_b32 exec_lo, exec_lo, s19
	s_delay_alu instid0(SALU_CYCLE_1)
	s_and_b32 s19, s20, exec_lo
.LBB10_24:                              ;   in Loop: Header=BB10_4 Depth=1
	s_or_b32 exec_lo, exec_lo, s18
	s_delay_alu instid0(SALU_CYCLE_1)
	s_and_b32 s18, s19, exec_lo
.LBB10_25:                              ;   in Loop: Header=BB10_4 Depth=1
	s_or_b32 exec_lo, exec_lo, s17
	s_delay_alu instid0(SALU_CYCLE_1)
	s_and_b32 s17, s18, exec_lo
.LBB10_26:                              ;   in Loop: Header=BB10_4 Depth=1
	s_or_b32 exec_lo, exec_lo, s16
	s_delay_alu instid0(SALU_CYCLE_1)
	s_and_b32 s16, s17, exec_lo
.LBB10_27:                              ;   in Loop: Header=BB10_4 Depth=1
	s_or_b32 exec_lo, exec_lo, s15
	s_delay_alu instid0(SALU_CYCLE_1)
	s_and_b32 s15, s16, exec_lo
.LBB10_28:                              ;   in Loop: Header=BB10_4 Depth=1
	s_or_b32 exec_lo, exec_lo, s14
	s_delay_alu instid0(SALU_CYCLE_1)
	s_and_b32 s14, s15, exec_lo
.LBB10_29:                              ;   in Loop: Header=BB10_4 Depth=1
	s_or_b32 exec_lo, exec_lo, s13
	s_delay_alu instid0(SALU_CYCLE_1)
	s_and_b32 s13, s14, exec_lo
.LBB10_30:                              ;   in Loop: Header=BB10_4 Depth=1
	s_or_b32 exec_lo, exec_lo, s12
	s_delay_alu instid0(SALU_CYCLE_1)
	s_and_b32 s12, s13, exec_lo
.LBB10_31:                              ;   in Loop: Header=BB10_4 Depth=1
	s_wait_alu 0xfffe
	s_or_b32 exec_lo, exec_lo, s11
	s_delay_alu instid0(SALU_CYCLE_1)
	s_and_b32 s11, s12, exec_lo
.LBB10_32:                              ;   in Loop: Header=BB10_4 Depth=1
	s_wait_alu 0xfffe
	s_or_b32 exec_lo, exec_lo, s10
	s_delay_alu instid0(SALU_CYCLE_1)
	s_and_b32 s10, s11, exec_lo
.LBB10_33:                              ;   in Loop: Header=BB10_4 Depth=1
	s_wait_alu 0xfffe
	s_or_b32 exec_lo, exec_lo, s9
	v_cndmask_b32_e64 v1, 0, 1, s10
	s_mov_b32 s11, exec_lo
	s_delay_alu instid0(VALU_DEP_1)
	v_cmp_ne_u32_e32 vcc_lo, 0, v1
	s_and_saveexec_b32 s9, s0
	s_cbranch_execz .LBB10_3
; %bb.34:                               ;   in Loop: Header=BB10_4 Depth=1
	s_wait_alu 0xfffe
	s_cmp_eq_u32 vcc_lo, s11
	s_cselect_b32 s10, -1, 0
	s_wait_alu 0xfffe
	v_cndmask_b32_e64 v1, 0, 1, s10
	ds_store_b32 v5, v1
	s_branch .LBB10_3
.LBB10_35:                              ;   in Loop: Header=BB10_4 Depth=1
	s_cbranch_execz .LBB10_4
.LBB10_36:
	s_mov_b32 s0, exec_lo
	v_cmpx_eq_u32_e32 0, v0
	s_cbranch_execz .LBB10_38
; %bb.37:
	s_mul_i32 s0, s1, ttmp7
	v_dual_mov_b32 v0, 0 :: v_dual_mov_b32 v1, s4
	s_add_co_i32 s0, s0, ttmp9
	s_delay_alu instid0(SALU_CYCLE_1) | instskip(NEXT) | instid1(SALU_CYCLE_1)
	s_ashr_i32 s1, s0, 31
	s_lshl_b64 s[0:1], s[0:1], 2
	s_delay_alu instid0(SALU_CYCLE_1)
	s_add_nc_u64 s[0:1], s[2:3], s[0:1]
	global_store_b32 v0, v1, s[0:1]
.LBB10_38:
	s_endpgm
	.section	.rodata,"a",@progbits
	.p2align	6, 0x0
	.amdhsa_kernel _ZL25flash_attn_mask_to_KV_maxILi8EEvPK7__half2Piiii
		.amdhsa_group_segment_fixed_size 128
		.amdhsa_private_segment_fixed_size 0
		.amdhsa_kernarg_size 288
		.amdhsa_user_sgpr_count 2
		.amdhsa_user_sgpr_dispatch_ptr 0
		.amdhsa_user_sgpr_queue_ptr 0
		.amdhsa_user_sgpr_kernarg_segment_ptr 1
		.amdhsa_user_sgpr_dispatch_id 0
		.amdhsa_user_sgpr_private_segment_size 0
		.amdhsa_wavefront_size32 1
		.amdhsa_uses_dynamic_stack 0
		.amdhsa_enable_private_segment 0
		.amdhsa_system_sgpr_workgroup_id_x 1
		.amdhsa_system_sgpr_workgroup_id_y 1
		.amdhsa_system_sgpr_workgroup_id_z 0
		.amdhsa_system_sgpr_workgroup_info 0
		.amdhsa_system_vgpr_workitem_id 0
		.amdhsa_next_free_vgpr 9
		.amdhsa_next_free_sgpr 25
		.amdhsa_reserve_vcc 1
		.amdhsa_float_round_mode_32 0
		.amdhsa_float_round_mode_16_64 0
		.amdhsa_float_denorm_mode_32 3
		.amdhsa_float_denorm_mode_16_64 3
		.amdhsa_fp16_overflow 0
		.amdhsa_workgroup_processor_mode 1
		.amdhsa_memory_ordered 1
		.amdhsa_forward_progress 1
		.amdhsa_inst_pref_size 12
		.amdhsa_round_robin_scheduling 0
		.amdhsa_exception_fp_ieee_invalid_op 0
		.amdhsa_exception_fp_denorm_src 0
		.amdhsa_exception_fp_ieee_div_zero 0
		.amdhsa_exception_fp_ieee_overflow 0
		.amdhsa_exception_fp_ieee_underflow 0
		.amdhsa_exception_fp_ieee_inexact 0
		.amdhsa_exception_int_div_zero 0
	.end_amdhsa_kernel
	.section	.text._ZL25flash_attn_mask_to_KV_maxILi8EEvPK7__half2Piiii,"axG",@progbits,_ZL25flash_attn_mask_to_KV_maxILi8EEvPK7__half2Piiii,comdat
.Lfunc_end10:
	.size	_ZL25flash_attn_mask_to_KV_maxILi8EEvPK7__half2Piiii, .Lfunc_end10-_ZL25flash_attn_mask_to_KV_maxILi8EEvPK7__half2Piiii
                                        ; -- End function
	.set _ZL25flash_attn_mask_to_KV_maxILi8EEvPK7__half2Piiii.num_vgpr, 9
	.set _ZL25flash_attn_mask_to_KV_maxILi8EEvPK7__half2Piiii.num_agpr, 0
	.set _ZL25flash_attn_mask_to_KV_maxILi8EEvPK7__half2Piiii.numbered_sgpr, 25
	.set _ZL25flash_attn_mask_to_KV_maxILi8EEvPK7__half2Piiii.num_named_barrier, 0
	.set _ZL25flash_attn_mask_to_KV_maxILi8EEvPK7__half2Piiii.private_seg_size, 0
	.set _ZL25flash_attn_mask_to_KV_maxILi8EEvPK7__half2Piiii.uses_vcc, 1
	.set _ZL25flash_attn_mask_to_KV_maxILi8EEvPK7__half2Piiii.uses_flat_scratch, 0
	.set _ZL25flash_attn_mask_to_KV_maxILi8EEvPK7__half2Piiii.has_dyn_sized_stack, 0
	.set _ZL25flash_attn_mask_to_KV_maxILi8EEvPK7__half2Piiii.has_recursion, 0
	.set _ZL25flash_attn_mask_to_KV_maxILi8EEvPK7__half2Piiii.has_indirect_call, 0
	.section	.AMDGPU.csdata,"",@progbits
; Kernel info:
; codeLenInByte = 1456
; TotalNumSgprs: 27
; NumVgprs: 9
; ScratchSize: 0
; MemoryBound: 0
; FloatMode: 240
; IeeeMode: 1
; LDSByteSize: 128 bytes/workgroup (compile time only)
; SGPRBlocks: 0
; VGPRBlocks: 1
; NumSGPRsForWavesPerEU: 27
; NumVGPRsForWavesPerEU: 9
; Occupancy: 16
; WaveLimiterHint : 0
; COMPUTE_PGM_RSRC2:SCRATCH_EN: 0
; COMPUTE_PGM_RSRC2:USER_SGPR: 2
; COMPUTE_PGM_RSRC2:TRAP_HANDLER: 0
; COMPUTE_PGM_RSRC2:TGID_X_EN: 1
; COMPUTE_PGM_RSRC2:TGID_Y_EN: 1
; COMPUTE_PGM_RSRC2:TGID_Z_EN: 0
; COMPUTE_PGM_RSRC2:TIDIG_COMP_CNT: 0
	.section	.text._ZL33flash_attn_stream_k_fixup_uniformILi512ELi8ELi4EEvPfPK15HIP_vector_typeIfLj2EEiiiiiiS1_IjLj3EES5_S5_,"axG",@progbits,_ZL33flash_attn_stream_k_fixup_uniformILi512ELi8ELi4EEvPfPK15HIP_vector_typeIfLj2EEiiiiiiS1_IjLj3EES5_S5_,comdat
	.globl	_ZL33flash_attn_stream_k_fixup_uniformILi512ELi8ELi4EEvPfPK15HIP_vector_typeIfLj2EEiiiiiiS1_IjLj3EES5_S5_ ; -- Begin function _ZL33flash_attn_stream_k_fixup_uniformILi512ELi8ELi4EEvPfPK15HIP_vector_typeIfLj2EEiiiiiiS1_IjLj3EES5_S5_
	.p2align	8
	.type	_ZL33flash_attn_stream_k_fixup_uniformILi512ELi8ELi4EEvPfPK15HIP_vector_typeIfLj2EEiiiiiiS1_IjLj3EES5_S5_,@function
_ZL33flash_attn_stream_k_fixup_uniformILi512ELi8ELi4EEvPfPK15HIP_vector_typeIfLj2EEiiiiiiS1_IjLj3EES5_S5_: ; @_ZL33flash_attn_stream_k_fixup_uniformILi512ELi8ELi4EEvPfPK15HIP_vector_typeIfLj2EEiiiiiiS1_IjLj3EES5_S5_
; %bb.0:
	s_clause 0x1
	s_load_b256 s[4:11], s[0:1], 0x1c
	s_load_b128 s[12:15], s[0:1], 0x3c
	s_wait_kmcnt 0x0
	s_mul_hi_u32 s2, s7, ttmp9
	s_delay_alu instid0(SALU_CYCLE_1) | instskip(NEXT) | instid1(SALU_CYCLE_1)
	s_add_co_i32 s2, ttmp9, s2
	s_lshr_b32 s2, s2, s8
	s_delay_alu instid0(SALU_CYCLE_1) | instskip(SKIP_2) | instid1(SALU_CYCLE_1)
	s_mul_i32 s3, s2, s9
	s_load_b64 s[8:9], s[0:1], 0x10
	s_sub_co_i32 s7, ttmp9, s3
	s_mul_hi_u32 s3, s7, s10
	s_delay_alu instid0(SALU_CYCLE_1) | instskip(NEXT) | instid1(SALU_CYCLE_1)
	s_add_co_i32 s3, s7, s3
	s_lshr_b32 s3, s3, s11
	s_delay_alu instid0(SALU_CYCLE_1) | instskip(NEXT) | instid1(SALU_CYCLE_1)
	s_mul_i32 s10, s3, s12
	s_sub_co_i32 s7, s7, s10
	s_delay_alu instid0(SALU_CYCLE_1) | instskip(NEXT) | instid1(SALU_CYCLE_1)
	s_mul_hi_u32 s10, s7, s13
	s_add_co_i32 s10, s7, s10
	s_delay_alu instid0(SALU_CYCLE_1) | instskip(NEXT) | instid1(SALU_CYCLE_1)
	s_lshr_b32 s12, s10, s14
	s_mul_i32 s10, s12, s15
	s_lshl_b32 s12, s12, 2
	s_sub_co_i32 s11, s7, s10
	s_and_b32 s7, ttmp7, 0xffff
	s_lshl_b32 s13, s11, 3
	s_lshr_b32 s10, ttmp7, 16
	s_add_co_i32 s13, s13, s7
	s_wait_kmcnt 0x0
	s_cmp_lt_i32 s13, s8
	s_cselect_b32 s13, -1, 0
	s_add_co_i32 s14, s12, s10
	s_delay_alu instid0(SALU_CYCLE_1) | instskip(SKIP_1) | instid1(SALU_CYCLE_1)
	s_cmp_lt_i32 s14, s5
	s_cselect_b32 s14, -1, 0
	s_and_b32 s13, s13, s14
	s_delay_alu instid0(SALU_CYCLE_1)
	s_and_not1_b32 vcc_lo, exec_lo, s13
	s_cbranch_vccnz .LBB11_6
; %bb.1:
	s_mul_i32 s2, s2, s8
	s_mul_i32 s5, s3, s5
	s_add_co_i32 s2, s2, s7
	s_delay_alu instid0(SALU_CYCLE_1) | instskip(NEXT) | instid1(SALU_CYCLE_1)
	s_mul_i32 s2, s2, s9
	s_add_co_i32 s8, s2, s10
	s_load_b128 s[0:3], s[0:1], 0x0
	s_add_co_i32 s5, s8, s5
	s_mul_i32 s8, s9, s11
	s_add_co_i32 s5, s5, s12
	s_lshl_b32 s8, s8, 12
	s_lshl_b32 s5, s5, 9
	s_delay_alu instid0(SALU_CYCLE_1)
	s_add_co_i32 s8, s8, s5
	s_lshl_b32 s5, s7, 2
	v_or_b32_e32 v1, s8, v0
	s_mul_i32 s8, s6, ttmp9
	s_wait_alu 0xfffe
	s_add_co_i32 s9, s8, s6
	s_wait_alu 0xfffe
	s_add_co_i32 s12, s9, -2
	v_ashrrev_i32_e32 v2, 31, v1
	s_delay_alu instid0(VALU_DEP_1) | instskip(SKIP_1) | instid1(VALU_DEP_1)
	v_lshlrev_b64_e32 v[1:2], 2, v[1:2]
	s_wait_kmcnt 0x0
	v_add_co_u32 v1, vcc_lo, s0, v1
	s_delay_alu instid0(VALU_DEP_1)
	v_add_co_ci_u32_e64 v2, null, s1, v2, vcc_lo
	s_add_co_i32 s0, s5, s10
	s_lshl_b32 s1, s9, 5
	global_load_b32 v5, v[1:2], off
	s_wait_alu 0xfffe
	s_add_co_i32 s0, s0, s1
	s_wait_alu 0xfffe
	s_sub_co_i32 s0, s0, 32
	s_wait_alu 0xfffe
	s_ashr_i32 s1, s0, 31
	s_wait_alu 0xfffe
	s_lshl_b64 s[0:1], s[0:1], 3
	s_cmp_lt_i32 s12, s8
	s_wait_alu 0xfffe
	s_add_nc_u64 s[0:1], s[2:3], s[0:1]
	s_load_b32 s11, s[0:1], 0x4
	s_cbranch_scc1 .LBB11_4
; %bb.2:
	s_load_b32 s0, s[0:1], 0x0
	s_add_co_i32 s13, ttmp9, 1
	s_lshl_b32 s12, s4, 7
	s_mul_i32 s1, s6, s13
	s_lshl_b32 s6, s7, 11
	s_lshl_b32 s7, s10, 9
	s_wait_alu 0xfffe
	s_lshl_b32 s14, s1, 14
	s_add_co_i32 s6, s7, s6
	s_lshl_b32 s1, s1, 5
	s_add_co_i32 s14, s6, s14
	s_wait_alu 0xfffe
	s_add_co_i32 s1, s10, s1
	v_or_b32_e32 v0, s14, v0
	s_lshl_b32 s4, s4, 5
	s_ashr_i32 s13, s12, 31
	s_wait_alu 0xfffe
	s_add_co_i32 s1, s1, s4
	s_wait_kmcnt 0x0
	v_dual_mov_b32 v6, s11 :: v_dual_add_nc_u32 v3, 0xffff8000, v0
	s_lshl_b64 s[6:7], s[12:13], 2
	s_wait_alu 0xfffe
	s_add_co_i32 s4, s1, s5
	s_add_nc_u64 s[6:7], s[2:3], s[6:7]
	s_add_co_i32 s1, s9, -1
	s_sub_co_i32 s4, s4, 64
.LBB11_3:                               ; =>This Inner Loop Header: Depth=1
	v_ashrrev_i32_e32 v4, 31, v3
	s_ashr_i32 s5, s4, 31
	v_mov_b32_e32 v10, v6
	s_lshl_b64 s[10:11], s[4:5], 3
	s_wait_loadcnt 0x0
	v_mov_b32_e32 v9, v5
	v_lshlrev_b64_e32 v[7:8], 2, v[3:4]
	s_wait_alu 0xfffe
	s_add_nc_u64 s[10:11], s[2:3], s[10:11]
	v_max_num_f32_e64 v4, s0, s0
	s_load_b64 s[10:11], s[10:11], 0x0
	v_add_nc_u32_e32 v3, 0xffffc000, v3
	v_add_co_u32 v7, vcc_lo, s6, v7
	s_wait_alu 0xfffd
	v_add_co_ci_u32_e64 v8, null, s7, v8, vcc_lo
	v_readfirstlane_b32 s5, v4
	global_load_b32 v0, v[7:8], off
	s_wait_kmcnt 0x0
	v_max_num_f32_e64 v4, s10, s10
	s_delay_alu instid0(VALU_DEP_1) | instskip(SKIP_1) | instid1(SALU_CYCLE_3)
	v_readfirstlane_b32 s9, v4
	s_max_num_f32 s5, s5, s9
	s_sub_f32 s0, s0, s5
	s_sub_f32 s9, s10, s5
	s_wait_alu 0xfffe
	s_delay_alu instid0(SALU_CYCLE_1) | instskip(NEXT) | instid1(SALU_CYCLE_1)
	s_mul_f32 s10, s0, 0x3fb8aa3b
	s_mul_f32 s12, s9, 0x3fb8aa3b
	s_wait_alu 0xfffe
	s_delay_alu instid0(SALU_CYCLE_1)
	s_xor_b32 s13, s10, 0x80000000
	s_rndne_f32 s14, s10
	s_fmamk_f32 s13, s0, 0x3fb8aa3b, s13
	s_cmp_nlt_f32 s0, 0xc2ce8ed0
	s_rndne_f32 s15, s12
	s_wait_alu 0xfffe
	s_sub_f32 s10, s10, s14
	s_fmamk_f32 s13, s0, 0x32a5705f, s13
	s_cvt_i32_f32 s14, s14
	s_cselect_b32 vcc_lo, -1, 0
	s_cmp_ngt_f32 s0, 0x42b17218
	s_wait_alu 0xfffe
	s_add_f32 s10, s10, s13
	s_sub_f32 s13, s12, s15
	s_wait_alu 0xfffe
	s_delay_alu instid0(SALU_CYCLE_1) | instskip(SKIP_1) | instid1(TRANS32_DEP_1)
	v_s_exp_f32 s10, s10
	s_wait_alu 0xf1ff
	v_ldexp_f32 v4, s10, s14
	s_cvt_i32_f32 s10, s15
	s_delay_alu instid0(VALU_DEP_1) | instskip(SKIP_3) | instid1(VALU_DEP_1)
	v_cndmask_b32_e32 v4, 0, v4, vcc_lo
	s_cselect_b32 vcc_lo, -1, 0
	s_cmp_ge_f32 s0, 0xc1a00000
	s_wait_alu 0xfffe
	v_cndmask_b32_e32 v4, 0x7f800000, v4, vcc_lo
	s_cselect_b32 vcc_lo, -1, 0
	s_xor_b32 s0, s12, 0x80000000
	s_cmp_nlt_f32 s9, 0xc2ce8ed0
	s_wait_alu 0xfffe
	s_fmamk_f32 s0, s9, 0x3fb8aa3b, s0
	s_wait_alu 0xfffe
	s_delay_alu instid0(SALU_CYCLE_2) | instskip(SKIP_1) | instid1(SALU_CYCLE_2)
	s_fmamk_f32 s0, s9, 0x32a5705f, s0
	s_wait_alu 0xfffe
	s_add_f32 s0, s13, s0
	s_wait_alu 0xfffe
	s_delay_alu instid0(SALU_CYCLE_2) | instskip(SKIP_1) | instid1(TRANS32_DEP_1)
	v_s_exp_f32 s0, s0
	s_wait_alu 0xf1ff
	v_ldexp_f32 v7, s0, s10
	s_cselect_b32 s0, -1, 0
	s_cmp_ngt_f32 s9, 0x42b17218
	s_wait_alu 0xfffe
	s_delay_alu instid0(VALU_DEP_1) | instskip(SKIP_3) | instid1(VALU_DEP_1)
	v_cndmask_b32_e64 v7, 0, v7, s0
	s_cselect_b32 s0, -1, 0
	s_cmp_ge_f32 s9, 0xc1a00000
	s_wait_alu 0xfffe
	v_cndmask_b32_e64 v7, 0x7f800000, v7, s0
	s_cselect_b32 s0, -1, 0
	s_add_co_i32 s1, s1, -1
	s_sub_co_i32 s4, s4, 32
	s_wait_alu 0xfffe
	s_cmp_le_i32 s1, s8
	v_cndmask_b32_e64 v7, 0, v7, s0
	s_mov_b32 s0, s5
	s_wait_loadcnt 0x0
	s_delay_alu instid0(VALU_DEP_1) | instskip(NEXT) | instid1(VALU_DEP_1)
	v_dual_mul_f32 v5, v0, v7 :: v_dual_cndmask_b32 v4, 0, v4
	v_dual_mul_f32 v8, s11, v7 :: v_dual_fmac_f32 v5, v9, v4
	s_delay_alu instid0(VALU_DEP_1) | instskip(NEXT) | instid1(VALU_DEP_1)
	v_mov_b32_e32 v6, v8
	v_fmac_f32_e32 v6, v10, v4
	s_cbranch_scc0 .LBB11_3
	s_branch .LBB11_5
.LBB11_4:
	s_wait_kmcnt 0x0
	v_mov_b32_e32 v6, s11
.LBB11_5:
	s_wait_loadcnt 0x0
	s_delay_alu instid0(VALU_DEP_1) | instskip(NEXT) | instid1(VALU_DEP_1)
	v_div_scale_f32 v0, null, v6, v6, v5
	v_rcp_f32_e32 v3, v0
	s_delay_alu instid0(TRANS32_DEP_1) | instskip(NEXT) | instid1(VALU_DEP_1)
	v_fma_f32 v4, -v0, v3, 1.0
	v_fmac_f32_e32 v3, v4, v3
	v_div_scale_f32 v4, vcc_lo, v5, v6, v5
	s_delay_alu instid0(VALU_DEP_1) | instskip(NEXT) | instid1(VALU_DEP_1)
	v_mul_f32_e32 v7, v4, v3
	v_fma_f32 v8, -v0, v7, v4
	s_delay_alu instid0(VALU_DEP_1) | instskip(NEXT) | instid1(VALU_DEP_1)
	v_fmac_f32_e32 v7, v8, v3
	v_fma_f32 v0, -v0, v7, v4
	s_wait_alu 0xfffd
	s_delay_alu instid0(VALU_DEP_1) | instskip(NEXT) | instid1(VALU_DEP_1)
	v_div_fmas_f32 v0, v0, v3, v7
	v_div_fixup_f32 v0, v0, v6, v5
	global_store_b32 v[1:2], v0, off
.LBB11_6:
	s_endpgm
	.section	.rodata,"a",@progbits
	.p2align	6, 0x0
	.amdhsa_kernel _ZL33flash_attn_stream_k_fixup_uniformILi512ELi8ELi4EEvPfPK15HIP_vector_typeIfLj2EEiiiiiiS1_IjLj3EES5_S5_
		.amdhsa_group_segment_fixed_size 0
		.amdhsa_private_segment_fixed_size 0
		.amdhsa_kernarg_size 76
		.amdhsa_user_sgpr_count 2
		.amdhsa_user_sgpr_dispatch_ptr 0
		.amdhsa_user_sgpr_queue_ptr 0
		.amdhsa_user_sgpr_kernarg_segment_ptr 1
		.amdhsa_user_sgpr_dispatch_id 0
		.amdhsa_user_sgpr_private_segment_size 0
		.amdhsa_wavefront_size32 1
		.amdhsa_uses_dynamic_stack 0
		.amdhsa_enable_private_segment 0
		.amdhsa_system_sgpr_workgroup_id_x 1
		.amdhsa_system_sgpr_workgroup_id_y 1
		.amdhsa_system_sgpr_workgroup_id_z 1
		.amdhsa_system_sgpr_workgroup_info 0
		.amdhsa_system_vgpr_workitem_id 0
		.amdhsa_next_free_vgpr 11
		.amdhsa_next_free_sgpr 16
		.amdhsa_reserve_vcc 1
		.amdhsa_float_round_mode_32 0
		.amdhsa_float_round_mode_16_64 0
		.amdhsa_float_denorm_mode_32 3
		.amdhsa_float_denorm_mode_16_64 3
		.amdhsa_fp16_overflow 0
		.amdhsa_workgroup_processor_mode 1
		.amdhsa_memory_ordered 1
		.amdhsa_forward_progress 1
		.amdhsa_inst_pref_size 9
		.amdhsa_round_robin_scheduling 0
		.amdhsa_exception_fp_ieee_invalid_op 0
		.amdhsa_exception_fp_denorm_src 0
		.amdhsa_exception_fp_ieee_div_zero 0
		.amdhsa_exception_fp_ieee_overflow 0
		.amdhsa_exception_fp_ieee_underflow 0
		.amdhsa_exception_fp_ieee_inexact 0
		.amdhsa_exception_int_div_zero 0
	.end_amdhsa_kernel
	.section	.text._ZL33flash_attn_stream_k_fixup_uniformILi512ELi8ELi4EEvPfPK15HIP_vector_typeIfLj2EEiiiiiiS1_IjLj3EES5_S5_,"axG",@progbits,_ZL33flash_attn_stream_k_fixup_uniformILi512ELi8ELi4EEvPfPK15HIP_vector_typeIfLj2EEiiiiiiS1_IjLj3EES5_S5_,comdat
.Lfunc_end11:
	.size	_ZL33flash_attn_stream_k_fixup_uniformILi512ELi8ELi4EEvPfPK15HIP_vector_typeIfLj2EEiiiiiiS1_IjLj3EES5_S5_, .Lfunc_end11-_ZL33flash_attn_stream_k_fixup_uniformILi512ELi8ELi4EEvPfPK15HIP_vector_typeIfLj2EEiiiiiiS1_IjLj3EES5_S5_
                                        ; -- End function
	.set _ZL33flash_attn_stream_k_fixup_uniformILi512ELi8ELi4EEvPfPK15HIP_vector_typeIfLj2EEiiiiiiS1_IjLj3EES5_S5_.num_vgpr, 11
	.set _ZL33flash_attn_stream_k_fixup_uniformILi512ELi8ELi4EEvPfPK15HIP_vector_typeIfLj2EEiiiiiiS1_IjLj3EES5_S5_.num_agpr, 0
	.set _ZL33flash_attn_stream_k_fixup_uniformILi512ELi8ELi4EEvPfPK15HIP_vector_typeIfLj2EEiiiiiiS1_IjLj3EES5_S5_.numbered_sgpr, 16
	.set _ZL33flash_attn_stream_k_fixup_uniformILi512ELi8ELi4EEvPfPK15HIP_vector_typeIfLj2EEiiiiiiS1_IjLj3EES5_S5_.num_named_barrier, 0
	.set _ZL33flash_attn_stream_k_fixup_uniformILi512ELi8ELi4EEvPfPK15HIP_vector_typeIfLj2EEiiiiiiS1_IjLj3EES5_S5_.private_seg_size, 0
	.set _ZL33flash_attn_stream_k_fixup_uniformILi512ELi8ELi4EEvPfPK15HIP_vector_typeIfLj2EEiiiiiiS1_IjLj3EES5_S5_.uses_vcc, 1
	.set _ZL33flash_attn_stream_k_fixup_uniformILi512ELi8ELi4EEvPfPK15HIP_vector_typeIfLj2EEiiiiiiS1_IjLj3EES5_S5_.uses_flat_scratch, 0
	.set _ZL33flash_attn_stream_k_fixup_uniformILi512ELi8ELi4EEvPfPK15HIP_vector_typeIfLj2EEiiiiiiS1_IjLj3EES5_S5_.has_dyn_sized_stack, 0
	.set _ZL33flash_attn_stream_k_fixup_uniformILi512ELi8ELi4EEvPfPK15HIP_vector_typeIfLj2EEiiiiiiS1_IjLj3EES5_S5_.has_recursion, 0
	.set _ZL33flash_attn_stream_k_fixup_uniformILi512ELi8ELi4EEvPfPK15HIP_vector_typeIfLj2EEiiiiiiS1_IjLj3EES5_S5_.has_indirect_call, 0
	.section	.AMDGPU.csdata,"",@progbits
; Kernel info:
; codeLenInByte = 1140
; TotalNumSgprs: 18
; NumVgprs: 11
; ScratchSize: 0
; MemoryBound: 0
; FloatMode: 240
; IeeeMode: 1
; LDSByteSize: 0 bytes/workgroup (compile time only)
; SGPRBlocks: 0
; VGPRBlocks: 1
; NumSGPRsForWavesPerEU: 18
; NumVGPRsForWavesPerEU: 11
; Occupancy: 16
; WaveLimiterHint : 0
; COMPUTE_PGM_RSRC2:SCRATCH_EN: 0
; COMPUTE_PGM_RSRC2:USER_SGPR: 2
; COMPUTE_PGM_RSRC2:TRAP_HANDLER: 0
; COMPUTE_PGM_RSRC2:TGID_X_EN: 1
; COMPUTE_PGM_RSRC2:TGID_Y_EN: 1
; COMPUTE_PGM_RSRC2:TGID_Z_EN: 1
; COMPUTE_PGM_RSRC2:TIDIG_COMP_CNT: 0
	.section	.text._ZL33flash_attn_stream_k_fixup_generalILi512ELi8ELi4EEvPfPK15HIP_vector_typeIfLj2EEiiiiS1_IjLj3EES5_S5_S5_,"axG",@progbits,_ZL33flash_attn_stream_k_fixup_generalILi512ELi8ELi4EEvPfPK15HIP_vector_typeIfLj2EEiiiiS1_IjLj3EES5_S5_S5_,comdat
	.globl	_ZL33flash_attn_stream_k_fixup_generalILi512ELi8ELi4EEvPfPK15HIP_vector_typeIfLj2EEiiiiS1_IjLj3EES5_S5_S5_ ; -- Begin function _ZL33flash_attn_stream_k_fixup_generalILi512ELi8ELi4EEvPfPK15HIP_vector_typeIfLj2EEiiiiS1_IjLj3EES5_S5_S5_
	.p2align	8
	.type	_ZL33flash_attn_stream_k_fixup_generalILi512ELi8ELi4EEvPfPK15HIP_vector_typeIfLj2EEiiiiS1_IjLj3EES5_S5_S5_,@function
_ZL33flash_attn_stream_k_fixup_generalILi512ELi8ELi4EEvPfPK15HIP_vector_typeIfLj2EEiiiiS1_IjLj3EES5_S5_S5_: ; @_ZL33flash_attn_stream_k_fixup_generalILi512ELi8ELi4EEvPfPK15HIP_vector_typeIfLj2EEiiiiS1_IjLj3EES5_S5_S5_
; %bb.0:
	s_clause 0x1
	s_load_b128 s[4:7], s[0:1], 0x10
	s_load_b32 s16, s[0:1], 0x50
	s_mov_b32 s2, ttmp9
	s_ashr_i32 s3, ttmp9, 31
	s_mov_b32 s17, 0
	s_delay_alu instid0(SALU_CYCLE_1) | instskip(SKIP_3) | instid1(SALU_CYCLE_1)
	s_mov_b32 s8, s17
	s_wait_kmcnt 0x0
	s_ashr_i32 s19, s7, 31
	s_mov_b32 s18, s7
	s_mul_u64 s[2:3], s[18:19], s[2:3]
	s_delay_alu instid0(SALU_CYCLE_1) | instskip(NEXT) | instid1(SALU_CYCLE_1)
	s_mov_b32 s9, s3
	s_cmp_lg_u64 s[8:9], 0
	s_cbranch_scc0 .LBB12_21
; %bb.1:
	s_add_nc_u64 s[8:9], s[16:17], 0
	s_mov_b32 s15, s17
	s_xor_b64 s[8:9], s[8:9], 0
	s_mov_b32 s23, s17
	s_cvt_f32_u32 s7, s8
	s_cvt_f32_u32 s10, s9
	s_sub_nc_u64 s[12:13], 0, s[8:9]
	s_delay_alu instid0(SALU_CYCLE_2) | instskip(NEXT) | instid1(SALU_CYCLE_3)
	s_fmamk_f32 s7, s10, 0x4f800000, s7
	v_s_rcp_f32 s7, s7
	s_delay_alu instid0(TRANS32_DEP_1) | instskip(SKIP_1) | instid1(SALU_CYCLE_2)
	s_mul_f32 s7, s7, 0x5f7ffffc
	s_wait_alu 0xfffe
	s_mul_f32 s10, s7, 0x2f800000
	s_delay_alu instid0(SALU_CYCLE_3) | instskip(NEXT) | instid1(SALU_CYCLE_3)
	s_trunc_f32 s10, s10
	s_fmamk_f32 s7, s10, 0xcf800000, s7
	s_cvt_u32_f32 s11, s10
	s_wait_alu 0xfffe
	s_delay_alu instid0(SALU_CYCLE_1) | instskip(NEXT) | instid1(SALU_CYCLE_3)
	s_cvt_u32_f32 s10, s7
	s_mul_u64 s[20:21], s[12:13], s[10:11]
	s_delay_alu instid0(SALU_CYCLE_1)
	s_mul_hi_u32 s25, s10, s21
	s_mul_i32 s24, s10, s21
	s_mul_hi_u32 s14, s10, s20
	s_mul_i32 s22, s11, s20
	s_add_nc_u64 s[14:15], s[14:15], s[24:25]
	s_mul_hi_u32 s7, s11, s20
	s_mul_hi_u32 s26, s11, s21
	s_add_co_u32 s14, s14, s22
	s_wait_alu 0xfffe
	s_add_co_ci_u32 s22, s15, s7
	s_mul_i32 s20, s11, s21
	s_add_co_ci_u32 s21, s26, 0
	s_delay_alu instid0(SALU_CYCLE_1)
	s_add_nc_u64 s[14:15], s[22:23], s[20:21]
	s_mov_b32 s21, s17
	s_add_co_u32 s10, s10, s14
	s_cselect_b32 s7, -1, 0
	s_wait_alu 0xfffe
	s_cmp_lg_u32 s7, 0
	s_add_co_ci_u32 s11, s11, s15
	s_mov_b32 s15, s17
	s_mul_u64 s[12:13], s[12:13], s[10:11]
	s_delay_alu instid0(SALU_CYCLE_1)
	s_mul_hi_u32 s23, s10, s13
	s_mul_i32 s22, s10, s13
	s_mul_hi_u32 s14, s10, s12
	s_mul_i32 s20, s11, s12
	s_add_nc_u64 s[14:15], s[14:15], s[22:23]
	s_mul_hi_u32 s7, s11, s12
	s_mul_hi_u32 s24, s11, s13
	s_mul_i32 s12, s11, s13
	s_add_co_u32 s13, s14, s20
	s_wait_alu 0xfffe
	s_add_co_ci_u32 s20, s15, s7
	s_add_co_ci_u32 s13, s24, 0
	s_mov_b32 s15, s17
	s_add_nc_u64 s[12:13], s[20:21], s[12:13]
	s_delay_alu instid0(SALU_CYCLE_1) | instskip(SKIP_1) | instid1(SALU_CYCLE_1)
	s_add_co_u32 s7, s10, s12
	s_cselect_b32 s10, -1, 0
	s_cmp_lg_u32 s10, 0
	s_add_co_ci_u32 s20, s11, s13
	s_ashr_i32 s10, s3, 31
	s_delay_alu instid0(SALU_CYCLE_1) | instskip(NEXT) | instid1(SALU_CYCLE_1)
	s_mov_b32 s11, s10
	s_add_nc_u64 s[12:13], s[2:3], s[10:11]
	s_delay_alu instid0(SALU_CYCLE_1) | instskip(NEXT) | instid1(SALU_CYCLE_1)
	s_xor_b64 s[12:13], s[12:13], s[10:11]
	s_mul_hi_u32 s23, s12, s20
	s_mul_i32 s22, s12, s20
	s_wait_alu 0xfffe
	s_mul_hi_u32 s14, s12, s7
	s_mul_hi_u32 s24, s13, s7
	s_mul_i32 s7, s13, s7
	s_add_nc_u64 s[14:15], s[14:15], s[22:23]
	s_mul_hi_u32 s3, s13, s20
	s_wait_alu 0xfffe
	s_add_co_u32 s7, s14, s7
	s_mul_i32 s22, s13, s20
	s_add_co_ci_u32 s20, s15, s24
	s_add_co_ci_u32 s23, s3, 0
	s_delay_alu instid0(SALU_CYCLE_1) | instskip(NEXT) | instid1(SALU_CYCLE_1)
	s_add_nc_u64 s[14:15], s[20:21], s[22:23]
	s_mul_u64 s[20:21], s[8:9], s[14:15]
	s_delay_alu instid0(SALU_CYCLE_1)
	s_sub_co_u32 s3, s12, s20
	s_cselect_b32 s7, -1, 0
	s_sub_co_i32 s12, s13, s21
	s_wait_alu 0xfffe
	s_cmp_lg_u32 s7, 0
	s_sub_co_ci_u32 s12, s12, s9
	s_sub_co_u32 s20, s3, s8
	s_cselect_b32 s22, -1, 0
	s_delay_alu instid0(SALU_CYCLE_1) | instskip(SKIP_2) | instid1(SALU_CYCLE_1)
	s_cmp_lg_u32 s22, 0
	s_add_nc_u64 s[22:23], s[14:15], 1
	s_sub_co_ci_u32 s12, s12, 0
	s_cmp_ge_u32 s12, s9
	s_cselect_b32 s24, -1, 0
	s_cmp_ge_u32 s20, s8
	s_cselect_b32 s20, -1, 0
	s_cmp_eq_u32 s12, s9
	s_cselect_b32 s12, s20, s24
	s_add_nc_u64 s[24:25], s[14:15], 2
	s_cmp_lg_u32 s12, 0
	s_cselect_b32 s12, s24, s22
	s_cselect_b32 s20, s25, s23
	s_cmp_lg_u32 s7, 0
	s_sub_co_ci_u32 s7, s13, s21
	s_wait_alu 0xfffe
	s_cmp_ge_u32 s7, s9
	s_cselect_b32 s13, -1, 0
	s_cmp_ge_u32 s3, s8
	s_cselect_b32 s3, -1, 0
	s_cmp_eq_u32 s7, s9
	s_cselect_b32 s3, s3, s13
	s_delay_alu instid0(SALU_CYCLE_1) | instskip(SKIP_4) | instid1(SALU_CYCLE_1)
	s_cmp_lg_u32 s3, 0
	s_mov_b32 s3, s17
	s_cselect_b32 s9, s20, s15
	s_cselect_b32 s8, s12, s14
	s_xor_b64 s[10:11], s[10:11], 0
	s_xor_b64 s[8:9], s[8:9], s[10:11]
	s_delay_alu instid0(SALU_CYCLE_1)
	s_sub_nc_u64 s[20:21], s[8:9], s[10:11]
	s_and_not1_b32 vcc_lo, exec_lo, s3
	s_cbranch_vccnz .LBB12_3
.LBB12_2:
	v_cvt_f32_u32_e32 v1, s16
	s_sub_co_i32 s7, 0, s16
	s_delay_alu instid0(VALU_DEP_1) | instskip(NEXT) | instid1(TRANS32_DEP_1)
	v_rcp_iflag_f32_e32 v1, v1
	v_mul_f32_e32 v1, 0x4f7ffffe, v1
	s_delay_alu instid0(VALU_DEP_1) | instskip(NEXT) | instid1(VALU_DEP_1)
	v_cvt_u32_f32_e32 v1, v1
	v_readfirstlane_b32 s3, v1
	s_wait_alu 0xfffe
	s_mul_i32 s7, s7, s3
	s_wait_alu 0xfffe
	s_mul_hi_u32 s7, s3, s7
	s_wait_alu 0xfffe
	s_add_co_i32 s3, s3, s7
	s_delay_alu instid0(SALU_CYCLE_1) | instskip(NEXT) | instid1(SALU_CYCLE_1)
	s_mul_hi_u32 s3, s2, s3
	s_mul_i32 s7, s3, s16
	s_wait_alu 0xfffe
	s_sub_co_i32 s2, s2, s7
	s_add_co_i32 s7, s3, 1
	s_sub_co_i32 s8, s2, s16
	s_cmp_ge_u32 s2, s16
	s_wait_alu 0xfffe
	s_cselect_b32 s3, s7, s3
	s_cselect_b32 s2, s8, s2
	s_add_co_i32 s7, s3, 1
	s_cmp_ge_u32 s2, s16
	s_wait_alu 0xfffe
	s_cselect_b32 s20, s7, s3
.LBB12_3:
	s_add_co_i32 s2, ttmp9, 1
	s_mov_b32 s8, 0
	s_ashr_i32 s3, s2, 31
	s_delay_alu instid0(SALU_CYCLE_1) | instskip(NEXT) | instid1(SALU_CYCLE_1)
	s_mul_u64 s[2:3], s[18:19], s[2:3]
	s_mov_b32 s9, s3
	s_delay_alu instid0(SALU_CYCLE_1)
	s_cmp_lg_u64 s[8:9], 0
	s_cbranch_scc0 .LBB12_22
; %bb.4:
	s_add_nc_u64 s[10:11], s[16:17], 0
	s_mov_b32 s23, s8
	s_xor_b64 s[10:11], s[10:11], 0
	s_mov_b32 s27, s8
	s_cvt_f32_u32 s7, s10
	s_cvt_f32_u32 s9, s11
	s_sub_nc_u64 s[14:15], 0, s[10:11]
	s_wait_alu 0xfffe
	s_delay_alu instid0(SALU_CYCLE_1) | instskip(SKIP_1) | instid1(SALU_CYCLE_2)
	s_fmamk_f32 s7, s9, 0x4f800000, s7
	s_wait_alu 0xfffe
	v_s_rcp_f32 s7, s7
	s_delay_alu instid0(TRANS32_DEP_1) | instskip(SKIP_1) | instid1(SALU_CYCLE_2)
	s_mul_f32 s7, s7, 0x5f7ffffc
	s_wait_alu 0xfffe
	s_mul_f32 s9, s7, 0x2f800000
	s_delay_alu instid0(SALU_CYCLE_3) | instskip(NEXT) | instid1(SALU_CYCLE_3)
	s_trunc_f32 s9, s9
	s_fmamk_f32 s7, s9, 0xcf800000, s7
	s_cvt_u32_f32 s13, s9
	s_wait_alu 0xfffe
	s_delay_alu instid0(SALU_CYCLE_1) | instskip(NEXT) | instid1(SALU_CYCLE_3)
	s_cvt_u32_f32 s12, s7
	s_mul_u64 s[24:25], s[14:15], s[12:13]
	s_delay_alu instid0(SALU_CYCLE_1)
	s_mul_hi_u32 s29, s12, s25
	s_mul_i32 s28, s12, s25
	s_mul_hi_u32 s22, s12, s24
	s_mul_i32 s9, s13, s24
	s_add_nc_u64 s[22:23], s[22:23], s[28:29]
	s_mul_hi_u32 s7, s13, s24
	s_mul_hi_u32 s21, s13, s25
	s_add_co_u32 s9, s22, s9
	s_wait_alu 0xfffe
	s_add_co_ci_u32 s26, s23, s7
	s_mul_i32 s24, s13, s25
	s_add_co_ci_u32 s25, s21, 0
	s_delay_alu instid0(SALU_CYCLE_1)
	s_add_nc_u64 s[22:23], s[26:27], s[24:25]
	s_mov_b32 s25, s8
	s_add_co_u32 s12, s12, s22
	s_cselect_b32 s7, -1, 0
	s_wait_alu 0xfffe
	s_cmp_lg_u32 s7, 0
	s_add_co_ci_u32 s13, s13, s23
	s_mov_b32 s23, s8
	s_mul_u64 s[14:15], s[14:15], s[12:13]
	s_delay_alu instid0(SALU_CYCLE_1)
	s_mul_hi_u32 s27, s12, s15
	s_mul_i32 s26, s12, s15
	s_mul_hi_u32 s22, s12, s14
	s_mul_i32 s9, s13, s14
	s_add_nc_u64 s[22:23], s[22:23], s[26:27]
	s_mul_hi_u32 s7, s13, s14
	s_mul_hi_u32 s21, s13, s15
	s_add_co_u32 s9, s22, s9
	s_wait_alu 0xfffe
	s_add_co_ci_u32 s24, s23, s7
	s_mul_i32 s14, s13, s15
	s_add_co_ci_u32 s15, s21, 0
	s_mov_b32 s23, s8
	s_add_nc_u64 s[14:15], s[24:25], s[14:15]
	s_delay_alu instid0(SALU_CYCLE_1) | instskip(SKIP_1) | instid1(SALU_CYCLE_1)
	s_add_co_u32 s7, s12, s14
	s_cselect_b32 s9, -1, 0
	s_cmp_lg_u32 s9, 0
	s_add_co_ci_u32 s9, s13, s15
	s_ashr_i32 s12, s3, 31
	s_delay_alu instid0(SALU_CYCLE_1) | instskip(NEXT) | instid1(SALU_CYCLE_1)
	s_mov_b32 s13, s12
	s_add_nc_u64 s[14:15], s[2:3], s[12:13]
	s_delay_alu instid0(SALU_CYCLE_1) | instskip(NEXT) | instid1(SALU_CYCLE_1)
	s_xor_b64 s[14:15], s[14:15], s[12:13]
	s_mul_hi_u32 s27, s14, s9
	s_mul_i32 s26, s14, s9
	s_wait_alu 0xfffe
	s_mul_hi_u32 s22, s14, s7
	s_mul_hi_u32 s21, s15, s7
	s_mul_i32 s7, s15, s7
	s_add_nc_u64 s[22:23], s[22:23], s[26:27]
	s_mul_hi_u32 s3, s15, s9
	s_wait_alu 0xfffe
	s_add_co_u32 s7, s22, s7
	s_add_co_ci_u32 s24, s23, s21
	s_mul_i32 s26, s15, s9
	s_add_co_ci_u32 s27, s3, 0
	s_delay_alu instid0(SALU_CYCLE_1) | instskip(NEXT) | instid1(SALU_CYCLE_1)
	s_add_nc_u64 s[22:23], s[24:25], s[26:27]
	s_mul_u64 s[24:25], s[10:11], s[22:23]
	s_add_nc_u64 s[26:27], s[22:23], 1
	s_sub_co_u32 s3, s14, s24
	s_cselect_b32 s7, -1, 0
	s_sub_co_i32 s9, s15, s25
	s_wait_alu 0xfffe
	s_cmp_lg_u32 s7, 0
	s_add_nc_u64 s[28:29], s[22:23], 2
	s_sub_co_ci_u32 s9, s9, s11
	s_sub_co_u32 s14, s3, s10
	s_cselect_b32 s21, -1, 0
	s_delay_alu instid0(SALU_CYCLE_1) | instskip(SKIP_1) | instid1(SALU_CYCLE_1)
	s_cmp_lg_u32 s21, 0
	s_sub_co_ci_u32 s9, s9, 0
	s_cmp_ge_u32 s9, s11
	s_cselect_b32 s21, -1, 0
	s_cmp_ge_u32 s14, s10
	s_cselect_b32 s14, -1, 0
	s_cmp_eq_u32 s9, s11
	s_cselect_b32 s9, s14, s21
	s_delay_alu instid0(SALU_CYCLE_1)
	s_cmp_lg_u32 s9, 0
	s_cselect_b32 s9, s28, s26
	s_cselect_b32 s14, s29, s27
	s_cmp_lg_u32 s7, 0
	s_sub_co_ci_u32 s7, s15, s25
	s_wait_alu 0xfffe
	s_cmp_ge_u32 s7, s11
	s_cselect_b32 s15, -1, 0
	s_cmp_ge_u32 s3, s10
	s_cselect_b32 s3, -1, 0
	s_cmp_eq_u32 s7, s11
	s_cselect_b32 s3, s3, s15
	s_delay_alu instid0(SALU_CYCLE_1) | instskip(SKIP_3) | instid1(SALU_CYCLE_1)
	s_cmp_lg_u32 s3, 0
	s_cselect_b32 s11, s14, s23
	s_cselect_b32 s10, s9, s22
	s_xor_b64 s[12:13], s[12:13], 0
	s_xor_b64 s[10:11], s[10:11], s[12:13]
	s_delay_alu instid0(SALU_CYCLE_1)
	s_sub_nc_u64 s[10:11], s[10:11], s[12:13]
	s_load_b96 s[12:14], s[0:1], 0x44
	s_and_not1_b32 vcc_lo, exec_lo, s8
	s_cbranch_vccnz .LBB12_6
.LBB12_5:
	v_cvt_f32_u32_e32 v1, s16
	s_sub_co_i32 s7, 0, s16
	s_delay_alu instid0(VALU_DEP_1) | instskip(NEXT) | instid1(TRANS32_DEP_1)
	v_rcp_iflag_f32_e32 v1, v1
	v_mul_f32_e32 v1, 0x4f7ffffe, v1
	s_delay_alu instid0(VALU_DEP_1) | instskip(NEXT) | instid1(VALU_DEP_1)
	v_cvt_u32_f32_e32 v1, v1
	v_readfirstlane_b32 s3, v1
	s_wait_alu 0xfffe
	s_mul_i32 s7, s7, s3
	s_wait_alu 0xfffe
	s_mul_hi_u32 s7, s3, s7
	s_wait_alu 0xfffe
	s_add_co_i32 s3, s3, s7
	s_delay_alu instid0(SALU_CYCLE_1) | instskip(NEXT) | instid1(SALU_CYCLE_1)
	s_mul_hi_u32 s3, s2, s3
	s_mul_i32 s7, s3, s16
	s_wait_alu 0xfffe
	s_sub_co_i32 s2, s2, s7
	s_add_co_i32 s7, s3, 1
	s_sub_co_i32 s8, s2, s16
	s_cmp_ge_u32 s2, s16
	s_wait_alu 0xfffe
	s_cselect_b32 s3, s7, s3
	s_cselect_b32 s2, s8, s2
	s_add_co_i32 s7, s3, 1
	s_cmp_ge_u32 s2, s16
	s_wait_alu 0xfffe
	s_cselect_b32 s10, s7, s3
.LBB12_6:
	s_mov_b32 s21, 0
	s_wait_kmcnt 0x0
	s_mov_b32 s22, s12
	s_mov_b32 s23, s21
	s_cmp_eq_u32 s20, s10
	s_mul_u64 s[2:3], s[20:21], s[22:23]
	s_cselect_b32 s7, -1, 0
	s_add_co_i32 s2, s3, s20
	s_mov_b32 s11, s21
	s_lshr_b32 s12, s2, s13
	s_mul_u64 s[2:3], s[10:11], s[22:23]
	s_mul_i32 s2, s12, s14
	s_delay_alu instid0(SALU_CYCLE_1) | instskip(SKIP_2) | instid1(SALU_CYCLE_1)
	s_cmp_eq_u32 s2, s20
	s_cselect_b32 s2, -1, 0
	s_add_co_i32 s3, s3, s10
	s_lshr_b32 s3, s3, s13
	s_delay_alu instid0(SALU_CYCLE_1)
	s_cmp_eq_u32 s12, s3
	s_mul_i32 s3, s3, s14
	s_cselect_b32 s8, -1, 0
	s_cmp_lg_u32 s3, s10
	s_cselect_b32 s3, -1, 0
	s_wait_alu 0xfffe
	s_or_b32 s2, s7, s2
	s_and_b32 s3, s8, s3
	s_delay_alu instid0(SALU_CYCLE_1) | instskip(NEXT) | instid1(SALU_CYCLE_1)
	s_or_b32 s2, s2, s3
	s_and_b32 vcc_lo, exec_lo, s2
	s_cbranch_vccnz .LBB12_24
; %bb.7:
	s_load_b256 s[24:31], s[0:1], 0x20
	s_mov_b32 s3, s21
	s_wait_kmcnt 0x0
	s_mov_b32 s2, s24
	s_delay_alu instid0(SALU_CYCLE_1) | instskip(NEXT) | instid1(SALU_CYCLE_1)
	s_mul_u64 s[2:3], s[20:21], s[2:3]
	s_add_co_i32 s2, s3, s20
	s_delay_alu instid0(SALU_CYCLE_1) | instskip(SKIP_2) | instid1(SALU_CYCLE_1)
	s_lshr_b32 s7, s2, s25
	s_load_b32 s2, s[0:1], 0x40
	s_mul_i32 s3, s7, s26
	s_sub_co_i32 s3, s20, s3
	s_delay_alu instid0(SALU_CYCLE_1) | instskip(NEXT) | instid1(SALU_CYCLE_1)
	s_mul_hi_u32 s8, s3, s27
	s_add_co_i32 s8, s3, s8
	s_delay_alu instid0(SALU_CYCLE_1) | instskip(NEXT) | instid1(SALU_CYCLE_1)
	s_lshr_b32 s8, s8, s28
	s_mul_i32 s9, s8, s29
	s_delay_alu instid0(SALU_CYCLE_1) | instskip(NEXT) | instid1(SALU_CYCLE_1)
	s_sub_co_i32 s9, s3, s9
	s_mul_hi_u32 s3, s9, s30
	s_delay_alu instid0(SALU_CYCLE_1) | instskip(NEXT) | instid1(SALU_CYCLE_1)
	s_add_co_i32 s3, s9, s3
	s_lshr_b32 s24, s3, s31
	s_mov_b32 s3, s21
	s_wait_kmcnt 0x0
	s_mul_i32 s2, s24, s2
	s_lshl_b32 s21, s24, 2
	s_sub_co_i32 s2, s9, s2
	s_delay_alu instid0(SALU_CYCLE_1) | instskip(SKIP_2) | instid1(SALU_CYCLE_1)
	s_mul_u64 s[10:11], s[2:3], s[22:23]
	s_lshr_b32 s3, ttmp7, 16
	s_add_co_i32 s2, s2, s11
	s_lshr_b32 s15, s2, s13
	s_and_b32 s2, ttmp7, 0xffff
	s_lshl_b32 s9, s15, 3
	s_delay_alu instid0(SALU_CYCLE_1) | instskip(NEXT) | instid1(SALU_CYCLE_1)
	s_add_co_i32 s9, s9, s2
	s_cmp_lt_i32 s9, s4
	s_cselect_b32 s9, -1, 0
	s_add_co_i32 s10, s21, s3
	s_delay_alu instid0(SALU_CYCLE_1) | instskip(SKIP_1) | instid1(SALU_CYCLE_1)
	s_cmp_lt_i32 s10, s6
	s_cselect_b32 s10, -1, 0
	s_and_b32 s9, s9, s10
	s_delay_alu instid0(SALU_CYCLE_1)
	s_and_not1_b32 vcc_lo, exec_lo, s9
	s_cbranch_vccnz .LBB12_24
; %bb.8:
	s_mul_i32 s4, s7, s4
	s_mul_i32 s6, s8, s6
	s_add_co_i32 s4, s4, s2
	s_load_b128 s[8:11], s[0:1], 0x0
	s_mul_i32 s4, s4, s5
	s_mul_i32 s1, s5, s15
	s_add_co_i32 s4, s4, s3
	s_lshl_b32 s1, s1, 12
	s_add_co_i32 s0, s4, s6
	s_lshl_b32 s15, s2, 2
	s_add_co_i32 s0, s0, s21
	s_add_co_i32 s15, s15, s3
	s_lshl_b32 s0, s0, 9
	v_cvt_f32_u32_e32 v4, s16
	s_add_co_i32 s1, s1, s0
	s_add_co_i32 s34, ttmp9, -1
	v_or_b32_e32 v1, s1, v0
	s_add_nc_u64 s[0:1], s[16:17], 0
	v_rcp_iflag_f32_e32 v4, v4
	s_wait_alu 0xfffe
	s_xor_b64 s[6:7], s[0:1], 0
	s_lshl_b32 s0, ttmp9, 5
	v_ashrrev_i32_e32 v2, 31, v1
	s_wait_alu 0xfffe
	s_cvt_f32_u32 s1, s6
	s_cvt_f32_u32 s2, s7
	s_add_co_i32 s0, s15, s0
	v_lshl_or_b32 v0, s15, 9, v0
	v_lshlrev_b64_e32 v[1:2], 2, v[1:2]
	s_wait_alu 0xfffe
	s_fmamk_f32 s2, s2, 0x4f800000, s1
	s_ashr_i32 s1, s0, 31
	s_sub_nc_u64 s[30:31], 0, s[6:7]
	s_wait_alu 0xfffe
	s_lshl_b64 s[0:1], s[0:1], 3
	v_s_rcp_f32 s2, s2
	s_wait_kmcnt 0x0
	v_add_co_u32 v1, vcc_lo, s8, v1
	s_delay_alu instid0(VALU_DEP_1)
	v_add_co_ci_u32_e64 v2, null, s9, v2, vcc_lo
	s_wait_alu 0xfffe
	s_add_nc_u64 s[0:1], s[10:11], s[0:1]
	s_mov_b32 s8, 0
	s_load_b64 s[26:27], s[0:1], 0x0
	global_load_b32 v3, v[1:2], off
	s_mul_f32 s2, s2, 0x5f7ffffc
	v_mul_f32_e32 v4, 0x4f7ffffe, v4
	s_lshl_b32 s0, s16, 7
	s_wait_alu 0xfffe
	s_mul_f32 s1, s2, 0x2f800000
	s_wait_alu 0xfffe
	s_delay_alu instid0(SALU_CYCLE_2)
	s_trunc_f32 s3, s1
	s_mov_b32 s1, s8
	s_wait_alu 0xfffe
	s_lshl_b64 s[0:1], s[0:1], 2
	s_fmamk_f32 s2, s3, 0xcf800000, s2
	s_cvt_u32_f32 s29, s3
	s_wait_alu 0xfffe
	s_add_nc_u64 s[24:25], s[10:11], s[0:1]
	s_cvt_u32_f32 s28, s2
	s_wait_kmcnt 0x0
	v_mov_b32_e32 v5, s27
	v_cvt_u32_f32_e32 v4, v4
.LBB12_9:                               ; =>This Inner Loop Header: Depth=1
	s_wait_alu 0xfffe
	s_ashr_i32 s35, s34, 31
	s_mov_b32 s2, -1
	s_wait_alu 0xfffe
	s_mul_u64 s[0:1], s[34:35], s[18:19]
                                        ; implicit-def: $sgpr38_sgpr39
	s_wait_alu 0xfffe
	s_mov_b32 s9, s1
	s_wait_alu 0xfffe
	s_cmp_lg_u64 s[8:9], 0
	s_cbranch_scc0 .LBB12_11
; %bb.10:                               ;   in Loop: Header=BB12_9 Depth=1
	s_mul_u64 s[2:3], s[30:31], s[28:29]
	s_mov_b32 s37, s8
	s_wait_alu 0xfffe
	s_mul_hi_u32 s5, s28, s3
	s_mul_i32 s4, s28, s3
	s_mul_hi_u32 s36, s28, s2
	s_mul_hi_u32 s9, s29, s2
	s_wait_alu 0xfffe
	s_add_nc_u64 s[4:5], s[36:37], s[4:5]
	s_mul_i32 s2, s29, s2
	s_mul_hi_u32 s17, s29, s3
	s_wait_alu 0xfffe
	s_add_co_u32 s2, s4, s2
	s_add_co_ci_u32 s2, s5, s9
	s_add_co_ci_u32 s5, s17, 0
	s_mul_i32 s4, s29, s3
	s_mov_b32 s3, s8
	s_mov_b32 s39, s8
	s_wait_alu 0xfffe
	s_add_nc_u64 s[2:3], s[2:3], s[4:5]
	s_wait_alu 0xfffe
	s_add_co_u32 s2, s28, s2
	s_cselect_b32 s4, -1, 0
	s_wait_alu 0xfffe
	s_cmp_lg_u32 s4, 0
	s_add_co_ci_u32 s3, s29, s3
	s_wait_alu 0xfffe
	s_mul_u64 s[4:5], s[30:31], s[2:3]
	s_wait_alu 0xfffe
	s_mul_hi_u32 s37, s2, s5
	s_mul_i32 s36, s2, s5
	s_mul_hi_u32 s38, s2, s4
	s_mul_hi_u32 s9, s3, s4
	s_mul_i32 s4, s3, s4
	s_wait_alu 0xfffe
	s_add_nc_u64 s[36:37], s[38:39], s[36:37]
	s_mul_hi_u32 s17, s3, s5
	s_wait_alu 0xfffe
	s_add_co_u32 s4, s36, s4
	s_add_co_ci_u32 s4, s37, s9
	s_add_co_ci_u32 s37, s17, 0
	s_mul_i32 s36, s3, s5
	s_mov_b32 s5, s8
	s_wait_alu 0xfffe
	s_add_nc_u64 s[4:5], s[4:5], s[36:37]
	s_mov_b32 s37, s8
	s_wait_alu 0xfffe
	s_add_co_u32 s9, s2, s4
	s_cselect_b32 s2, -1, 0
	s_wait_alu 0xfffe
	s_cmp_lg_u32 s2, 0
	s_add_co_ci_u32 s17, s3, s5
	s_ashr_i32 s2, s1, 31
	s_wait_alu 0xfffe
	s_mov_b32 s3, s2
	s_wait_alu 0xfffe
	s_add_nc_u64 s[4:5], s[0:1], s[2:3]
	s_wait_alu 0xfffe
	s_xor_b64 s[4:5], s[4:5], s[2:3]
	s_wait_alu 0xfffe
	s_mul_hi_u32 s39, s4, s17
	s_mul_i32 s38, s4, s17
	s_mul_hi_u32 s36, s4, s9
	s_mul_i32 s21, s5, s9
	s_wait_alu 0xfffe
	s_add_nc_u64 s[36:37], s[36:37], s[38:39]
	s_mul_hi_u32 s9, s5, s9
	s_mul_hi_u32 s1, s5, s17
	s_wait_alu 0xfffe
	s_add_co_u32 s21, s36, s21
	s_add_co_ci_u32 s36, s37, s9
	s_add_co_ci_u32 s39, s1, 0
	s_mul_i32 s38, s5, s17
	s_mov_b32 s37, s8
	s_wait_alu 0xfffe
	s_add_nc_u64 s[36:37], s[36:37], s[38:39]
	s_wait_alu 0xfffe
	s_mul_u64 s[38:39], s[6:7], s[36:37]
	s_add_nc_u64 s[40:41], s[36:37], 1
	s_sub_co_u32 s1, s4, s38
	s_cselect_b32 s4, -1, 0
	s_sub_co_i32 s9, s5, s39
	s_wait_alu 0xfffe
	s_cmp_lg_u32 s4, 0
	s_add_nc_u64 s[42:43], s[36:37], 2
	s_sub_co_ci_u32 s9, s9, s7
	s_sub_co_u32 s17, s1, s6
	s_cselect_b32 s21, -1, 0
	s_delay_alu instid0(SALU_CYCLE_1)
	s_cmp_lg_u32 s21, 0
	s_wait_alu 0xfffe
	s_sub_co_ci_u32 s9, s9, 0
	s_wait_alu 0xfffe
	s_cmp_ge_u32 s9, s7
	s_cselect_b32 s21, -1, 0
	s_cmp_ge_u32 s17, s6
	s_cselect_b32 s17, -1, 0
	s_cmp_eq_u32 s9, s7
	s_wait_alu 0xfffe
	s_cselect_b32 s9, s17, s21
	s_wait_alu 0xfffe
	s_cmp_lg_u32 s9, 0
	s_cselect_b32 s9, s42, s40
	s_cselect_b32 s17, s43, s41
	s_cmp_lg_u32 s4, 0
	s_sub_co_ci_u32 s4, s5, s39
	s_wait_alu 0xfffe
	s_cmp_ge_u32 s4, s7
	s_cselect_b32 s5, -1, 0
	s_cmp_ge_u32 s1, s6
	s_cselect_b32 s1, -1, 0
	s_cmp_eq_u32 s4, s7
	s_wait_alu 0xfffe
	s_cselect_b32 s1, s1, s5
	s_wait_alu 0xfffe
	s_cmp_lg_u32 s1, 0
	s_cselect_b32 s5, s17, s37
	s_cselect_b32 s4, s9, s36
	s_xor_b64 s[2:3], s[2:3], 0
	s_wait_alu 0xfffe
	s_xor_b64 s[4:5], s[4:5], s[2:3]
	s_wait_alu 0xfffe
	s_sub_nc_u64 s[38:39], s[4:5], s[2:3]
	s_mov_b32 s2, 0
.LBB12_11:                              ;   in Loop: Header=BB12_9 Depth=1
	s_wait_alu 0xfffe
	s_and_not1_b32 vcc_lo, exec_lo, s2
	s_wait_alu 0xfffe
	s_cbranch_vccnz .LBB12_13
; %bb.12:                               ;   in Loop: Header=BB12_9 Depth=1
	v_readfirstlane_b32 s1, v4
	s_sub_co_i32 s2, 0, s16
	s_wait_alu 0xfffe
	s_mul_i32 s2, s2, s1
	s_wait_alu 0xfffe
	s_mul_hi_u32 s2, s1, s2
	s_wait_alu 0xfffe
	s_add_co_i32 s1, s1, s2
	s_wait_alu 0xfffe
	s_mul_hi_u32 s1, s0, s1
	s_wait_alu 0xfffe
	s_mul_i32 s2, s1, s16
	s_wait_alu 0xfffe
	s_sub_co_i32 s0, s0, s2
	s_add_co_i32 s2, s1, 1
	s_wait_alu 0xfffe
	s_sub_co_i32 s3, s0, s16
	s_cmp_ge_u32 s0, s16
	s_cselect_b32 s1, s2, s1
	s_wait_alu 0xfffe
	s_cselect_b32 s0, s3, s0
	s_add_co_i32 s2, s1, 1
	s_wait_alu 0xfffe
	s_cmp_ge_u32 s0, s16
	s_cselect_b32 s38, s2, s1
.LBB12_13:                              ;   in Loop: Header=BB12_9 Depth=1
	v_readfirstlane_b32 s9, v0
	s_cmp_lg_u32 s20, s38
	s_mov_b32 s0, -1
                                        ; implicit-def: $sgpr21
                                        ; implicit-def: $vgpr6
                                        ; implicit-def: $vgpr7
                                        ; implicit-def: $sgpr17
                                        ; implicit-def: $sgpr27
	s_cbranch_scc1 .LBB12_16
; %bb.14:                               ;   in Loop: Header=BB12_9 Depth=1
	s_wait_alu 0xfffe
	s_and_not1_b32 vcc_lo, exec_lo, s0
	s_wait_alu 0xfffe
	s_cbranch_vccz .LBB12_19
.LBB12_15:                              ;   in Loop: Header=BB12_9 Depth=1
	s_and_not1_b32 vcc_lo, exec_lo, s21
	s_wait_alu 0xfffe
	s_cbranch_vccnz .LBB12_20
	s_branch .LBB12_23
.LBB12_16:                              ;   in Loop: Header=BB12_9 Depth=1
	s_add_co_i32 s0, s34, s16
	s_mov_b32 s1, s8
	s_wait_alu 0xfffe
	s_lshl_b32 s0, s0, 5
	v_max_num_f32_e64 v6, s26, s26
	s_wait_alu 0xfffe
	s_add_co_i32 s0, s0, s15
	s_mov_b32 s39, s8
	s_wait_alu 0xfffe
	s_lshl_b64 s[0:1], s[0:1], 3
	s_mul_u64 s[40:41], s[38:39], s[22:23]
	s_wait_alu 0xfffe
	s_add_nc_u64 s[0:1], s[10:11], s[0:1]
	s_mov_b32 s27, s20
	s_load_b64 s[36:37], s[0:1], 0x0
	v_readfirstlane_b32 s0, v6
	s_wait_kmcnt 0x0
	v_max_num_f32_e64 v7, s36, s36
	s_delay_alu instid0(VALU_DEP_1) | instskip(SKIP_2) | instid1(SALU_CYCLE_2)
	v_readfirstlane_b32 s1, v7
	s_max_num_f32 s9, s0, s1
	s_wait_alu 0xfffe
	s_sub_f32 s33, s26, s9
	s_sub_f32 s35, s36, s9
	s_wait_alu 0xfffe
	s_delay_alu instid0(SALU_CYCLE_1)
	s_cmp_nlt_f32 s33, 0xc2ce8ed0
	s_cselect_b32 s0, -1, 0
	s_cmp_ngt_f32 s33, 0x42b17218
	s_cselect_b32 s1, -1, 0
	s_cmp_ge_f32 s33, 0xc1a00000
	s_cselect_b32 s2, -1, 0
	s_cmp_nlt_f32 s35, 0xc2ce8ed0
	s_cselect_b32 s3, -1, 0
	s_cmp_ngt_f32 s35, 0x42b17218
	s_cselect_b32 s4, -1, 0
	s_cmp_ge_f32 s35, 0xc1a00000
	s_cselect_b32 s5, -1, 0
	s_add_co_i32 s17, s41, s38
	s_wait_alu 0xfffe
	s_lshr_b32 s17, s17, s13
	s_wait_alu 0xfffe
	s_mul_i32 s21, s17, s14
	s_delay_alu instid0(SALU_CYCLE_1)
	s_cmp_eq_u32 s21, s38
	s_cselect_b32 s21, -1, 0
	s_cmp_lt_u32 s17, s12
	s_cselect_b32 s17, -1, 0
	s_wait_alu 0xfffe
	s_or_b32 s17, s17, s21
	s_mov_b32 s21, -1
	s_wait_alu 0xfffe
	s_and_b32 vcc_lo, exec_lo, s17
	s_mov_b32 s17, s34
	s_wait_alu 0xfffe
	s_cbranch_vccnz .LBB12_18
; %bb.17:                               ;   in Loop: Header=BB12_9 Depth=1
	s_add_co_i32 s17, s34, -1
	s_mov_b32 s21, 0
	s_mov_b32 s27, s38
.LBB12_18:                              ;   in Loop: Header=BB12_9 Depth=1
	v_lshl_add_u32 v6, s34, 14, v0
	s_mul_f32 s36, s35, 0x3fb8aa3b
	s_mul_f32 s38, s33, 0x3fb8aa3b
	s_wait_alu 0xfffe
	s_delay_alu instid0(SALU_CYCLE_1)
	s_xor_b32 s39, s36, 0x80000000
	v_ashrrev_i32_e32 v7, 31, v6
	s_rndne_f32 s40, s36
	s_fmamk_f32 s39, s35, 0x3fb8aa3b, s39
	s_xor_b32 s41, s38, 0x80000000
	s_rndne_f32 s42, s38
	v_lshlrev_b64_e32 v[6:7], 2, v[6:7]
	s_sub_f32 s36, s36, s40
	s_fmamk_f32 s35, s35, 0x32a5705f, s39
	s_fmamk_f32 s39, s33, 0x3fb8aa3b, s41
	s_sub_f32 s38, s38, s42
	s_delay_alu instid0(VALU_DEP_1)
	v_add_co_u32 v6, vcc_lo, s24, v6
	s_wait_alu 0xfffd
	v_add_co_ci_u32_e64 v7, null, s25, v7, vcc_lo
	s_wait_alu 0xfffe
	s_add_f32 s35, s36, s35
	s_fmamk_f32 s33, s33, 0x32a5705f, s39
	s_cvt_i32_f32 s36, s40
	global_load_b32 v6, v[6:7], off
	s_wait_alu 0xfffe
	v_s_exp_f32 s35, s35
	s_add_f32 s33, s38, s33
	s_wait_alu 0xfffe
	s_delay_alu instid0(SALU_CYCLE_2) | instskip(NEXT) | instid1(TRANS32_DEP_2)
	v_s_exp_f32 s33, s33
	v_ldexp_f32 v7, s35, s36
	s_cvt_i32_f32 s35, s42
	s_wait_alu 0xf1fe
	s_delay_alu instid0(TRANS32_DEP_1) | instid1(SALU_CYCLE_2)
	v_ldexp_f32 v8, s33, s35
	s_delay_alu instid0(VALU_DEP_2) | instskip(NEXT) | instid1(VALU_DEP_2)
	v_cndmask_b32_e64 v7, 0, v7, s3
	v_cndmask_b32_e64 v8, 0, v8, s0
	s_delay_alu instid0(VALU_DEP_2) | instskip(NEXT) | instid1(VALU_DEP_2)
	v_cndmask_b32_e64 v7, 0x7f800000, v7, s4
	v_cndmask_b32_e64 v8, 0x7f800000, v8, s1
	;; [unrolled: 3-line block ×3, first 2 shown]
	s_wait_loadcnt 0x0
	s_delay_alu instid0(VALU_DEP_2) | instskip(SKIP_1) | instid1(VALU_DEP_1)
	v_mul_f32_e32 v6, v6, v7
	v_mul_f32_e32 v7, s37, v7
	v_fmac_f32_e32 v7, v5, v8
	s_delay_alu instid0(VALU_DEP_3)
	v_fmac_f32_e32 v6, v3, v8
	s_cbranch_execnz .LBB12_15
.LBB12_19:                              ;   in Loop: Header=BB12_9 Depth=1
	s_wait_loadcnt 0x0
	v_dual_mov_b32 v7, v5 :: v_dual_mov_b32 v6, v3
	s_add_co_i32 s17, s34, -1
	s_mov_b32 s27, s20
	s_mov_b32 s9, s26
	s_cbranch_execz .LBB12_23
.LBB12_20:                              ;   in Loop: Header=BB12_9 Depth=1
	v_mov_b32_e32 v5, v7
	s_wait_loadcnt 0x0
	v_mov_b32_e32 v3, v6
	s_wait_alu 0xfffe
	s_mov_b32 s20, s27
	s_mov_b32 s34, s17
	;; [unrolled: 1-line block ×3, first 2 shown]
	s_branch .LBB12_9
.LBB12_21:
                                        ; implicit-def: $sgpr20_sgpr21
	s_branch .LBB12_2
.LBB12_22:
                                        ; implicit-def: $sgpr10_sgpr11
	s_load_b96 s[12:14], s[0:1], 0x44
	s_branch .LBB12_5
.LBB12_23:
	v_div_scale_f32 v0, null, v7, v7, v6
	s_wait_loadcnt 0x0
	s_delay_alu instid0(VALU_DEP_1) | instskip(NEXT) | instid1(TRANS32_DEP_1)
	v_rcp_f32_e32 v3, v0
	v_fma_f32 v4, -v0, v3, 1.0
	s_delay_alu instid0(VALU_DEP_1) | instskip(SKIP_1) | instid1(VALU_DEP_1)
	v_fmac_f32_e32 v3, v4, v3
	v_div_scale_f32 v4, vcc_lo, v6, v7, v6
	v_mul_f32_e32 v5, v4, v3
	s_delay_alu instid0(VALU_DEP_1) | instskip(NEXT) | instid1(VALU_DEP_1)
	v_fma_f32 v8, -v0, v5, v4
	v_fmac_f32_e32 v5, v8, v3
	s_delay_alu instid0(VALU_DEP_1) | instskip(SKIP_1) | instid1(VALU_DEP_1)
	v_fma_f32 v0, -v0, v5, v4
	s_wait_alu 0xfffd
	v_div_fmas_f32 v0, v0, v3, v5
	s_delay_alu instid0(VALU_DEP_1)
	v_div_fixup_f32 v0, v0, v7, v6
	global_store_b32 v[1:2], v0, off
.LBB12_24:
	s_endpgm
	.section	.rodata,"a",@progbits
	.p2align	6, 0x0
	.amdhsa_kernel _ZL33flash_attn_stream_k_fixup_generalILi512ELi8ELi4EEvPfPK15HIP_vector_typeIfLj2EEiiiiS1_IjLj3EES5_S5_S5_
		.amdhsa_group_segment_fixed_size 0
		.amdhsa_private_segment_fixed_size 0
		.amdhsa_kernarg_size 336
		.amdhsa_user_sgpr_count 2
		.amdhsa_user_sgpr_dispatch_ptr 0
		.amdhsa_user_sgpr_queue_ptr 0
		.amdhsa_user_sgpr_kernarg_segment_ptr 1
		.amdhsa_user_sgpr_dispatch_id 0
		.amdhsa_user_sgpr_private_segment_size 0
		.amdhsa_wavefront_size32 1
		.amdhsa_uses_dynamic_stack 0
		.amdhsa_enable_private_segment 0
		.amdhsa_system_sgpr_workgroup_id_x 1
		.amdhsa_system_sgpr_workgroup_id_y 1
		.amdhsa_system_sgpr_workgroup_id_z 1
		.amdhsa_system_sgpr_workgroup_info 0
		.amdhsa_system_vgpr_workitem_id 0
		.amdhsa_next_free_vgpr 9
		.amdhsa_next_free_sgpr 44
		.amdhsa_reserve_vcc 1
		.amdhsa_float_round_mode_32 0
		.amdhsa_float_round_mode_16_64 0
		.amdhsa_float_denorm_mode_32 3
		.amdhsa_float_denorm_mode_16_64 3
		.amdhsa_fp16_overflow 0
		.amdhsa_workgroup_processor_mode 1
		.amdhsa_memory_ordered 1
		.amdhsa_forward_progress 1
		.amdhsa_inst_pref_size 28
		.amdhsa_round_robin_scheduling 0
		.amdhsa_exception_fp_ieee_invalid_op 0
		.amdhsa_exception_fp_denorm_src 0
		.amdhsa_exception_fp_ieee_div_zero 0
		.amdhsa_exception_fp_ieee_overflow 0
		.amdhsa_exception_fp_ieee_underflow 0
		.amdhsa_exception_fp_ieee_inexact 0
		.amdhsa_exception_int_div_zero 0
	.end_amdhsa_kernel
	.section	.text._ZL33flash_attn_stream_k_fixup_generalILi512ELi8ELi4EEvPfPK15HIP_vector_typeIfLj2EEiiiiS1_IjLj3EES5_S5_S5_,"axG",@progbits,_ZL33flash_attn_stream_k_fixup_generalILi512ELi8ELi4EEvPfPK15HIP_vector_typeIfLj2EEiiiiS1_IjLj3EES5_S5_S5_,comdat
.Lfunc_end12:
	.size	_ZL33flash_attn_stream_k_fixup_generalILi512ELi8ELi4EEvPfPK15HIP_vector_typeIfLj2EEiiiiS1_IjLj3EES5_S5_S5_, .Lfunc_end12-_ZL33flash_attn_stream_k_fixup_generalILi512ELi8ELi4EEvPfPK15HIP_vector_typeIfLj2EEiiiiS1_IjLj3EES5_S5_S5_
                                        ; -- End function
	.set _ZL33flash_attn_stream_k_fixup_generalILi512ELi8ELi4EEvPfPK15HIP_vector_typeIfLj2EEiiiiS1_IjLj3EES5_S5_S5_.num_vgpr, 9
	.set _ZL33flash_attn_stream_k_fixup_generalILi512ELi8ELi4EEvPfPK15HIP_vector_typeIfLj2EEiiiiS1_IjLj3EES5_S5_S5_.num_agpr, 0
	.set _ZL33flash_attn_stream_k_fixup_generalILi512ELi8ELi4EEvPfPK15HIP_vector_typeIfLj2EEiiiiS1_IjLj3EES5_S5_S5_.numbered_sgpr, 44
	.set _ZL33flash_attn_stream_k_fixup_generalILi512ELi8ELi4EEvPfPK15HIP_vector_typeIfLj2EEiiiiS1_IjLj3EES5_S5_S5_.num_named_barrier, 0
	.set _ZL33flash_attn_stream_k_fixup_generalILi512ELi8ELi4EEvPfPK15HIP_vector_typeIfLj2EEiiiiS1_IjLj3EES5_S5_S5_.private_seg_size, 0
	.set _ZL33flash_attn_stream_k_fixup_generalILi512ELi8ELi4EEvPfPK15HIP_vector_typeIfLj2EEiiiiS1_IjLj3EES5_S5_S5_.uses_vcc, 1
	.set _ZL33flash_attn_stream_k_fixup_generalILi512ELi8ELi4EEvPfPK15HIP_vector_typeIfLj2EEiiiiS1_IjLj3EES5_S5_S5_.uses_flat_scratch, 0
	.set _ZL33flash_attn_stream_k_fixup_generalILi512ELi8ELi4EEvPfPK15HIP_vector_typeIfLj2EEiiiiS1_IjLj3EES5_S5_S5_.has_dyn_sized_stack, 0
	.set _ZL33flash_attn_stream_k_fixup_generalILi512ELi8ELi4EEvPfPK15HIP_vector_typeIfLj2EEiiiiS1_IjLj3EES5_S5_S5_.has_recursion, 0
	.set _ZL33flash_attn_stream_k_fixup_generalILi512ELi8ELi4EEvPfPK15HIP_vector_typeIfLj2EEiiiiS1_IjLj3EES5_S5_S5_.has_indirect_call, 0
	.section	.AMDGPU.csdata,"",@progbits
; Kernel info:
; codeLenInByte = 3548
; TotalNumSgprs: 46
; NumVgprs: 9
; ScratchSize: 0
; MemoryBound: 0
; FloatMode: 240
; IeeeMode: 1
; LDSByteSize: 0 bytes/workgroup (compile time only)
; SGPRBlocks: 0
; VGPRBlocks: 1
; NumSGPRsForWavesPerEU: 46
; NumVGPRsForWavesPerEU: 9
; Occupancy: 16
; WaveLimiterHint : 0
; COMPUTE_PGM_RSRC2:SCRATCH_EN: 0
; COMPUTE_PGM_RSRC2:USER_SGPR: 2
; COMPUTE_PGM_RSRC2:TRAP_HANDLER: 0
; COMPUTE_PGM_RSRC2:TGID_X_EN: 1
; COMPUTE_PGM_RSRC2:TGID_Y_EN: 1
; COMPUTE_PGM_RSRC2:TGID_Z_EN: 1
; COMPUTE_PGM_RSRC2:TIDIG_COMP_CNT: 0
	.section	.text._ZL15flash_attn_tileILi576ELi512ELi4ELi4ELb0EEvPKcS1_S1_S1_S1_PKiPfP15HIP_vector_typeIfLj2EEffffjfiS5_IjLj3EEiiiiiiiiiiiliiliiiiil,"axG",@progbits,_ZL15flash_attn_tileILi576ELi512ELi4ELi4ELb0EEvPKcS1_S1_S1_S1_PKiPfP15HIP_vector_typeIfLj2EEffffjfiS5_IjLj3EEiiiiiiiiiiiliiliiiiil,comdat
	.globl	_ZL15flash_attn_tileILi576ELi512ELi4ELi4ELb0EEvPKcS1_S1_S1_S1_PKiPfP15HIP_vector_typeIfLj2EEffffjfiS5_IjLj3EEiiiiiiiiiiiliiliiiiil ; -- Begin function _ZL15flash_attn_tileILi576ELi512ELi4ELi4ELb0EEvPKcS1_S1_S1_S1_PKiPfP15HIP_vector_typeIfLj2EEffffjfiS5_IjLj3EEiiiiiiiiiiiliiliiiiil
	.p2align	8
	.type	_ZL15flash_attn_tileILi576ELi512ELi4ELi4ELb0EEvPKcS1_S1_S1_S1_PKiPfP15HIP_vector_typeIfLj2EEffffjfiS5_IjLj3EEiiiiiiiiiiiliiliiiiil,@function
_ZL15flash_attn_tileILi576ELi512ELi4ELi4ELb0EEvPKcS1_S1_S1_S1_PKiPfP15HIP_vector_typeIfLj2EEffffjfiS5_IjLj3EEiiiiiiiiiiiliiliiiiil: ; @_ZL15flash_attn_tileILi576ELi512ELi4ELi4ELb0EEvPKcS1_S1_S1_S1_PKiPfP15HIP_vector_typeIfLj2EEffffjfiS5_IjLj3EEiiiiiiiiiiiliiliiiiil
; %bb.0:
	s_clause 0x1
	s_load_b128 s[20:23], s[0:1], 0x5c
	s_load_b64 s[30:31], s[0:1], 0x80
	s_lshr_b32 s5, ttmp7, 16
	s_load_b64 s[36:37], s[0:1], 0xb8
	s_mov_b64 s[34:35], 0
	s_wait_kmcnt 0x0
	s_ashr_i32 s2, s23, 31
	s_delay_alu instid0(SALU_CYCLE_1) | instskip(NEXT) | instid1(SALU_CYCLE_1)
	s_lshr_b32 s2, s2, 30
	s_add_co_i32 s2, s23, s2
	s_delay_alu instid0(SALU_CYCLE_1) | instskip(NEXT) | instid1(SALU_CYCLE_1)
	s_ashr_i32 s2, s2, 2
	s_cvt_f32_u32 s3, s2
	s_sub_co_i32 s4, 0, s2
	s_delay_alu instid0(SALU_CYCLE_2) | instskip(NEXT) | instid1(TRANS32_DEP_1)
	v_rcp_iflag_f32_e32 v1, s3
	v_readfirstlane_b32 s3, v1
	s_mul_f32 s3, s3, 0x4f7ffffe
	s_wait_alu 0xfffe
	s_delay_alu instid0(SALU_CYCLE_2) | instskip(SKIP_1) | instid1(SALU_CYCLE_2)
	s_cvt_u32_f32 s3, s3
	s_wait_alu 0xfffe
	s_mul_i32 s4, s4, s3
	s_delay_alu instid0(SALU_CYCLE_1) | instskip(NEXT) | instid1(SALU_CYCLE_1)
	s_mul_hi_u32 s4, s3, s4
	s_add_co_i32 s3, s3, s4
	s_wait_alu 0xfffe
	s_mul_hi_u32 s3, s5, s3
	s_wait_alu 0xfffe
	s_mul_i32 s4, s3, s2
	s_add_co_i32 s6, s3, 1
	s_sub_co_i32 s4, s5, s4
	s_delay_alu instid0(SALU_CYCLE_1)
	s_sub_co_i32 s7, s4, s2
	s_cmp_ge_u32 s4, s2
	s_cselect_b32 s3, s6, s3
	s_cselect_b32 s4, s7, s4
	s_wait_alu 0xfffe
	s_add_co_i32 s6, s3, 1
	s_cmp_ge_u32 s4, s2
	s_cselect_b32 s28, s6, s3
	s_abs_i32 s2, s31
	s_abs_i32 s7, s23
	s_wait_alu 0xfffe
	s_cvt_f32_u32 s3, s2
	s_sub_co_i32 s4, 0, s2
	s_lshl_b32 s5, s5, 2
	s_mul_i32 s6, s28, s23
	s_wait_alu 0xfffe
	v_rcp_iflag_f32_e32 v1, s3
	s_sub_co_i32 s33, s5, s6
	s_delay_alu instid0(TRANS32_DEP_1) | instskip(SKIP_2) | instid1(SALU_CYCLE_2)
	v_readfirstlane_b32 s3, v1
	s_mul_f32 s3, s3, 0x4f7ffffe
	s_wait_alu 0xfffe
	s_cvt_u32_f32 s3, s3
	s_wait_alu 0xfffe
	s_delay_alu instid0(SALU_CYCLE_2) | instskip(NEXT) | instid1(SALU_CYCLE_1)
	s_mul_i32 s4, s4, s3
	s_mul_hi_u32 s4, s3, s4
	s_delay_alu instid0(SALU_CYCLE_1)
	s_add_co_i32 s3, s3, s4
	s_xor_b32 s4, s23, s31
	s_wait_alu 0xfffe
	s_mul_hi_u32 s3, s7, s3
	s_ashr_i32 s24, s4, 31
	s_wait_alu 0xfffe
	s_mul_i32 s5, s3, s2
	s_delay_alu instid0(SALU_CYCLE_1)
	s_sub_co_i32 s4, s7, s5
	s_add_co_i32 s5, s3, 1
	s_sub_co_i32 s6, s4, s2
	s_cmp_ge_u32 s4, s2
	s_cselect_b32 s3, s5, s3
	s_cselect_b32 s4, s6, s4
	s_wait_alu 0xfffe
	s_add_co_i32 s5, s3, 1
	s_cmp_ge_u32 s4, s2
	s_cselect_b32 s2, s5, s3
	s_load_b512 s[4:19], s[0:1], 0x0
	s_xor_b32 s2, s2, s24
	s_mov_b32 s3, 0
	s_wait_alu 0xfffe
	s_sub_co_i32 s38, s2, s24
	s_delay_alu instid0(SALU_CYCLE_1) | instskip(NEXT) | instid1(SALU_CYCLE_1)
	s_abs_i32 s31, s38
	s_cvt_f32_u32 s2, s31
	s_wait_alu 0xfffe
	s_delay_alu instid0(SALU_CYCLE_2) | instskip(SKIP_2) | instid1(TRANS32_DEP_1)
	v_rcp_iflag_f32_e32 v1, s2
	s_wait_kmcnt 0x0
	s_cmp_eq_u64 s[10:11], 0
	v_readfirstlane_b32 s24, v1
	s_cbranch_scc1 .LBB13_2
; %bb.1:
	s_abs_i32 s2, s36
	s_wait_alu 0xfffe
	s_cvt_f32_u32 s25, s2
	s_sub_co_i32 s26, 0, s2
	s_delay_alu instid0(SALU_CYCLE_2) | instskip(NEXT) | instid1(TRANS32_DEP_1)
	v_rcp_iflag_f32_e32 v1, s25
	v_readfirstlane_b32 s25, v1
	s_mul_f32 s25, s25, 0x4f7ffffe
	s_wait_alu 0xfffe
	s_delay_alu instid0(SALU_CYCLE_2) | instskip(SKIP_1) | instid1(SALU_CYCLE_2)
	s_cvt_u32_f32 s25, s25
	s_wait_alu 0xfffe
	s_mul_i32 s26, s26, s25
	s_delay_alu instid0(SALU_CYCLE_1)
	s_mul_hi_u32 s29, s25, s26
	s_load_b64 s[26:27], s[0:1], 0xc8
	s_add_co_i32 s25, s25, s29
	s_wait_alu 0xfffe
	s_mul_hi_u32 s25, s28, s25
	s_wait_alu 0xfffe
	s_mul_i32 s25, s25, s2
	s_wait_alu 0xfffe
	s_sub_co_i32 s25, s28, s25
	s_wait_alu 0xfffe
	s_sub_co_i32 s29, s25, s2
	s_cmp_ge_u32 s25, s2
	s_cselect_b32 s25, s29, s25
	s_wait_alu 0xfffe
	s_sub_co_i32 s29, s25, s2
	s_cmp_ge_u32 s25, s2
	s_cselect_b32 s34, s29, s25
	s_delay_alu instid0(SALU_CYCLE_1) | instskip(SKIP_2) | instid1(SALU_CYCLE_1)
	s_ashr_i32 s35, s34, 31
	s_wait_kmcnt 0x0
	s_mul_u64 s[26:27], s[26:27], s[34:35]
	s_add_nc_u64 s[34:35], s[10:11], s[26:27]
.LBB13_2:
	v_lshrrev_b32_e32 v1, 10, v0
	s_load_b96 s[40:42], s[0:1], 0x70
	v_bfe_u32 v5, v0, 10, 10
	v_and_b32_e32 v0, 0x3ff, v0
	s_delay_alu instid0(VALU_DEP_3) | instskip(NEXT) | instid1(VALU_DEP_3)
	v_bfe_u32 v1, v1, 1, 9
	v_lshlrev_b32_e32 v7, 1, v5
	s_delay_alu instid0(VALU_DEP_3) | instskip(SKIP_1) | instid1(VALU_DEP_4)
	v_lshlrev_b32_e32 v10, 4, v0
	v_mul_u32_u24_e32 v31, 0x900, v5
	v_lshl_add_u32 v1, ttmp9, 2, v1
	s_delay_alu instid0(VALU_DEP_4) | instskip(NEXT) | instid1(VALU_DEP_2)
	v_and_b32_e32 v29, 2, v7
	v_mul_hi_u32 v2, s20, v1
	s_wait_kmcnt 0x0
	s_mul_i32 s20, s33, s41
	s_ashr_i32 s11, s41, 31
	s_delay_alu instid0(VALU_DEP_1) | instskip(SKIP_2) | instid1(SALU_CYCLE_1)
	v_add_nc_u32_e32 v2, v1, v2
	s_mov_b32 s10, s41
	s_ashr_i32 s41, s40, 31
	s_lshr_b64 s[26:27], s[40:41], 2
	s_delay_alu instid0(VALU_DEP_1) | instskip(SKIP_3) | instid1(VALU_DEP_1)
	v_lshrrev_b32_e32 v2, s21, v2
	s_lshr_b32 s2, s41, 2
	s_wait_alu 0xfffe
	s_ashr_i32 s21, s20, 31
	v_mul_lo_u32 v2, v2, s22
	s_delay_alu instid0(VALU_DEP_1) | instskip(NEXT) | instid1(VALU_DEP_1)
	v_sub_nc_u32_e32 v4, v1, v2
	v_mad_co_u64_u32 v[2:3], null, s26, v4, 0
	s_mul_i32 s26, s28, s42
	s_wait_alu 0xfffe
	s_ashr_i32 s27, s26, 31
	s_wait_alu 0xfffe
	s_add_nc_u64 s[4:5], s[4:5], s[26:27]
	s_delay_alu instid0(SALU_CYCLE_1)
	s_add_nc_u64 s[4:5], s[4:5], s[20:21]
	v_mad_co_u64_u32 v[8:9], null, s2, v4, v[3:4]
	s_lshr_b32 s2, s11, 2
	s_lshr_b64 s[10:11], s[10:11], 2
	s_wait_alu 0xfffe
	v_mul_lo_u32 v6, s2, v29
	v_mov_b32_e32 v3, v8
	v_mad_co_u64_u32 v[8:9], null, s10, v29, 0
	s_delay_alu instid0(VALU_DEP_2) | instskip(NEXT) | instid1(VALU_DEP_2)
	v_lshlrev_b64_e32 v[2:3], 2, v[2:3]
	v_or_b32_e32 v9, v9, v6
	s_delay_alu instid0(VALU_DEP_2) | instskip(NEXT) | instid1(VALU_DEP_1)
	v_add_co_u32 v6, vcc_lo, s4, v2
	v_add_co_ci_u32_e64 v11, null, s5, v3, vcc_lo
	s_delay_alu instid0(VALU_DEP_3) | instskip(NEXT) | instid1(VALU_DEP_3)
	v_lshlrev_b64_e32 v[2:3], 2, v[8:9]
	v_add_co_u32 v8, vcc_lo, v6, v10
	s_wait_alu 0xfffd
	s_delay_alu instid0(VALU_DEP_3)
	v_add_co_ci_u32_e64 v9, null, 0, v11, vcc_lo
	s_load_b32 s4, s[0:1], 0x40
	v_add_co_u32 v2, vcc_lo, v8, v2
	s_wait_alu 0xfffd
	v_add_co_ci_u32_e64 v3, null, v9, v3, vcc_lo
	v_lshlrev_b32_e32 v6, 3, v0
	v_cmp_gt_u32_e32 vcc_lo, 16, v0
	s_clause 0x3
	global_load_b128 v[10:13], v[2:3], off
	global_load_b128 v[14:17], v[2:3], off offset:512
	global_load_b128 v[18:21], v[2:3], off offset:1024
	;; [unrolled: 1-line block ×3, first 2 shown]
	v_mad_u32_u24 v26, 0x900, v5, v6
	s_wait_loadcnt 0x3
	s_wait_kmcnt 0x0
	v_fma_mixlo_f16 v10, s4, v10, 0
	v_fma_mixlo_f16 v11, s4, v11, 0
	;; [unrolled: 1-line block ×4, first 2 shown]
	s_wait_loadcnt 0x2
	v_fma_mixlo_f16 v14, s4, v14, 0
	v_fma_mixlo_f16 v15, s4, v15, 0
	;; [unrolled: 1-line block ×4, first 2 shown]
	s_wait_loadcnt 0x1
	v_fma_mixlo_f16 v18, s4, v18, 0
	v_fma_mixlo_f16 v19, s4, v19, 0
	s_wait_loadcnt 0x0
	v_fma_mixlo_f16 v22, s4, v22, 0
	v_fma_mixlo_f16 v23, s4, v23, 0
	v_lshlrev_b32_e32 v11, 16, v11
	v_and_b32_e32 v10, 0xffff, v10
	v_lshlrev_b32_e32 v13, 16, v13
	v_and_b32_e32 v12, 0xffff, v12
	;; [unrolled: 2-line block ×3, first 2 shown]
	v_fma_mixlo_f16 v20, s4, v20, 0
	v_fma_mixlo_f16 v21, s4, v21, 0
	;; [unrolled: 1-line block ×4, first 2 shown]
	v_lshlrev_b32_e32 v17, 16, v17
	v_and_b32_e32 v16, 0xffff, v16
	v_lshlrev_b32_e32 v19, 16, v19
	v_and_b32_e32 v18, 0xffff, v18
	;; [unrolled: 2-line block ×3, first 2 shown]
	v_or_b32_e32 v10, v11, v10
	v_or3_b32 v11, v13, v12, 0
	v_or_b32_e32 v12, v15, v14
	v_lshlrev_b32_e32 v21, 16, v21
	v_and_b32_e32 v20, 0xffff, v20
	v_lshlrev_b32_e32 v25, 16, v25
	v_and_b32_e32 v24, 0xffff, v24
	v_or3_b32 v13, v17, v16, 0
	v_or_b32_e32 v14, v19, v18
	v_or_b32_e32 v16, v23, v22
	v_or3_b32 v10, 0, 0, v10
	v_or3_b32 v12, 0, 0, v12
	;; [unrolled: 1-line block ×6, first 2 shown]
	ds_store_2addr_b64 v26, v[10:11], v[12:13] offset1:32
	ds_store_2addr_b64 v26, v[14:15], v[16:17] offset0:64 offset1:96
	s_and_saveexec_b32 s2, vcc_lo
	s_cbranch_execz .LBB13_4
; %bb.3:
	global_load_b128 v[10:13], v[2:3], off offset:2048
	s_wait_loadcnt 0x0
	v_fma_mixlo_f16 v2, s4, v11, 0
	v_fma_mixlo_f16 v3, s4, v10, 0
	;; [unrolled: 1-line block ×4, first 2 shown]
	s_delay_alu instid0(VALU_DEP_4) | instskip(NEXT) | instid1(VALU_DEP_4)
	v_lshlrev_b32_e32 v2, 16, v2
	v_and_b32_e32 v3, 0xffff, v3
	s_delay_alu instid0(VALU_DEP_4) | instskip(NEXT) | instid1(VALU_DEP_4)
	v_and_b32_e32 v10, 0xffff, v10
	v_lshlrev_b32_e32 v11, 16, v11
	s_delay_alu instid0(VALU_DEP_3) | instskip(NEXT) | instid1(VALU_DEP_2)
	v_or_b32_e32 v2, v2, v3
	v_or3_b32 v3, v11, v10, 0
	v_add_nc_u32_e32 v10, v6, v31
	s_delay_alu instid0(VALU_DEP_3)
	v_or3_b32 v2, 0, 0, v2
	ds_store_b64 v10, v[2:3] offset:1024
.LBB13_4:
	s_wait_alu 0xfffe
	s_or_b32 exec_lo, exec_lo, s2
	v_or_b32_e32 v7, 1, v7
	s_delay_alu instid0(VALU_DEP_1) | instskip(SKIP_1) | instid1(VALU_DEP_2)
	v_and_b32_e32 v10, 3, v7
	v_mad_u32_u24 v24, 0x480, v7, v6
	v_mad_co_u64_u32 v[2:3], null, s10, v10, 0
	s_delay_alu instid0(VALU_DEP_1) | instskip(NEXT) | instid1(VALU_DEP_1)
	v_mad_co_u64_u32 v[10:11], null, s11, v10, v[3:4]
	v_mov_b32_e32 v3, v10
	s_delay_alu instid0(VALU_DEP_1) | instskip(NEXT) | instid1(VALU_DEP_1)
	v_lshlrev_b64_e32 v[2:3], 2, v[2:3]
	v_add_co_u32 v2, s2, v8, v2
	s_wait_alu 0xf1ff
	s_delay_alu instid0(VALU_DEP_2)
	v_add_co_ci_u32_e64 v3, null, v9, v3, s2
	s_clause 0x3
	global_load_b128 v[8:11], v[2:3], off
	global_load_b128 v[12:15], v[2:3], off offset:512
	global_load_b128 v[16:19], v[2:3], off offset:1024
	;; [unrolled: 1-line block ×3, first 2 shown]
	s_wait_loadcnt 0x3
	v_fma_mixlo_f16 v8, s4, v8, 0
	v_fma_mixlo_f16 v9, s4, v9, 0
	;; [unrolled: 1-line block ×4, first 2 shown]
	s_wait_loadcnt 0x2
	v_fma_mixlo_f16 v12, s4, v12, 0
	v_fma_mixlo_f16 v13, s4, v13, 0
	;; [unrolled: 1-line block ×4, first 2 shown]
	s_wait_loadcnt 0x1
	v_fma_mixlo_f16 v16, s4, v16, 0
	v_fma_mixlo_f16 v17, s4, v17, 0
	s_wait_loadcnt 0x0
	v_fma_mixlo_f16 v20, s4, v20, 0
	v_fma_mixlo_f16 v21, s4, v21, 0
	v_lshlrev_b32_e32 v9, 16, v9
	v_and_b32_e32 v8, 0xffff, v8
	v_lshlrev_b32_e32 v11, 16, v11
	v_and_b32_e32 v10, 0xffff, v10
	;; [unrolled: 2-line block ×3, first 2 shown]
	v_fma_mixlo_f16 v18, s4, v18, 0
	v_fma_mixlo_f16 v19, s4, v19, 0
	;; [unrolled: 1-line block ×4, first 2 shown]
	v_lshlrev_b32_e32 v15, 16, v15
	v_and_b32_e32 v14, 0xffff, v14
	v_lshlrev_b32_e32 v17, 16, v17
	v_and_b32_e32 v16, 0xffff, v16
	;; [unrolled: 2-line block ×3, first 2 shown]
	v_or_b32_e32 v8, v9, v8
	v_or3_b32 v9, v11, v10, 0
	v_or_b32_e32 v10, v13, v12
	v_lshlrev_b32_e32 v19, 16, v19
	v_and_b32_e32 v18, 0xffff, v18
	v_lshlrev_b32_e32 v23, 16, v23
	v_and_b32_e32 v22, 0xffff, v22
	v_or3_b32 v11, v15, v14, 0
	v_or_b32_e32 v12, v17, v16
	v_or_b32_e32 v14, v21, v20
	v_or3_b32 v8, 0, 0, v8
	v_or3_b32 v10, 0, 0, v10
	;; [unrolled: 1-line block ×6, first 2 shown]
	ds_store_2addr_b64 v24, v[8:9], v[10:11] offset1:32
	ds_store_2addr_b64 v24, v[12:13], v[14:15] offset0:64 offset1:96
	s_and_saveexec_b32 s2, vcc_lo
	s_cbranch_execz .LBB13_6
; %bb.5:
	global_load_b128 v[8:11], v[2:3], off offset:2048
	v_mul_u32_u24_e32 v7, 0x480, v7
	s_delay_alu instid0(VALU_DEP_1)
	v_add_nc_u32_e32 v7, v6, v7
	s_wait_loadcnt 0x0
	v_fma_mixlo_f16 v2, s4, v9, 0
	v_fma_mixlo_f16 v3, s4, v8, 0
	;; [unrolled: 1-line block ×4, first 2 shown]
	s_delay_alu instid0(VALU_DEP_4) | instskip(NEXT) | instid1(VALU_DEP_4)
	v_lshlrev_b32_e32 v2, 16, v2
	v_and_b32_e32 v3, 0xffff, v3
	s_delay_alu instid0(VALU_DEP_4) | instskip(NEXT) | instid1(VALU_DEP_4)
	v_and_b32_e32 v8, 0xffff, v8
	v_lshlrev_b32_e32 v9, 16, v9
	s_delay_alu instid0(VALU_DEP_3) | instskip(NEXT) | instid1(VALU_DEP_2)
	v_or_b32_e32 v2, v2, v3
	v_or3_b32 v3, v9, v8, 0
	s_delay_alu instid0(VALU_DEP_2)
	v_or3_b32 v2, 0, 0, v2
	ds_store_b64 v7, v[2:3] offset:1024
.LBB13_6:
	s_wait_alu 0xfffe
	s_or_b32 exec_lo, exec_lo, s2
	s_cmp_eq_u64 s[14:15], 0
	s_wait_dscnt 0x0
	s_barrier_signal -1
	s_barrier_wait -1
	global_inv scope:SCOPE_SE
	s_cbranch_scc1 .LBB13_8
; %bb.7:
	s_load_b32 s2, s[0:1], 0xd0
	s_mov_b32 s5, 0
	s_wait_kmcnt 0x0
	s_mul_i32 s2, s2, s28
	s_wait_alu 0xfffe
	s_add_co_i32 s4, s2, ttmp9
	s_wait_alu 0xfffe
	s_lshl_b64 s[4:5], s[4:5], 2
	s_wait_alu 0xfffe
	s_add_nc_u64 s[4:5], s[14:15], s[4:5]
	s_load_b32 s30, s[4:5], 0x0
.LBB13_8:
	s_and_b32 s10, ttmp7, 0xffff
	v_lshlrev_b32_e32 v30, 2, v0
	v_mbcnt_lo_u32_b32 v32, -1, 0
	s_wait_alu 0xfffe
	s_lshl_b32 s14, s10, 6
	s_wait_kmcnt 0x0
	s_cmp_lt_i32 s14, s30
	s_cbranch_scc1 .LBB13_11
; %bb.9:
	v_mbcnt_lo_u32_b32 v3, -1, 0
	v_mov_b32_e32 v2, 32
	s_delay_alu instid0(VALU_DEP_2)
	v_xor_b32_e32 v37, 16, v3
	v_xor_b32_e32 v36, 8, v3
	;; [unrolled: 1-line block ×5, first 2 shown]
	s_mov_b32 s29, 0
	s_cbranch_execz .LBB13_12
; %bb.10:
	v_dual_mov_b32 v63, 0 :: v_dual_mov_b32 v12, 0xfeffffff
	v_dual_mov_b32 v23, 0 :: v_dual_mov_b32 v24, 0
	;; [unrolled: 1-line block ×10, first 2 shown]
	s_branch .LBB13_15
.LBB13_11:
                                        ; implicit-def: $vgpr3
                                        ; implicit-def: $vgpr2
                                        ; implicit-def: $vgpr37
                                        ; implicit-def: $vgpr36
                                        ; implicit-def: $vgpr35
                                        ; implicit-def: $vgpr34
                                        ; implicit-def: $vgpr33
	s_mov_b32 s29, 0
.LBB13_12:
	s_mul_f32 s2, s24, 0x4f7ffffe
	s_clause 0x1
	s_load_b128 s[24:27], s[0:1], 0x98
	s_load_b64 s[4:5], s[0:1], 0x8c
	s_sub_co_i32 s15, 0, s31
	v_lshrrev_b32_e32 v2, 3, v0
	s_cvt_u32_f32 s11, s2
	v_dual_mov_b32 v52, 0 :: v_dual_and_b32 v13, 28, v30
	s_abs_i32 s2, s33
	s_wait_alu 0xfffe
	s_mul_i32 s15, s15, s11
	s_mov_b32 s21, s3
	s_mul_hi_u32 s15, s11, s15
	s_ashr_i32 s40, s38, 31
	s_add_co_i32 s20, s11, s15
	s_load_b64 s[38:39], s[0:1], 0xa8
	s_mul_u64 s[20:21], s[2:3], s[20:21]
	v_lshl_add_u32 v2, v5, 2, v2
	s_wait_alu 0xfffe
	s_mul_i32 s3, s21, s31
	v_dual_mov_b32 v56, 0 :: v_dual_lshlrev_b32 v3, 2, v13
	s_ashr_i32 s36, s33, 31
	s_wait_alu 0xfffe
	s_sub_co_i32 s2, s2, s3
	s_wait_kmcnt 0x0
	s_ashr_i32 s20, s26, 2
	s_ashr_i32 s26, s4, 2
	;; [unrolled: 1-line block ×3, first 2 shown]
	s_xor_b32 s15, s36, s40
	s_add_co_i32 s36, s21, 1
	s_wait_alu 0xfffe
	s_sub_co_i32 s3, s2, s31
	s_cmp_ge_u32 s2, s31
	v_mul_lo_u32 v7, s26, v2
	v_mad_u32_u24 v10, 0x90, v2, v3
	v_mul_lo_u32 v2, s20, v5
	s_cselect_b32 s4, s36, s21
	s_wait_alu 0xfffe
	s_cselect_b32 s2, s3, s2
	s_add_co_i32 s3, s4, 1
	s_wait_alu 0xfffe
	s_cmp_ge_u32 s2, s31
	v_lshlrev_b32_e32 v14, 2, v30
	s_cselect_b32 s4, s3, s4
	s_mul_u64 s[2:3], s[24:25], s[28:29]
	v_ashrrev_i32_e32 v3, 31, v2
	s_wait_alu 0xfffe
	s_xor_b32 s4, s4, s15
	s_mul_u64 s[24:25], s[38:39], s[28:29]
	s_wait_alu 0xfffe
	s_sub_co_i32 s15, s4, s15
	s_add_nc_u64 s[2:3], s[6:7], s[2:3]
	s_mul_i32 s4, s15, s5
	s_add_nc_u64 s[6:7], s[8:9], s[24:25]
	s_mul_i32 s24, s15, s27
	v_lshlrev_b64_e32 v[11:12], 2, v[2:3]
	s_wait_alu 0xfffe
	s_ashr_i32 s5, s4, 31
	s_ashr_i32 s25, s24, 31
	v_lshl_add_u32 v9, s26, 5, v7
	s_wait_alu 0xfffe
	s_add_nc_u64 s[8:9], s[2:3], s[4:5]
	s_add_nc_u64 s[2:3], s[6:7], s[24:25]
	v_mad_co_u64_u32 v[2:3], null, v4, s11, v[0:1]
	s_wait_alu 0xfffe
	v_add_co_u32 v3, vcc_lo, s2, v11
	v_dual_mov_b32 v53, 0 :: v_dual_add_nc_u32 v38, 0x4800, v10
	v_ashrrev_i32_e32 v8, 31, v7
	v_dual_mov_b32 v54, 0 :: v_dual_add_nc_u32 v39, 0x5a00, v10
	v_ashrrev_i32_e32 v10, 31, v9
	s_wait_alu 0xfffd
	v_add_co_ci_u32_e64 v4, null, s3, v12, vcc_lo
	v_lshl_add_u32 v41, v5, 8, 0x6c00
	v_dual_mov_b32 v59, 0 :: v_dual_add_nc_u32 v44, 0x4800, v6
	v_mov_b32_e32 v11, 0xfeffffff
	v_lshl_add_u32 v15, v5, 10, v14
	v_add_co_u32 v45, vcc_lo, v3, v14
	s_movk_i32 s4, 0x4800
	s_wait_alu 0xfffd
	v_add_co_ci_u32_e64 v46, null, 0, v4, vcc_lo
	v_lshlrev_b64_e32 v[3:4], 2, v[7:8]
	v_lshlrev_b64_e32 v[5:6], 2, v[9:10]
	s_wait_alu 0xfffe
	v_mad_u32_u24 v40, 0x90, v0, s4
	v_dual_mov_b32 v57, 0 :: v_dual_add_nc_u32 v42, 0x4800, v15
	v_dual_mov_b32 v58, 0 :: v_dual_add_nc_u32 v43, 0x4a00, v15
	v_dual_mov_b32 v60, 0 :: v_dual_lshlrev_b32 v47, 2, v13
	v_xor_b32_e32 v37, 16, v32
	v_xor_b32_e32 v36, 8, v32
	;; [unrolled: 1-line block ×5, first 2 shown]
	v_dual_mov_b32 v55, 0 :: v_dual_add_nc_u32 v48, v41, v30
	v_dual_mov_b32 v64, 0 :: v_dual_add_nc_u32 v49, 0x800, v44
	;; [unrolled: 1-line block ×4, first 2 shown]
	v_dual_mov_b32 v66, 0 :: v_dual_mov_b32 v65, 0
	v_dual_mov_b32 v67, 0 :: v_dual_mov_b32 v12, 0xfeffffff
	;; [unrolled: 1-line block ×3, first 2 shown]
	v_mov_b32_e32 v23, 0
	s_ashr_i32 s27, s26, 31
	s_ashr_i32 s21, s20, 31
	s_add_nc_u64 s[24:25], s[0:1], 0xd0
.LBB13_13:                              ; =>This Inner Loop Header: Depth=1
	v_cmp_gt_i32_e32 vcc_lo, 32, v37
	v_dual_mov_b32 v70, v11 :: v_dual_mov_b32 v71, 0
	s_ashr_i32 s15, s14, 31
	v_dual_mov_b32 v68, v24 :: v_dual_mov_b32 v69, v12
	s_wait_alu 0xfffd
	v_dual_cndmask_b32 v8, v32, v37 :: v_dual_mov_b32 v75, v23
	v_cmp_gt_i32_e32 vcc_lo, 32, v36
	s_wait_alu 0xfffe
	s_mul_u64 s[44:45], s[14:15], s[26:27]
	s_mul_u64 s[46:47], s[14:15], s[20:21]
	s_or_b32 s2, s14, 8
	s_wait_alu 0xfffe
	s_lshl_b64 s[44:45], s[44:45], 2
	s_wait_alu 0xfffd
	v_cndmask_b32_e32 v9, v32, v36, vcc_lo
	v_cmp_gt_i32_e32 vcc_lo, 32, v35
	s_lshl_b64 s[46:47], s[46:47], 2
	s_or_b32 s4, s14, 16
	s_ashr_i32 s3, s2, 31
	s_wait_alu 0xfffe
	s_add_nc_u64 s[44:45], s[8:9], s[44:45]
	s_wait_alu 0xfffd
	v_cndmask_b32_e32 v10, v32, v35, vcc_lo
	v_cmp_gt_i32_e32 vcc_lo, 32, v34
	v_lshlrev_b32_e32 v80, 2, v8
	s_or_b32 s6, s14, 24
	s_ashr_i32 s5, s4, 31
	s_mul_u64 s[2:3], s[2:3], s[20:21]
	s_wait_alu 0xfffd
	v_cndmask_b32_e32 v11, v32, v34, vcc_lo
	v_cmp_gt_i32_e32 vcc_lo, 32, v33
	s_or_b32 s36, s14, 32
	s_wait_alu 0xfffe
	s_ashr_i32 s7, s6, 31
	s_mul_u64 s[4:5], s[4:5], s[20:21]
	s_wait_alu 0xfffd
	v_dual_cndmask_b32 v12, v32, v33 :: v_dual_lshlrev_b32 v77, 2, v11
	v_add_co_u32 v11, vcc_lo, v45, s46
	s_lshl_b64 s[2:3], s[2:3], 2
	s_or_b32 s38, s14, 40
	v_lshlrev_b32_e32 v76, 2, v12
	s_wait_alu 0xfffd
	v_add_co_ci_u32_e64 v12, null, s47, v46, vcc_lo
	v_add_co_u32 v25, vcc_lo, s44, v3
	s_wait_alu 0xfffd
	v_add_co_ci_u32_e64 v26, null, s45, v4, vcc_lo
	v_add_co_u32 v27, vcc_lo, s44, v5
	s_ashr_i32 s37, s36, 31
	s_wait_alu 0xfffe
	s_mul_u64 s[6:7], s[6:7], s[20:21]
	s_lshl_b64 s[4:5], s[4:5], 2
	s_wait_alu 0xfffd
	v_add_co_ci_u32_e64 v28, null, s45, v6, vcc_lo
	v_add_co_u32 v21, vcc_lo, v45, s2
	v_dual_mov_b32 v74, 0 :: v_dual_add_nc_u32 v7, s14, v2
	s_or_b32 s40, s14, 48
	s_ashr_i32 s39, s38, 31
	s_mul_u64 s[36:37], s[36:37], s[20:21]
	s_wait_alu 0xfffe
	s_lshl_b64 s[6:7], s[6:7], 2
	s_wait_alu 0xfffd
	v_add_co_ci_u32_e64 v22, null, s3, v46, vcc_lo
	v_add_co_u32 v19, vcc_lo, v45, s4
	s_or_b32 s42, s14, 56
	s_ashr_i32 s41, s40, 31
	s_mul_u64 s[38:39], s[38:39], s[20:21]
	s_lshl_b64 s[36:37], s[36:37], 2
	s_wait_alu 0xfffd
	v_add_co_ci_u32_e64 v20, null, s5, v46, vcc_lo
	s_wait_alu 0xfffe
	v_add_co_u32 v17, vcc_lo, v45, s6
	s_ashr_i32 s43, s42, 31
	s_mul_u64 s[40:41], s[40:41], s[20:21]
	s_lshl_b64 s[38:39], s[38:39], 2
	s_wait_alu 0xfffd
	v_add_co_ci_u32_e64 v18, null, s7, v46, vcc_lo
	v_add_co_u32 v15, vcc_lo, v45, s36
	v_ashrrev_i32_e32 v8, 31, v7
	s_wait_alu 0xfffe
	s_mul_u64 s[42:43], s[42:43], s[20:21]
	s_lshl_b64 s[40:41], s[40:41], 2
	s_wait_alu 0xfffd
	v_add_co_ci_u32_e64 v16, null, s37, v46, vcc_lo
	v_add_co_u32 v13, vcc_lo, v45, s38
	v_lshlrev_b32_e32 v78, 2, v10
	v_lshlrev_b32_e32 v79, 2, v9
	s_wait_alu 0xfffe
	s_lshl_b64 s[42:43], s[42:43], 2
	s_wait_alu 0xfffd
	v_add_co_ci_u32_e64 v14, null, s39, v46, vcc_lo
	v_add_co_u32 v9, vcc_lo, v45, s40
	v_lshlrev_b64_e32 v[23:24], 1, v[7:8]
	s_wait_alu 0xfffd
	v_add_co_ci_u32_e64 v10, null, s41, v46, vcc_lo
	s_wait_alu 0xfffe
	v_add_co_u32 v7, vcc_lo, v45, s42
	s_wait_alu 0xfffd
	v_add_co_ci_u32_e64 v8, null, s43, v46, vcc_lo
	v_add_co_u32 v25, vcc_lo, v25, v47
	s_wait_alu 0xfffd
	v_add_co_ci_u32_e64 v26, null, 0, v26, vcc_lo
	;; [unrolled: 3-line block ×3, first 2 shown]
	s_clause 0x1
	global_load_b128 v[81:84], v[25:26], off
	global_load_b128 v[85:88], v[27:28], off
	v_dual_mov_b32 v72, 0 :: v_dual_mov_b32 v73, 0
	v_add_co_u32 v23, vcc_lo, s34, v23
	s_wait_alu 0xfffd
	v_add_co_ci_u32_e64 v24, null, s35, v24, vcc_lo
	s_wait_loadcnt 0x1
	ds_store_b128 v38, v[81:84]
	s_wait_loadcnt 0x0
	ds_store_b128 v39, v[85:88]
	s_wait_dscnt 0x0
	s_barrier_signal -1
	s_barrier_wait -1
	global_inv scope:SCOPE_SE
	ds_load_b128 v[81:84], v40
	ds_load_b128 v[85:88], v31
	ds_load_b128 v[89:92], v31 offset:1152
	ds_load_b128 v[93:96], v40 offset:4608
	s_wait_dscnt 0x2
	;;#ASMSTART
	v_dot2_f32_f16 v71, v81, v85, v71
	;;#ASMEND
	;;#ASMSTART
	v_dot2_f32_f16 v71, v82, v86, v71
	;;#ASMEND
	;;#ASMSTART
	v_dot2_f32_f16 v71, v83, v87, v71
	;;#ASMEND
	;;#ASMSTART
	v_dot2_f32_f16 v71, v84, v88, v71
	;;#ASMEND
	s_wait_dscnt 0x1
	;;#ASMSTART
	v_dot2_f32_f16 v72, v81, v89, v72
	;;#ASMEND
	;;#ASMSTART
	v_dot2_f32_f16 v72, v82, v90, v72
	;;#ASMEND
	;;#ASMSTART
	v_dot2_f32_f16 v72, v83, v91, v72
	;;#ASMEND
	;;#ASMSTART
	v_dot2_f32_f16 v72, v84, v92, v72
	;;#ASMEND
	s_wait_dscnt 0x0
	;;#ASMSTART
	v_dot2_f32_f16 v73, v93, v85, v73
	;;#ASMEND
	;;#ASMSTART
	v_dot2_f32_f16 v73, v94, v86, v73
	;;#ASMEND
	;;#ASMSTART
	v_dot2_f32_f16 v73, v95, v87, v73
	;;#ASMEND
	;;#ASMSTART
	v_dot2_f32_f16 v73, v96, v88, v73
	;;#ASMEND
	;;#ASMSTART
	v_dot2_f32_f16 v74, v93, v89, v74
	;;#ASMEND
	;;#ASMSTART
	v_dot2_f32_f16 v74, v94, v90, v74
	;;#ASMEND
	;;#ASMSTART
	v_dot2_f32_f16 v74, v95, v91, v74
	;;#ASMEND
	;;#ASMSTART
	v_dot2_f32_f16 v74, v96, v92, v74
	;;#ASMEND
	ds_load_b128 v[81:84], v40 offset:16
	ds_load_b128 v[85:88], v31 offset:16
	ds_load_b128 v[89:92], v31 offset:1168
	ds_load_b128 v[93:96], v40 offset:4624
	s_wait_dscnt 0x2
	;;#ASMSTART
	v_dot2_f32_f16 v71, v81, v85, v71
	;;#ASMEND
	;;#ASMSTART
	v_dot2_f32_f16 v71, v82, v86, v71
	;;#ASMEND
	;;#ASMSTART
	v_dot2_f32_f16 v71, v83, v87, v71
	;;#ASMEND
	;;#ASMSTART
	v_dot2_f32_f16 v71, v84, v88, v71
	;;#ASMEND
	s_wait_dscnt 0x1
	;;#ASMSTART
	v_dot2_f32_f16 v72, v81, v89, v72
	;;#ASMEND
	;;#ASMSTART
	v_dot2_f32_f16 v72, v82, v90, v72
	;;#ASMEND
	;;#ASMSTART
	v_dot2_f32_f16 v72, v83, v91, v72
	;;#ASMEND
	;;#ASMSTART
	v_dot2_f32_f16 v72, v84, v92, v72
	;;#ASMEND
	s_wait_dscnt 0x0
	;;#ASMSTART
	v_dot2_f32_f16 v73, v93, v85, v73
	;;#ASMEND
	;;#ASMSTART
	v_dot2_f32_f16 v73, v94, v86, v73
	;;#ASMEND
	;;#ASMSTART
	v_dot2_f32_f16 v73, v95, v87, v73
	;;#ASMEND
	;;#ASMSTART
	v_dot2_f32_f16 v73, v96, v88, v73
	;;#ASMEND
	;;#ASMSTART
	v_dot2_f32_f16 v74, v93, v89, v74
	;;#ASMEND
	;;#ASMSTART
	v_dot2_f32_f16 v74, v94, v90, v74
	;;#ASMEND
	;;#ASMSTART
	v_dot2_f32_f16 v74, v95, v91, v74
	;;#ASMEND
	;;#ASMSTART
	v_dot2_f32_f16 v74, v96, v92, v74
	;;#ASMEND
	ds_load_b128 v[81:84], v40 offset:32
	ds_load_b128 v[85:88], v31 offset:32
	;; [unrolled: 55-line block ×7, first 2 shown]
	ds_load_b128 v[89:92], v31 offset:1264
	ds_load_b128 v[93:96], v40 offset:4720
	s_wait_dscnt 0x2
	;;#ASMSTART
	v_dot2_f32_f16 v71, v81, v85, v71
	;;#ASMEND
	;;#ASMSTART
	v_dot2_f32_f16 v71, v82, v86, v71
	;;#ASMEND
	;;#ASMSTART
	v_dot2_f32_f16 v71, v83, v87, v71
	;;#ASMEND
	;;#ASMSTART
	v_dot2_f32_f16 v71, v84, v88, v71
	;;#ASMEND
	s_wait_dscnt 0x1
	;;#ASMSTART
	v_dot2_f32_f16 v72, v81, v89, v72
	;;#ASMEND
	;;#ASMSTART
	v_dot2_f32_f16 v72, v82, v90, v72
	;;#ASMEND
	;;#ASMSTART
	v_dot2_f32_f16 v72, v83, v91, v72
	;;#ASMEND
	;;#ASMSTART
	v_dot2_f32_f16 v72, v84, v92, v72
	;;#ASMEND
	;; [unrolled: 13-line block ×3, first 2 shown]
	;;#ASMSTART
	v_dot2_f32_f16 v74, v93, v89, v74
	;;#ASMEND
	;;#ASMSTART
	v_dot2_f32_f16 v74, v94, v90, v74
	;;#ASMEND
	;; [unrolled: 3-line block ×4, first 2 shown]
	s_wait_loadcnt 0x0
	s_barrier_signal -1
	s_barrier_wait -1
	global_inv scope:SCOPE_SE
	s_clause 0x1
	global_load_b128 v[81:84], v[25:26], off offset:128
	global_load_b128 v[85:88], v[27:28], off offset:128
	s_wait_loadcnt 0x1
	ds_store_b128 v38, v[81:84]
	s_wait_loadcnt 0x0
	ds_store_b128 v39, v[85:88]
	s_wait_dscnt 0x0
	s_barrier_signal -1
	s_barrier_wait -1
	global_inv scope:SCOPE_SE
	ds_load_b128 v[81:84], v40
	ds_load_b128 v[85:88], v31 offset:128
	ds_load_b128 v[89:92], v31 offset:1280
	ds_load_b128 v[93:96], v40 offset:4608
	s_wait_dscnt 0x2
	;;#ASMSTART
	v_dot2_f32_f16 v71, v81, v85, v71
	;;#ASMEND
	;;#ASMSTART
	v_dot2_f32_f16 v71, v82, v86, v71
	;;#ASMEND
	;;#ASMSTART
	v_dot2_f32_f16 v71, v83, v87, v71
	;;#ASMEND
	;;#ASMSTART
	v_dot2_f32_f16 v71, v84, v88, v71
	;;#ASMEND
	s_wait_dscnt 0x1
	;;#ASMSTART
	v_dot2_f32_f16 v72, v81, v89, v72
	;;#ASMEND
	;;#ASMSTART
	v_dot2_f32_f16 v72, v82, v90, v72
	;;#ASMEND
	;;#ASMSTART
	v_dot2_f32_f16 v72, v83, v91, v72
	;;#ASMEND
	;;#ASMSTART
	v_dot2_f32_f16 v72, v84, v92, v72
	;;#ASMEND
	s_wait_dscnt 0x0
	;;#ASMSTART
	v_dot2_f32_f16 v73, v93, v85, v73
	;;#ASMEND
	;;#ASMSTART
	v_dot2_f32_f16 v73, v94, v86, v73
	;;#ASMEND
	;;#ASMSTART
	v_dot2_f32_f16 v73, v95, v87, v73
	;;#ASMEND
	;;#ASMSTART
	v_dot2_f32_f16 v73, v96, v88, v73
	;;#ASMEND
	;;#ASMSTART
	v_dot2_f32_f16 v74, v93, v89, v74
	;;#ASMEND
	;;#ASMSTART
	v_dot2_f32_f16 v74, v94, v90, v74
	;;#ASMEND
	;;#ASMSTART
	v_dot2_f32_f16 v74, v95, v91, v74
	;;#ASMEND
	;;#ASMSTART
	v_dot2_f32_f16 v74, v96, v92, v74
	;;#ASMEND
	ds_load_b128 v[81:84], v40 offset:16
	ds_load_b128 v[85:88], v31 offset:144
	ds_load_b128 v[89:92], v31 offset:1296
	ds_load_b128 v[93:96], v40 offset:4624
	s_wait_dscnt 0x2
	;;#ASMSTART
	v_dot2_f32_f16 v71, v81, v85, v71
	;;#ASMEND
	;;#ASMSTART
	v_dot2_f32_f16 v71, v82, v86, v71
	;;#ASMEND
	;;#ASMSTART
	v_dot2_f32_f16 v71, v83, v87, v71
	;;#ASMEND
	;;#ASMSTART
	v_dot2_f32_f16 v71, v84, v88, v71
	;;#ASMEND
	s_wait_dscnt 0x1
	;;#ASMSTART
	v_dot2_f32_f16 v72, v81, v89, v72
	;;#ASMEND
	;;#ASMSTART
	v_dot2_f32_f16 v72, v82, v90, v72
	;;#ASMEND
	;;#ASMSTART
	v_dot2_f32_f16 v72, v83, v91, v72
	;;#ASMEND
	;;#ASMSTART
	v_dot2_f32_f16 v72, v84, v92, v72
	;;#ASMEND
	s_wait_dscnt 0x0
	;;#ASMSTART
	v_dot2_f32_f16 v73, v93, v85, v73
	;;#ASMEND
	;;#ASMSTART
	v_dot2_f32_f16 v73, v94, v86, v73
	;;#ASMEND
	;;#ASMSTART
	v_dot2_f32_f16 v73, v95, v87, v73
	;;#ASMEND
	;;#ASMSTART
	v_dot2_f32_f16 v73, v96, v88, v73
	;;#ASMEND
	;;#ASMSTART
	v_dot2_f32_f16 v74, v93, v89, v74
	;;#ASMEND
	;;#ASMSTART
	v_dot2_f32_f16 v74, v94, v90, v74
	;;#ASMEND
	;;#ASMSTART
	v_dot2_f32_f16 v74, v95, v91, v74
	;;#ASMEND
	;;#ASMSTART
	v_dot2_f32_f16 v74, v96, v92, v74
	;;#ASMEND
	ds_load_b128 v[81:84], v40 offset:32
	;; [unrolled: 55-line block ×7, first 2 shown]
	ds_load_b128 v[85:88], v31 offset:240
	ds_load_b128 v[89:92], v31 offset:1392
	;; [unrolled: 1-line block ×3, first 2 shown]
	s_wait_dscnt 0x2
	;;#ASMSTART
	v_dot2_f32_f16 v71, v81, v85, v71
	;;#ASMEND
	;;#ASMSTART
	v_dot2_f32_f16 v71, v82, v86, v71
	;;#ASMEND
	;;#ASMSTART
	v_dot2_f32_f16 v71, v83, v87, v71
	;;#ASMEND
	;;#ASMSTART
	v_dot2_f32_f16 v71, v84, v88, v71
	;;#ASMEND
	s_wait_dscnt 0x1
	;;#ASMSTART
	v_dot2_f32_f16 v72, v81, v89, v72
	;;#ASMEND
	;;#ASMSTART
	v_dot2_f32_f16 v72, v82, v90, v72
	;;#ASMEND
	;;#ASMSTART
	v_dot2_f32_f16 v72, v83, v91, v72
	;;#ASMEND
	;;#ASMSTART
	v_dot2_f32_f16 v72, v84, v92, v72
	;;#ASMEND
	;; [unrolled: 13-line block ×3, first 2 shown]
	;;#ASMSTART
	v_dot2_f32_f16 v74, v93, v89, v74
	;;#ASMEND
	;;#ASMSTART
	v_dot2_f32_f16 v74, v94, v90, v74
	;;#ASMEND
	;; [unrolled: 3-line block ×4, first 2 shown]
	s_wait_loadcnt 0x0
	s_barrier_signal -1
	s_barrier_wait -1
	global_inv scope:SCOPE_SE
	s_clause 0x1
	global_load_b128 v[81:84], v[25:26], off offset:256
	global_load_b128 v[85:88], v[27:28], off offset:256
	s_wait_loadcnt 0x1
	ds_store_b128 v38, v[81:84]
	s_wait_loadcnt 0x0
	ds_store_b128 v39, v[85:88]
	s_wait_dscnt 0x0
	s_barrier_signal -1
	s_barrier_wait -1
	global_inv scope:SCOPE_SE
	ds_load_b128 v[81:84], v40
	ds_load_b128 v[85:88], v31 offset:256
	ds_load_b128 v[89:92], v31 offset:1408
	ds_load_b128 v[93:96], v40 offset:4608
	s_wait_dscnt 0x2
	;;#ASMSTART
	v_dot2_f32_f16 v71, v81, v85, v71
	;;#ASMEND
	;;#ASMSTART
	v_dot2_f32_f16 v71, v82, v86, v71
	;;#ASMEND
	;;#ASMSTART
	v_dot2_f32_f16 v71, v83, v87, v71
	;;#ASMEND
	;;#ASMSTART
	v_dot2_f32_f16 v71, v84, v88, v71
	;;#ASMEND
	s_wait_dscnt 0x1
	;;#ASMSTART
	v_dot2_f32_f16 v72, v81, v89, v72
	;;#ASMEND
	;;#ASMSTART
	v_dot2_f32_f16 v72, v82, v90, v72
	;;#ASMEND
	;;#ASMSTART
	v_dot2_f32_f16 v72, v83, v91, v72
	;;#ASMEND
	;;#ASMSTART
	v_dot2_f32_f16 v72, v84, v92, v72
	;;#ASMEND
	s_wait_dscnt 0x0
	;;#ASMSTART
	v_dot2_f32_f16 v73, v93, v85, v73
	;;#ASMEND
	;;#ASMSTART
	v_dot2_f32_f16 v73, v94, v86, v73
	;;#ASMEND
	;;#ASMSTART
	v_dot2_f32_f16 v73, v95, v87, v73
	;;#ASMEND
	;;#ASMSTART
	v_dot2_f32_f16 v73, v96, v88, v73
	;;#ASMEND
	;;#ASMSTART
	v_dot2_f32_f16 v74, v93, v89, v74
	;;#ASMEND
	;;#ASMSTART
	v_dot2_f32_f16 v74, v94, v90, v74
	;;#ASMEND
	;;#ASMSTART
	v_dot2_f32_f16 v74, v95, v91, v74
	;;#ASMEND
	;;#ASMSTART
	v_dot2_f32_f16 v74, v96, v92, v74
	;;#ASMEND
	ds_load_b128 v[81:84], v40 offset:16
	ds_load_b128 v[85:88], v31 offset:272
	ds_load_b128 v[89:92], v31 offset:1424
	ds_load_b128 v[93:96], v40 offset:4624
	s_wait_dscnt 0x2
	;;#ASMSTART
	v_dot2_f32_f16 v71, v81, v85, v71
	;;#ASMEND
	;;#ASMSTART
	v_dot2_f32_f16 v71, v82, v86, v71
	;;#ASMEND
	;;#ASMSTART
	v_dot2_f32_f16 v71, v83, v87, v71
	;;#ASMEND
	;;#ASMSTART
	v_dot2_f32_f16 v71, v84, v88, v71
	;;#ASMEND
	s_wait_dscnt 0x1
	;;#ASMSTART
	v_dot2_f32_f16 v72, v81, v89, v72
	;;#ASMEND
	;;#ASMSTART
	v_dot2_f32_f16 v72, v82, v90, v72
	;;#ASMEND
	;;#ASMSTART
	v_dot2_f32_f16 v72, v83, v91, v72
	;;#ASMEND
	;;#ASMSTART
	v_dot2_f32_f16 v72, v84, v92, v72
	;;#ASMEND
	s_wait_dscnt 0x0
	;;#ASMSTART
	v_dot2_f32_f16 v73, v93, v85, v73
	;;#ASMEND
	;;#ASMSTART
	v_dot2_f32_f16 v73, v94, v86, v73
	;;#ASMEND
	;;#ASMSTART
	v_dot2_f32_f16 v73, v95, v87, v73
	;;#ASMEND
	;;#ASMSTART
	v_dot2_f32_f16 v73, v96, v88, v73
	;;#ASMEND
	;;#ASMSTART
	v_dot2_f32_f16 v74, v93, v89, v74
	;;#ASMEND
	;;#ASMSTART
	v_dot2_f32_f16 v74, v94, v90, v74
	;;#ASMEND
	;;#ASMSTART
	v_dot2_f32_f16 v74, v95, v91, v74
	;;#ASMEND
	;;#ASMSTART
	v_dot2_f32_f16 v74, v96, v92, v74
	;;#ASMEND
	ds_load_b128 v[81:84], v40 offset:32
	;; [unrolled: 55-line block ×7, first 2 shown]
	ds_load_b128 v[85:88], v31 offset:368
	ds_load_b128 v[89:92], v31 offset:1520
	ds_load_b128 v[93:96], v40 offset:4720
	s_wait_dscnt 0x2
	;;#ASMSTART
	v_dot2_f32_f16 v71, v81, v85, v71
	;;#ASMEND
	;;#ASMSTART
	v_dot2_f32_f16 v71, v82, v86, v71
	;;#ASMEND
	;;#ASMSTART
	v_dot2_f32_f16 v71, v83, v87, v71
	;;#ASMEND
	;;#ASMSTART
	v_dot2_f32_f16 v71, v84, v88, v71
	;;#ASMEND
	s_wait_dscnt 0x1
	;;#ASMSTART
	v_dot2_f32_f16 v72, v81, v89, v72
	;;#ASMEND
	;;#ASMSTART
	v_dot2_f32_f16 v72, v82, v90, v72
	;;#ASMEND
	;;#ASMSTART
	v_dot2_f32_f16 v72, v83, v91, v72
	;;#ASMEND
	;;#ASMSTART
	v_dot2_f32_f16 v72, v84, v92, v72
	;;#ASMEND
	;; [unrolled: 13-line block ×3, first 2 shown]
	;;#ASMSTART
	v_dot2_f32_f16 v74, v93, v89, v74
	;;#ASMEND
	;;#ASMSTART
	v_dot2_f32_f16 v74, v94, v90, v74
	;;#ASMEND
	;; [unrolled: 3-line block ×4, first 2 shown]
	s_wait_loadcnt 0x0
	s_barrier_signal -1
	s_barrier_wait -1
	global_inv scope:SCOPE_SE
	s_clause 0x1
	global_load_b128 v[81:84], v[25:26], off offset:384
	global_load_b128 v[85:88], v[27:28], off offset:384
	s_wait_loadcnt 0x1
	ds_store_b128 v38, v[81:84]
	s_wait_loadcnt 0x0
	ds_store_b128 v39, v[85:88]
	s_wait_dscnt 0x0
	s_barrier_signal -1
	s_barrier_wait -1
	global_inv scope:SCOPE_SE
	ds_load_b128 v[81:84], v40
	ds_load_b128 v[85:88], v31 offset:384
	ds_load_b128 v[89:92], v31 offset:1536
	ds_load_b128 v[93:96], v40 offset:4608
	s_wait_dscnt 0x2
	;;#ASMSTART
	v_dot2_f32_f16 v71, v81, v85, v71
	;;#ASMEND
	;;#ASMSTART
	v_dot2_f32_f16 v71, v82, v86, v71
	;;#ASMEND
	;;#ASMSTART
	v_dot2_f32_f16 v71, v83, v87, v71
	;;#ASMEND
	;;#ASMSTART
	v_dot2_f32_f16 v71, v84, v88, v71
	;;#ASMEND
	s_wait_dscnt 0x1
	;;#ASMSTART
	v_dot2_f32_f16 v72, v81, v89, v72
	;;#ASMEND
	;;#ASMSTART
	v_dot2_f32_f16 v72, v82, v90, v72
	;;#ASMEND
	;;#ASMSTART
	v_dot2_f32_f16 v72, v83, v91, v72
	;;#ASMEND
	;;#ASMSTART
	v_dot2_f32_f16 v72, v84, v92, v72
	;;#ASMEND
	s_wait_dscnt 0x0
	;;#ASMSTART
	v_dot2_f32_f16 v73, v93, v85, v73
	;;#ASMEND
	;;#ASMSTART
	v_dot2_f32_f16 v73, v94, v86, v73
	;;#ASMEND
	;;#ASMSTART
	v_dot2_f32_f16 v73, v95, v87, v73
	;;#ASMEND
	;;#ASMSTART
	v_dot2_f32_f16 v73, v96, v88, v73
	;;#ASMEND
	;;#ASMSTART
	v_dot2_f32_f16 v74, v93, v89, v74
	;;#ASMEND
	;;#ASMSTART
	v_dot2_f32_f16 v74, v94, v90, v74
	;;#ASMEND
	;;#ASMSTART
	v_dot2_f32_f16 v74, v95, v91, v74
	;;#ASMEND
	;;#ASMSTART
	v_dot2_f32_f16 v74, v96, v92, v74
	;;#ASMEND
	ds_load_b128 v[81:84], v40 offset:16
	ds_load_b128 v[85:88], v31 offset:400
	ds_load_b128 v[89:92], v31 offset:1552
	ds_load_b128 v[93:96], v40 offset:4624
	s_wait_dscnt 0x2
	;;#ASMSTART
	v_dot2_f32_f16 v71, v81, v85, v71
	;;#ASMEND
	;;#ASMSTART
	v_dot2_f32_f16 v71, v82, v86, v71
	;;#ASMEND
	;;#ASMSTART
	v_dot2_f32_f16 v71, v83, v87, v71
	;;#ASMEND
	;;#ASMSTART
	v_dot2_f32_f16 v71, v84, v88, v71
	;;#ASMEND
	s_wait_dscnt 0x1
	;;#ASMSTART
	v_dot2_f32_f16 v72, v81, v89, v72
	;;#ASMEND
	;;#ASMSTART
	v_dot2_f32_f16 v72, v82, v90, v72
	;;#ASMEND
	;;#ASMSTART
	v_dot2_f32_f16 v72, v83, v91, v72
	;;#ASMEND
	;;#ASMSTART
	v_dot2_f32_f16 v72, v84, v92, v72
	;;#ASMEND
	s_wait_dscnt 0x0
	;;#ASMSTART
	v_dot2_f32_f16 v73, v93, v85, v73
	;;#ASMEND
	;;#ASMSTART
	v_dot2_f32_f16 v73, v94, v86, v73
	;;#ASMEND
	;;#ASMSTART
	v_dot2_f32_f16 v73, v95, v87, v73
	;;#ASMEND
	;;#ASMSTART
	v_dot2_f32_f16 v73, v96, v88, v73
	;;#ASMEND
	;;#ASMSTART
	v_dot2_f32_f16 v74, v93, v89, v74
	;;#ASMEND
	;;#ASMSTART
	v_dot2_f32_f16 v74, v94, v90, v74
	;;#ASMEND
	;;#ASMSTART
	v_dot2_f32_f16 v74, v95, v91, v74
	;;#ASMEND
	;;#ASMSTART
	v_dot2_f32_f16 v74, v96, v92, v74
	;;#ASMEND
	ds_load_b128 v[81:84], v40 offset:32
	ds_load_b128 v[85:88], v31 offset:416
	ds_load_b128 v[89:92], v31 offset:1568
	ds_load_b128 v[93:96], v40 offset:4640
	s_wait_dscnt 0x2
	;;#ASMSTART
	v_dot2_f32_f16 v71, v81, v85, v71
	;;#ASMEND
	;;#ASMSTART
	v_dot2_f32_f16 v71, v82, v86, v71
	;;#ASMEND
	;;#ASMSTART
	v_dot2_f32_f16 v71, v83, v87, v71
	;;#ASMEND
	;;#ASMSTART
	v_dot2_f32_f16 v71, v84, v88, v71
	;;#ASMEND
	s_wait_dscnt 0x1
	;;#ASMSTART
	v_dot2_f32_f16 v72, v81, v89, v72
	;;#ASMEND
	;;#ASMSTART
	v_dot2_f32_f16 v72, v82, v90, v72
	;;#ASMEND
	;;#ASMSTART
	v_dot2_f32_f16 v72, v83, v91, v72
	;;#ASMEND
	;;#ASMSTART
	v_dot2_f32_f16 v72, v84, v92, v72
	;;#ASMEND
	s_wait_dscnt 0x0
	;;#ASMSTART
	v_dot2_f32_f16 v73, v93, v85, v73
	;;#ASMEND
	;;#ASMSTART
	v_dot2_f32_f16 v73, v94, v86, v73
	;;#ASMEND
	;;#ASMSTART
	v_dot2_f32_f16 v73, v95, v87, v73
	;;#ASMEND
	;;#ASMSTART
	v_dot2_f32_f16 v73, v96, v88, v73
	;;#ASMEND
	;;#ASMSTART
	v_dot2_f32_f16 v74, v93, v89, v74
	;;#ASMEND
	;;#ASMSTART
	v_dot2_f32_f16 v74, v94, v90, v74
	;;#ASMEND
	;;#ASMSTART
	v_dot2_f32_f16 v74, v95, v91, v74
	;;#ASMEND
	;;#ASMSTART
	v_dot2_f32_f16 v74, v96, v92, v74
	;;#ASMEND
	ds_load_b128 v[81:84], v40 offset:48
	ds_load_b128 v[85:88], v31 offset:432
	ds_load_b128 v[89:92], v31 offset:1584
	ds_load_b128 v[93:96], v40 offset:4656
	s_wait_dscnt 0x2
	;;#ASMSTART
	v_dot2_f32_f16 v71, v81, v85, v71
	;;#ASMEND
	;;#ASMSTART
	v_dot2_f32_f16 v71, v82, v86, v71
	;;#ASMEND
	;;#ASMSTART
	v_dot2_f32_f16 v71, v83, v87, v71
	;;#ASMEND
	;;#ASMSTART
	v_dot2_f32_f16 v71, v84, v88, v71
	;;#ASMEND
	s_wait_dscnt 0x1
	;;#ASMSTART
	v_dot2_f32_f16 v72, v81, v89, v72
	;;#ASMEND
	;;#ASMSTART
	v_dot2_f32_f16 v72, v82, v90, v72
	;;#ASMEND
	;;#ASMSTART
	v_dot2_f32_f16 v72, v83, v91, v72
	;;#ASMEND
	;;#ASMSTART
	v_dot2_f32_f16 v72, v84, v92, v72
	;;#ASMEND
	s_wait_dscnt 0x0
	;;#ASMSTART
	v_dot2_f32_f16 v73, v93, v85, v73
	;;#ASMEND
	;;#ASMSTART
	v_dot2_f32_f16 v73, v94, v86, v73
	;;#ASMEND
	;;#ASMSTART
	v_dot2_f32_f16 v73, v95, v87, v73
	;;#ASMEND
	;;#ASMSTART
	v_dot2_f32_f16 v73, v96, v88, v73
	;;#ASMEND
	;;#ASMSTART
	v_dot2_f32_f16 v74, v93, v89, v74
	;;#ASMEND
	;;#ASMSTART
	v_dot2_f32_f16 v74, v94, v90, v74
	;;#ASMEND
	;;#ASMSTART
	v_dot2_f32_f16 v74, v95, v91, v74
	;;#ASMEND
	;;#ASMSTART
	v_dot2_f32_f16 v74, v96, v92, v74
	;;#ASMEND
	ds_load_b128 v[81:84], v40 offset:64
	ds_load_b128 v[85:88], v31 offset:448
	ds_load_b128 v[89:92], v31 offset:1600
	ds_load_b128 v[93:96], v40 offset:4672
	s_wait_dscnt 0x2
	;;#ASMSTART
	v_dot2_f32_f16 v71, v81, v85, v71
	;;#ASMEND
	;;#ASMSTART
	v_dot2_f32_f16 v71, v82, v86, v71
	;;#ASMEND
	;;#ASMSTART
	v_dot2_f32_f16 v71, v83, v87, v71
	;;#ASMEND
	;;#ASMSTART
	v_dot2_f32_f16 v71, v84, v88, v71
	;;#ASMEND
	s_wait_dscnt 0x1
	;;#ASMSTART
	v_dot2_f32_f16 v72, v81, v89, v72
	;;#ASMEND
	;;#ASMSTART
	v_dot2_f32_f16 v72, v82, v90, v72
	;;#ASMEND
	;;#ASMSTART
	v_dot2_f32_f16 v72, v83, v91, v72
	;;#ASMEND
	;;#ASMSTART
	v_dot2_f32_f16 v72, v84, v92, v72
	;;#ASMEND
	s_wait_dscnt 0x0
	;;#ASMSTART
	v_dot2_f32_f16 v73, v93, v85, v73
	;;#ASMEND
	;;#ASMSTART
	v_dot2_f32_f16 v73, v94, v86, v73
	;;#ASMEND
	;;#ASMSTART
	v_dot2_f32_f16 v73, v95, v87, v73
	;;#ASMEND
	;;#ASMSTART
	v_dot2_f32_f16 v73, v96, v88, v73
	;;#ASMEND
	;;#ASMSTART
	v_dot2_f32_f16 v74, v93, v89, v74
	;;#ASMEND
	;;#ASMSTART
	v_dot2_f32_f16 v74, v94, v90, v74
	;;#ASMEND
	;;#ASMSTART
	v_dot2_f32_f16 v74, v95, v91, v74
	;;#ASMEND
	;;#ASMSTART
	v_dot2_f32_f16 v74, v96, v92, v74
	;;#ASMEND
	ds_load_b128 v[81:84], v40 offset:80
	ds_load_b128 v[85:88], v31 offset:464
	ds_load_b128 v[89:92], v31 offset:1616
	ds_load_b128 v[93:96], v40 offset:4688
	s_wait_dscnt 0x2
	;;#ASMSTART
	v_dot2_f32_f16 v71, v81, v85, v71
	;;#ASMEND
	;;#ASMSTART
	v_dot2_f32_f16 v71, v82, v86, v71
	;;#ASMEND
	;;#ASMSTART
	v_dot2_f32_f16 v71, v83, v87, v71
	;;#ASMEND
	;;#ASMSTART
	v_dot2_f32_f16 v71, v84, v88, v71
	;;#ASMEND
	s_wait_dscnt 0x1
	;;#ASMSTART
	v_dot2_f32_f16 v72, v81, v89, v72
	;;#ASMEND
	;;#ASMSTART
	v_dot2_f32_f16 v72, v82, v90, v72
	;;#ASMEND
	;;#ASMSTART
	v_dot2_f32_f16 v72, v83, v91, v72
	;;#ASMEND
	;;#ASMSTART
	v_dot2_f32_f16 v72, v84, v92, v72
	;;#ASMEND
	s_wait_dscnt 0x0
	;;#ASMSTART
	v_dot2_f32_f16 v73, v93, v85, v73
	;;#ASMEND
	;;#ASMSTART
	v_dot2_f32_f16 v73, v94, v86, v73
	;;#ASMEND
	;;#ASMSTART
	v_dot2_f32_f16 v73, v95, v87, v73
	;;#ASMEND
	;;#ASMSTART
	v_dot2_f32_f16 v73, v96, v88, v73
	;;#ASMEND
	;;#ASMSTART
	v_dot2_f32_f16 v74, v93, v89, v74
	;;#ASMEND
	;;#ASMSTART
	v_dot2_f32_f16 v74, v94, v90, v74
	;;#ASMEND
	;;#ASMSTART
	v_dot2_f32_f16 v74, v95, v91, v74
	;;#ASMEND
	;;#ASMSTART
	v_dot2_f32_f16 v74, v96, v92, v74
	;;#ASMEND
	ds_load_b128 v[81:84], v40 offset:96
	ds_load_b128 v[85:88], v31 offset:480
	ds_load_b128 v[89:92], v31 offset:1632
	ds_load_b128 v[93:96], v40 offset:4704
	s_wait_dscnt 0x2
	;;#ASMSTART
	v_dot2_f32_f16 v71, v81, v85, v71
	;;#ASMEND
	;;#ASMSTART
	v_dot2_f32_f16 v71, v82, v86, v71
	;;#ASMEND
	;;#ASMSTART
	v_dot2_f32_f16 v71, v83, v87, v71
	;;#ASMEND
	;;#ASMSTART
	v_dot2_f32_f16 v71, v84, v88, v71
	;;#ASMEND
	s_wait_dscnt 0x1
	;;#ASMSTART
	v_dot2_f32_f16 v72, v81, v89, v72
	;;#ASMEND
	;;#ASMSTART
	v_dot2_f32_f16 v72, v82, v90, v72
	;;#ASMEND
	;;#ASMSTART
	v_dot2_f32_f16 v72, v83, v91, v72
	;;#ASMEND
	;;#ASMSTART
	v_dot2_f32_f16 v72, v84, v92, v72
	;;#ASMEND
	s_wait_dscnt 0x0
	;;#ASMSTART
	v_dot2_f32_f16 v73, v93, v85, v73
	;;#ASMEND
	;;#ASMSTART
	v_dot2_f32_f16 v73, v94, v86, v73
	;;#ASMEND
	;;#ASMSTART
	v_dot2_f32_f16 v73, v95, v87, v73
	;;#ASMEND
	;;#ASMSTART
	v_dot2_f32_f16 v73, v96, v88, v73
	;;#ASMEND
	;;#ASMSTART
	v_dot2_f32_f16 v74, v93, v89, v74
	;;#ASMEND
	;;#ASMSTART
	v_dot2_f32_f16 v74, v94, v90, v74
	;;#ASMEND
	;;#ASMSTART
	v_dot2_f32_f16 v74, v95, v91, v74
	;;#ASMEND
	;;#ASMSTART
	v_dot2_f32_f16 v74, v96, v92, v74
	;;#ASMEND
	ds_load_b128 v[81:84], v40 offset:112
	ds_load_b128 v[85:88], v31 offset:496
	ds_load_b128 v[89:92], v31 offset:1648
	;; [unrolled: 1-line block ×3, first 2 shown]
	s_wait_dscnt 0x2
	;;#ASMSTART
	v_dot2_f32_f16 v71, v81, v85, v71
	;;#ASMEND
	;;#ASMSTART
	v_dot2_f32_f16 v71, v82, v86, v71
	;;#ASMEND
	;;#ASMSTART
	v_dot2_f32_f16 v71, v83, v87, v71
	;;#ASMEND
	;;#ASMSTART
	v_dot2_f32_f16 v71, v84, v88, v71
	;;#ASMEND
	s_wait_dscnt 0x1
	;;#ASMSTART
	v_dot2_f32_f16 v72, v81, v89, v72
	;;#ASMEND
	;;#ASMSTART
	v_dot2_f32_f16 v72, v82, v90, v72
	;;#ASMEND
	;;#ASMSTART
	v_dot2_f32_f16 v72, v83, v91, v72
	;;#ASMEND
	;;#ASMSTART
	v_dot2_f32_f16 v72, v84, v92, v72
	;;#ASMEND
	;; [unrolled: 13-line block ×3, first 2 shown]
	;;#ASMSTART
	v_dot2_f32_f16 v74, v93, v89, v74
	;;#ASMEND
	;;#ASMSTART
	v_dot2_f32_f16 v74, v94, v90, v74
	;;#ASMEND
	;; [unrolled: 3-line block ×4, first 2 shown]
	s_wait_loadcnt 0x0
	s_barrier_signal -1
	s_barrier_wait -1
	global_inv scope:SCOPE_SE
	s_clause 0x1
	global_load_b128 v[81:84], v[25:26], off offset:512
	global_load_b128 v[85:88], v[27:28], off offset:512
	s_wait_loadcnt 0x1
	ds_store_b128 v38, v[81:84]
	s_wait_loadcnt 0x0
	ds_store_b128 v39, v[85:88]
	s_wait_dscnt 0x0
	s_barrier_signal -1
	s_barrier_wait -1
	global_inv scope:SCOPE_SE
	ds_load_b128 v[81:84], v40
	ds_load_b128 v[85:88], v31 offset:512
	ds_load_b128 v[89:92], v31 offset:1664
	ds_load_b128 v[93:96], v40 offset:4608
	s_wait_dscnt 0x2
	;;#ASMSTART
	v_dot2_f32_f16 v71, v81, v85, v71
	;;#ASMEND
	;;#ASMSTART
	v_dot2_f32_f16 v71, v82, v86, v71
	;;#ASMEND
	;;#ASMSTART
	v_dot2_f32_f16 v71, v83, v87, v71
	;;#ASMEND
	;;#ASMSTART
	v_dot2_f32_f16 v71, v84, v88, v71
	;;#ASMEND
	s_wait_dscnt 0x1
	;;#ASMSTART
	v_dot2_f32_f16 v72, v81, v89, v72
	;;#ASMEND
	;;#ASMSTART
	v_dot2_f32_f16 v72, v82, v90, v72
	;;#ASMEND
	;;#ASMSTART
	v_dot2_f32_f16 v72, v83, v91, v72
	;;#ASMEND
	;;#ASMSTART
	v_dot2_f32_f16 v72, v84, v92, v72
	;;#ASMEND
	s_wait_dscnt 0x0
	;;#ASMSTART
	v_dot2_f32_f16 v73, v93, v85, v73
	;;#ASMEND
	;;#ASMSTART
	v_dot2_f32_f16 v73, v94, v86, v73
	;;#ASMEND
	;;#ASMSTART
	v_dot2_f32_f16 v73, v95, v87, v73
	;;#ASMEND
	;;#ASMSTART
	v_dot2_f32_f16 v73, v96, v88, v73
	;;#ASMEND
	;;#ASMSTART
	v_dot2_f32_f16 v74, v93, v89, v74
	;;#ASMEND
	;;#ASMSTART
	v_dot2_f32_f16 v74, v94, v90, v74
	;;#ASMEND
	;;#ASMSTART
	v_dot2_f32_f16 v74, v95, v91, v74
	;;#ASMEND
	;;#ASMSTART
	v_dot2_f32_f16 v74, v96, v92, v74
	;;#ASMEND
	ds_load_b128 v[81:84], v40 offset:16
	ds_load_b128 v[85:88], v31 offset:528
	ds_load_b128 v[89:92], v31 offset:1680
	ds_load_b128 v[93:96], v40 offset:4624
	s_wait_dscnt 0x2
	;;#ASMSTART
	v_dot2_f32_f16 v71, v81, v85, v71
	;;#ASMEND
	;;#ASMSTART
	v_dot2_f32_f16 v71, v82, v86, v71
	;;#ASMEND
	;;#ASMSTART
	v_dot2_f32_f16 v71, v83, v87, v71
	;;#ASMEND
	;;#ASMSTART
	v_dot2_f32_f16 v71, v84, v88, v71
	;;#ASMEND
	s_wait_dscnt 0x1
	;;#ASMSTART
	v_dot2_f32_f16 v72, v81, v89, v72
	;;#ASMEND
	;;#ASMSTART
	v_dot2_f32_f16 v72, v82, v90, v72
	;;#ASMEND
	;;#ASMSTART
	v_dot2_f32_f16 v72, v83, v91, v72
	;;#ASMEND
	;;#ASMSTART
	v_dot2_f32_f16 v72, v84, v92, v72
	;;#ASMEND
	s_wait_dscnt 0x0
	;;#ASMSTART
	v_dot2_f32_f16 v73, v93, v85, v73
	;;#ASMEND
	;;#ASMSTART
	v_dot2_f32_f16 v73, v94, v86, v73
	;;#ASMEND
	;;#ASMSTART
	v_dot2_f32_f16 v73, v95, v87, v73
	;;#ASMEND
	;;#ASMSTART
	v_dot2_f32_f16 v73, v96, v88, v73
	;;#ASMEND
	;;#ASMSTART
	v_dot2_f32_f16 v74, v93, v89, v74
	;;#ASMEND
	;;#ASMSTART
	v_dot2_f32_f16 v74, v94, v90, v74
	;;#ASMEND
	;;#ASMSTART
	v_dot2_f32_f16 v74, v95, v91, v74
	;;#ASMEND
	;;#ASMSTART
	v_dot2_f32_f16 v74, v96, v92, v74
	;;#ASMEND
	ds_load_b128 v[81:84], v40 offset:32
	;; [unrolled: 55-line block ×7, first 2 shown]
	ds_load_b128 v[85:88], v31 offset:624
	ds_load_b128 v[89:92], v31 offset:1776
	;; [unrolled: 1-line block ×3, first 2 shown]
	s_wait_dscnt 0x2
	;;#ASMSTART
	v_dot2_f32_f16 v71, v81, v85, v71
	;;#ASMEND
	;;#ASMSTART
	v_dot2_f32_f16 v71, v82, v86, v71
	;;#ASMEND
	;;#ASMSTART
	v_dot2_f32_f16 v71, v83, v87, v71
	;;#ASMEND
	;;#ASMSTART
	v_dot2_f32_f16 v71, v84, v88, v71
	;;#ASMEND
	s_wait_dscnt 0x1
	;;#ASMSTART
	v_dot2_f32_f16 v72, v81, v89, v72
	;;#ASMEND
	;;#ASMSTART
	v_dot2_f32_f16 v72, v82, v90, v72
	;;#ASMEND
	;;#ASMSTART
	v_dot2_f32_f16 v72, v83, v91, v72
	;;#ASMEND
	;;#ASMSTART
	v_dot2_f32_f16 v72, v84, v92, v72
	;;#ASMEND
	;; [unrolled: 13-line block ×3, first 2 shown]
	;;#ASMSTART
	v_dot2_f32_f16 v74, v93, v89, v74
	;;#ASMEND
	;;#ASMSTART
	v_dot2_f32_f16 v74, v94, v90, v74
	;;#ASMEND
	;; [unrolled: 3-line block ×4, first 2 shown]
	s_wait_loadcnt 0x0
	s_barrier_signal -1
	s_barrier_wait -1
	global_inv scope:SCOPE_SE
	s_clause 0x1
	global_load_b128 v[81:84], v[25:26], off offset:640
	global_load_b128 v[85:88], v[27:28], off offset:640
	s_wait_loadcnt 0x1
	ds_store_b128 v38, v[81:84]
	s_wait_loadcnt 0x0
	ds_store_b128 v39, v[85:88]
	s_wait_dscnt 0x0
	s_barrier_signal -1
	s_barrier_wait -1
	global_inv scope:SCOPE_SE
	ds_load_b128 v[81:84], v40
	ds_load_b128 v[85:88], v31 offset:640
	ds_load_b128 v[89:92], v31 offset:1792
	ds_load_b128 v[93:96], v40 offset:4608
	s_wait_dscnt 0x2
	;;#ASMSTART
	v_dot2_f32_f16 v71, v81, v85, v71
	;;#ASMEND
	;;#ASMSTART
	v_dot2_f32_f16 v71, v82, v86, v71
	;;#ASMEND
	;;#ASMSTART
	v_dot2_f32_f16 v71, v83, v87, v71
	;;#ASMEND
	;;#ASMSTART
	v_dot2_f32_f16 v71, v84, v88, v71
	;;#ASMEND
	s_wait_dscnt 0x1
	;;#ASMSTART
	v_dot2_f32_f16 v72, v81, v89, v72
	;;#ASMEND
	;;#ASMSTART
	v_dot2_f32_f16 v72, v82, v90, v72
	;;#ASMEND
	;;#ASMSTART
	v_dot2_f32_f16 v72, v83, v91, v72
	;;#ASMEND
	;;#ASMSTART
	v_dot2_f32_f16 v72, v84, v92, v72
	;;#ASMEND
	s_wait_dscnt 0x0
	;;#ASMSTART
	v_dot2_f32_f16 v73, v93, v85, v73
	;;#ASMEND
	;;#ASMSTART
	v_dot2_f32_f16 v73, v94, v86, v73
	;;#ASMEND
	;;#ASMSTART
	v_dot2_f32_f16 v73, v95, v87, v73
	;;#ASMEND
	;;#ASMSTART
	v_dot2_f32_f16 v73, v96, v88, v73
	;;#ASMEND
	;;#ASMSTART
	v_dot2_f32_f16 v74, v93, v89, v74
	;;#ASMEND
	;;#ASMSTART
	v_dot2_f32_f16 v74, v94, v90, v74
	;;#ASMEND
	;;#ASMSTART
	v_dot2_f32_f16 v74, v95, v91, v74
	;;#ASMEND
	;;#ASMSTART
	v_dot2_f32_f16 v74, v96, v92, v74
	;;#ASMEND
	ds_load_b128 v[81:84], v40 offset:16
	ds_load_b128 v[85:88], v31 offset:656
	ds_load_b128 v[89:92], v31 offset:1808
	ds_load_b128 v[93:96], v40 offset:4624
	s_wait_dscnt 0x2
	;;#ASMSTART
	v_dot2_f32_f16 v71, v81, v85, v71
	;;#ASMEND
	;;#ASMSTART
	v_dot2_f32_f16 v71, v82, v86, v71
	;;#ASMEND
	;;#ASMSTART
	v_dot2_f32_f16 v71, v83, v87, v71
	;;#ASMEND
	;;#ASMSTART
	v_dot2_f32_f16 v71, v84, v88, v71
	;;#ASMEND
	s_wait_dscnt 0x1
	;;#ASMSTART
	v_dot2_f32_f16 v72, v81, v89, v72
	;;#ASMEND
	;;#ASMSTART
	v_dot2_f32_f16 v72, v82, v90, v72
	;;#ASMEND
	;;#ASMSTART
	v_dot2_f32_f16 v72, v83, v91, v72
	;;#ASMEND
	;;#ASMSTART
	v_dot2_f32_f16 v72, v84, v92, v72
	;;#ASMEND
	s_wait_dscnt 0x0
	;;#ASMSTART
	v_dot2_f32_f16 v73, v93, v85, v73
	;;#ASMEND
	;;#ASMSTART
	v_dot2_f32_f16 v73, v94, v86, v73
	;;#ASMEND
	;;#ASMSTART
	v_dot2_f32_f16 v73, v95, v87, v73
	;;#ASMEND
	;;#ASMSTART
	v_dot2_f32_f16 v73, v96, v88, v73
	;;#ASMEND
	;;#ASMSTART
	v_dot2_f32_f16 v74, v93, v89, v74
	;;#ASMEND
	;;#ASMSTART
	v_dot2_f32_f16 v74, v94, v90, v74
	;;#ASMEND
	;;#ASMSTART
	v_dot2_f32_f16 v74, v95, v91, v74
	;;#ASMEND
	;;#ASMSTART
	v_dot2_f32_f16 v74, v96, v92, v74
	;;#ASMEND
	ds_load_b128 v[81:84], v40 offset:32
	;; [unrolled: 55-line block ×7, first 2 shown]
	ds_load_b128 v[85:88], v31 offset:752
	ds_load_b128 v[89:92], v31 offset:1904
	;; [unrolled: 1-line block ×3, first 2 shown]
	s_wait_dscnt 0x2
	;;#ASMSTART
	v_dot2_f32_f16 v71, v81, v85, v71
	;;#ASMEND
	;;#ASMSTART
	v_dot2_f32_f16 v71, v82, v86, v71
	;;#ASMEND
	;;#ASMSTART
	v_dot2_f32_f16 v71, v83, v87, v71
	;;#ASMEND
	;;#ASMSTART
	v_dot2_f32_f16 v71, v84, v88, v71
	;;#ASMEND
	s_wait_dscnt 0x1
	;;#ASMSTART
	v_dot2_f32_f16 v72, v81, v89, v72
	;;#ASMEND
	;;#ASMSTART
	v_dot2_f32_f16 v72, v82, v90, v72
	;;#ASMEND
	;;#ASMSTART
	v_dot2_f32_f16 v72, v83, v91, v72
	;;#ASMEND
	;;#ASMSTART
	v_dot2_f32_f16 v72, v84, v92, v72
	;;#ASMEND
	;; [unrolled: 13-line block ×3, first 2 shown]
	;;#ASMSTART
	v_dot2_f32_f16 v74, v93, v89, v74
	;;#ASMEND
	;;#ASMSTART
	v_dot2_f32_f16 v74, v94, v90, v74
	;;#ASMEND
	;; [unrolled: 3-line block ×4, first 2 shown]
	s_wait_loadcnt 0x0
	s_barrier_signal -1
	s_barrier_wait -1
	global_inv scope:SCOPE_SE
	s_clause 0x1
	global_load_b128 v[81:84], v[25:26], off offset:768
	global_load_b128 v[85:88], v[27:28], off offset:768
	s_wait_loadcnt 0x1
	ds_store_b128 v38, v[81:84]
	s_wait_loadcnt 0x0
	ds_store_b128 v39, v[85:88]
	s_wait_dscnt 0x0
	s_barrier_signal -1
	s_barrier_wait -1
	global_inv scope:SCOPE_SE
	ds_load_b128 v[81:84], v40
	ds_load_b128 v[85:88], v31 offset:768
	ds_load_b128 v[89:92], v31 offset:1920
	ds_load_b128 v[93:96], v40 offset:4608
	s_wait_dscnt 0x2
	;;#ASMSTART
	v_dot2_f32_f16 v71, v81, v85, v71
	;;#ASMEND
	;;#ASMSTART
	v_dot2_f32_f16 v71, v82, v86, v71
	;;#ASMEND
	;;#ASMSTART
	v_dot2_f32_f16 v71, v83, v87, v71
	;;#ASMEND
	;;#ASMSTART
	v_dot2_f32_f16 v71, v84, v88, v71
	;;#ASMEND
	s_wait_dscnt 0x1
	;;#ASMSTART
	v_dot2_f32_f16 v72, v81, v89, v72
	;;#ASMEND
	;;#ASMSTART
	v_dot2_f32_f16 v72, v82, v90, v72
	;;#ASMEND
	;;#ASMSTART
	v_dot2_f32_f16 v72, v83, v91, v72
	;;#ASMEND
	;;#ASMSTART
	v_dot2_f32_f16 v72, v84, v92, v72
	;;#ASMEND
	s_wait_dscnt 0x0
	;;#ASMSTART
	v_dot2_f32_f16 v73, v93, v85, v73
	;;#ASMEND
	;;#ASMSTART
	v_dot2_f32_f16 v73, v94, v86, v73
	;;#ASMEND
	;;#ASMSTART
	v_dot2_f32_f16 v73, v95, v87, v73
	;;#ASMEND
	;;#ASMSTART
	v_dot2_f32_f16 v73, v96, v88, v73
	;;#ASMEND
	;;#ASMSTART
	v_dot2_f32_f16 v74, v93, v89, v74
	;;#ASMEND
	;;#ASMSTART
	v_dot2_f32_f16 v74, v94, v90, v74
	;;#ASMEND
	;;#ASMSTART
	v_dot2_f32_f16 v74, v95, v91, v74
	;;#ASMEND
	;;#ASMSTART
	v_dot2_f32_f16 v74, v96, v92, v74
	;;#ASMEND
	ds_load_b128 v[81:84], v40 offset:16
	ds_load_b128 v[85:88], v31 offset:784
	ds_load_b128 v[89:92], v31 offset:1936
	ds_load_b128 v[93:96], v40 offset:4624
	s_wait_dscnt 0x2
	;;#ASMSTART
	v_dot2_f32_f16 v71, v81, v85, v71
	;;#ASMEND
	;;#ASMSTART
	v_dot2_f32_f16 v71, v82, v86, v71
	;;#ASMEND
	;;#ASMSTART
	v_dot2_f32_f16 v71, v83, v87, v71
	;;#ASMEND
	;;#ASMSTART
	v_dot2_f32_f16 v71, v84, v88, v71
	;;#ASMEND
	s_wait_dscnt 0x1
	;;#ASMSTART
	v_dot2_f32_f16 v72, v81, v89, v72
	;;#ASMEND
	;;#ASMSTART
	v_dot2_f32_f16 v72, v82, v90, v72
	;;#ASMEND
	;;#ASMSTART
	v_dot2_f32_f16 v72, v83, v91, v72
	;;#ASMEND
	;;#ASMSTART
	v_dot2_f32_f16 v72, v84, v92, v72
	;;#ASMEND
	s_wait_dscnt 0x0
	;;#ASMSTART
	v_dot2_f32_f16 v73, v93, v85, v73
	;;#ASMEND
	;;#ASMSTART
	v_dot2_f32_f16 v73, v94, v86, v73
	;;#ASMEND
	;;#ASMSTART
	v_dot2_f32_f16 v73, v95, v87, v73
	;;#ASMEND
	;;#ASMSTART
	v_dot2_f32_f16 v73, v96, v88, v73
	;;#ASMEND
	;;#ASMSTART
	v_dot2_f32_f16 v74, v93, v89, v74
	;;#ASMEND
	;;#ASMSTART
	v_dot2_f32_f16 v74, v94, v90, v74
	;;#ASMEND
	;;#ASMSTART
	v_dot2_f32_f16 v74, v95, v91, v74
	;;#ASMEND
	;;#ASMSTART
	v_dot2_f32_f16 v74, v96, v92, v74
	;;#ASMEND
	ds_load_b128 v[81:84], v40 offset:32
	;; [unrolled: 55-line block ×7, first 2 shown]
	ds_load_b128 v[85:88], v31 offset:880
	ds_load_b128 v[89:92], v31 offset:2032
	;; [unrolled: 1-line block ×3, first 2 shown]
	s_wait_dscnt 0x2
	;;#ASMSTART
	v_dot2_f32_f16 v71, v81, v85, v71
	;;#ASMEND
	;;#ASMSTART
	v_dot2_f32_f16 v71, v82, v86, v71
	;;#ASMEND
	;;#ASMSTART
	v_dot2_f32_f16 v71, v83, v87, v71
	;;#ASMEND
	;;#ASMSTART
	v_dot2_f32_f16 v71, v84, v88, v71
	;;#ASMEND
	s_wait_dscnt 0x1
	;;#ASMSTART
	v_dot2_f32_f16 v72, v81, v89, v72
	;;#ASMEND
	;;#ASMSTART
	v_dot2_f32_f16 v72, v82, v90, v72
	;;#ASMEND
	;;#ASMSTART
	v_dot2_f32_f16 v72, v83, v91, v72
	;;#ASMEND
	;;#ASMSTART
	v_dot2_f32_f16 v72, v84, v92, v72
	;;#ASMEND
	;; [unrolled: 13-line block ×3, first 2 shown]
	;;#ASMSTART
	v_dot2_f32_f16 v74, v93, v89, v74
	;;#ASMEND
	;;#ASMSTART
	v_dot2_f32_f16 v74, v94, v90, v74
	;;#ASMEND
	;; [unrolled: 3-line block ×4, first 2 shown]
	s_wait_loadcnt 0x0
	s_barrier_signal -1
	s_barrier_wait -1
	global_inv scope:SCOPE_SE
	s_clause 0x1
	global_load_b128 v[81:84], v[25:26], off offset:896
	global_load_b128 v[85:88], v[27:28], off offset:896
	s_wait_loadcnt 0x1
	ds_store_b128 v38, v[81:84]
	s_wait_loadcnt 0x0
	ds_store_b128 v39, v[85:88]
	s_wait_dscnt 0x0
	s_barrier_signal -1
	s_barrier_wait -1
	global_inv scope:SCOPE_SE
	ds_load_b128 v[81:84], v40
	ds_load_b128 v[85:88], v31 offset:896
	ds_load_b128 v[89:92], v31 offset:2048
	ds_load_b128 v[93:96], v40 offset:4608
	s_wait_dscnt 0x2
	;;#ASMSTART
	v_dot2_f32_f16 v71, v81, v85, v71
	;;#ASMEND
	;;#ASMSTART
	v_dot2_f32_f16 v71, v82, v86, v71
	;;#ASMEND
	;;#ASMSTART
	v_dot2_f32_f16 v71, v83, v87, v71
	;;#ASMEND
	;;#ASMSTART
	v_dot2_f32_f16 v71, v84, v88, v71
	;;#ASMEND
	s_wait_dscnt 0x1
	;;#ASMSTART
	v_dot2_f32_f16 v72, v81, v89, v72
	;;#ASMEND
	;;#ASMSTART
	v_dot2_f32_f16 v72, v82, v90, v72
	;;#ASMEND
	;;#ASMSTART
	v_dot2_f32_f16 v72, v83, v91, v72
	;;#ASMEND
	;;#ASMSTART
	v_dot2_f32_f16 v72, v84, v92, v72
	;;#ASMEND
	s_wait_dscnt 0x0
	;;#ASMSTART
	v_dot2_f32_f16 v73, v93, v85, v73
	;;#ASMEND
	;;#ASMSTART
	v_dot2_f32_f16 v73, v94, v86, v73
	;;#ASMEND
	;;#ASMSTART
	v_dot2_f32_f16 v73, v95, v87, v73
	;;#ASMEND
	;;#ASMSTART
	v_dot2_f32_f16 v73, v96, v88, v73
	;;#ASMEND
	;;#ASMSTART
	v_dot2_f32_f16 v74, v93, v89, v74
	;;#ASMEND
	;;#ASMSTART
	v_dot2_f32_f16 v74, v94, v90, v74
	;;#ASMEND
	;;#ASMSTART
	v_dot2_f32_f16 v74, v95, v91, v74
	;;#ASMEND
	;;#ASMSTART
	v_dot2_f32_f16 v74, v96, v92, v74
	;;#ASMEND
	ds_load_b128 v[81:84], v40 offset:16
	ds_load_b128 v[85:88], v31 offset:912
	ds_load_b128 v[89:92], v31 offset:2064
	ds_load_b128 v[93:96], v40 offset:4624
	s_wait_dscnt 0x2
	;;#ASMSTART
	v_dot2_f32_f16 v71, v81, v85, v71
	;;#ASMEND
	;;#ASMSTART
	v_dot2_f32_f16 v71, v82, v86, v71
	;;#ASMEND
	;;#ASMSTART
	v_dot2_f32_f16 v71, v83, v87, v71
	;;#ASMEND
	;;#ASMSTART
	v_dot2_f32_f16 v71, v84, v88, v71
	;;#ASMEND
	s_wait_dscnt 0x1
	;;#ASMSTART
	v_dot2_f32_f16 v72, v81, v89, v72
	;;#ASMEND
	;;#ASMSTART
	v_dot2_f32_f16 v72, v82, v90, v72
	;;#ASMEND
	;;#ASMSTART
	v_dot2_f32_f16 v72, v83, v91, v72
	;;#ASMEND
	;;#ASMSTART
	v_dot2_f32_f16 v72, v84, v92, v72
	;;#ASMEND
	s_wait_dscnt 0x0
	;;#ASMSTART
	v_dot2_f32_f16 v73, v93, v85, v73
	;;#ASMEND
	;;#ASMSTART
	v_dot2_f32_f16 v73, v94, v86, v73
	;;#ASMEND
	;;#ASMSTART
	v_dot2_f32_f16 v73, v95, v87, v73
	;;#ASMEND
	;;#ASMSTART
	v_dot2_f32_f16 v73, v96, v88, v73
	;;#ASMEND
	;;#ASMSTART
	v_dot2_f32_f16 v74, v93, v89, v74
	;;#ASMEND
	;;#ASMSTART
	v_dot2_f32_f16 v74, v94, v90, v74
	;;#ASMEND
	;;#ASMSTART
	v_dot2_f32_f16 v74, v95, v91, v74
	;;#ASMEND
	;;#ASMSTART
	v_dot2_f32_f16 v74, v96, v92, v74
	;;#ASMEND
	ds_load_b128 v[81:84], v40 offset:32
	;; [unrolled: 55-line block ×7, first 2 shown]
	ds_load_b128 v[85:88], v31 offset:1008
	ds_load_b128 v[89:92], v31 offset:2160
	;; [unrolled: 1-line block ×3, first 2 shown]
	s_wait_dscnt 0x2
	;;#ASMSTART
	v_dot2_f32_f16 v71, v81, v85, v71
	;;#ASMEND
	;;#ASMSTART
	v_dot2_f32_f16 v71, v82, v86, v71
	;;#ASMEND
	;;#ASMSTART
	v_dot2_f32_f16 v71, v83, v87, v71
	;;#ASMEND
	;;#ASMSTART
	v_dot2_f32_f16 v71, v84, v88, v71
	;;#ASMEND
	s_wait_dscnt 0x1
	;;#ASMSTART
	v_dot2_f32_f16 v72, v81, v89, v72
	;;#ASMEND
	;;#ASMSTART
	v_dot2_f32_f16 v72, v82, v90, v72
	;;#ASMEND
	;;#ASMSTART
	v_dot2_f32_f16 v72, v83, v91, v72
	;;#ASMEND
	;;#ASMSTART
	v_dot2_f32_f16 v72, v84, v92, v72
	;;#ASMEND
	;; [unrolled: 13-line block ×3, first 2 shown]
	;;#ASMSTART
	v_dot2_f32_f16 v74, v93, v89, v74
	;;#ASMEND
	;;#ASMSTART
	v_dot2_f32_f16 v74, v94, v90, v74
	;;#ASMEND
	;; [unrolled: 3-line block ×4, first 2 shown]
	s_wait_loadcnt 0x0
	s_barrier_signal -1
	s_barrier_wait -1
	global_inv scope:SCOPE_SE
	s_clause 0x1
	global_load_b128 v[81:84], v[25:26], off offset:1024
	global_load_b128 v[25:28], v[27:28], off offset:1024
	s_wait_loadcnt 0x1
	ds_store_b128 v38, v[81:84]
	s_wait_loadcnt 0x0
	ds_store_b128 v39, v[25:28]
	s_wait_dscnt 0x0
	s_barrier_signal -1
	s_barrier_wait -1
	global_inv scope:SCOPE_SE
	ds_load_b128 v[25:28], v40
	ds_load_b128 v[81:84], v31 offset:1024
	ds_load_b128 v[85:88], v31 offset:2176
	ds_load_b128 v[89:92], v40 offset:4608
	s_wait_dscnt 0x2
	;;#ASMSTART
	v_dot2_f32_f16 v71, v25, v81, v71
	;;#ASMEND
	;;#ASMSTART
	v_dot2_f32_f16 v71, v26, v82, v71
	;;#ASMEND
	;;#ASMSTART
	v_dot2_f32_f16 v71, v27, v83, v71
	;;#ASMEND
	;;#ASMSTART
	v_dot2_f32_f16 v71, v28, v84, v71
	;;#ASMEND
	s_wait_dscnt 0x1
	;;#ASMSTART
	v_dot2_f32_f16 v72, v25, v85, v72
	;;#ASMEND
	;;#ASMSTART
	v_dot2_f32_f16 v72, v26, v86, v72
	;;#ASMEND
	;;#ASMSTART
	v_dot2_f32_f16 v72, v27, v87, v72
	;;#ASMEND
	;;#ASMSTART
	v_dot2_f32_f16 v72, v28, v88, v72
	;;#ASMEND
	s_wait_dscnt 0x0
	;;#ASMSTART
	v_dot2_f32_f16 v73, v89, v81, v73
	;;#ASMEND
	;;#ASMSTART
	v_dot2_f32_f16 v73, v90, v82, v73
	;;#ASMEND
	;;#ASMSTART
	v_dot2_f32_f16 v73, v91, v83, v73
	;;#ASMEND
	;;#ASMSTART
	v_dot2_f32_f16 v73, v92, v84, v73
	;;#ASMEND
	;;#ASMSTART
	v_dot2_f32_f16 v74, v89, v85, v74
	;;#ASMEND
	;;#ASMSTART
	v_dot2_f32_f16 v74, v90, v86, v74
	;;#ASMEND
	;;#ASMSTART
	v_dot2_f32_f16 v74, v91, v87, v74
	;;#ASMEND
	;;#ASMSTART
	v_dot2_f32_f16 v74, v92, v88, v74
	;;#ASMEND
	ds_load_b128 v[25:28], v40 offset:16
	ds_load_b128 v[81:84], v31 offset:1040
	ds_load_b128 v[85:88], v31 offset:2192
	ds_load_b128 v[89:92], v40 offset:4624
	s_wait_dscnt 0x2
	;;#ASMSTART
	v_dot2_f32_f16 v71, v25, v81, v71
	;;#ASMEND
	;;#ASMSTART
	v_dot2_f32_f16 v71, v26, v82, v71
	;;#ASMEND
	;;#ASMSTART
	v_dot2_f32_f16 v71, v27, v83, v71
	;;#ASMEND
	;;#ASMSTART
	v_dot2_f32_f16 v71, v28, v84, v71
	;;#ASMEND
	s_wait_dscnt 0x1
	;;#ASMSTART
	v_dot2_f32_f16 v72, v25, v85, v72
	;;#ASMEND
	;;#ASMSTART
	v_dot2_f32_f16 v72, v26, v86, v72
	;;#ASMEND
	;;#ASMSTART
	v_dot2_f32_f16 v72, v27, v87, v72
	;;#ASMEND
	;;#ASMSTART
	v_dot2_f32_f16 v72, v28, v88, v72
	;;#ASMEND
	s_wait_dscnt 0x0
	;;#ASMSTART
	v_dot2_f32_f16 v73, v89, v81, v73
	;;#ASMEND
	;;#ASMSTART
	v_dot2_f32_f16 v73, v90, v82, v73
	;;#ASMEND
	;;#ASMSTART
	v_dot2_f32_f16 v73, v91, v83, v73
	;;#ASMEND
	;;#ASMSTART
	v_dot2_f32_f16 v73, v92, v84, v73
	;;#ASMEND
	;;#ASMSTART
	v_dot2_f32_f16 v74, v89, v85, v74
	;;#ASMEND
	;;#ASMSTART
	v_dot2_f32_f16 v74, v90, v86, v74
	;;#ASMEND
	;;#ASMSTART
	v_dot2_f32_f16 v74, v91, v87, v74
	;;#ASMEND
	;;#ASMSTART
	v_dot2_f32_f16 v74, v92, v88, v74
	;;#ASMEND
	ds_load_b128 v[25:28], v40 offset:32
	;; [unrolled: 55-line block ×7, first 2 shown]
	ds_load_b128 v[81:84], v31 offset:1136
	ds_load_b128 v[85:88], v31 offset:2288
	;; [unrolled: 1-line block ×3, first 2 shown]
	s_wait_dscnt 0x2
	;;#ASMSTART
	v_dot2_f32_f16 v71, v25, v81, v71
	;;#ASMEND
	;;#ASMSTART
	v_dot2_f32_f16 v71, v26, v82, v71
	;;#ASMEND
	;;#ASMSTART
	v_dot2_f32_f16 v71, v27, v83, v71
	;;#ASMEND
	;;#ASMSTART
	v_dot2_f32_f16 v71, v28, v84, v71
	;;#ASMEND
	s_wait_dscnt 0x1
	;;#ASMSTART
	v_dot2_f32_f16 v72, v25, v85, v72
	;;#ASMEND
	;;#ASMSTART
	v_dot2_f32_f16 v72, v26, v86, v72
	;;#ASMEND
	;;#ASMSTART
	v_dot2_f32_f16 v72, v27, v87, v72
	;;#ASMEND
	;;#ASMSTART
	v_dot2_f32_f16 v72, v28, v88, v72
	;;#ASMEND
	;; [unrolled: 13-line block ×3, first 2 shown]
	;;#ASMSTART
	v_dot2_f32_f16 v74, v89, v85, v74
	;;#ASMEND
	;;#ASMSTART
	v_dot2_f32_f16 v74, v90, v86, v74
	;;#ASMEND
	;; [unrolled: 3-line block ×4, first 2 shown]
	s_clause 0x1
	global_load_u16 v85, v[23:24], off
	global_load_u16 v23, v[23:24], off offset:64
	s_wait_loadcnt 0x0
	s_barrier_signal -1
	s_barrier_wait -1
	global_inv scope:SCOPE_SE
	s_clause 0x1
	global_load_b128 v[25:28], v[11:12], off
	global_load_b128 v[81:84], v[11:12], off offset:512
	v_cvt_f32_f16_e32 v11, v85
	v_cvt_f32_f16_e32 v12, v23
	s_delay_alu instid0(VALU_DEP_1) | instskip(SKIP_1) | instid1(VALU_DEP_2)
	v_dual_add_f32 v23, v71, v11 :: v_dual_add_f32 v24, v73, v12
	v_dual_add_f32 v71, v72, v11 :: v_dual_add_f32 v72, v74, v12
	;; [unrolled: 1-line block ×3, first 2 shown]
	s_delay_alu instid0(VALU_DEP_2) | instskip(NEXT) | instid1(VALU_DEP_2)
	v_dual_add_f32 v73, 0x40051340, v71 :: v_dual_add_f32 v74, 0x40051340, v72
	v_max3_num_f32 v11, v70, v11, v12
	s_delay_alu instid0(VALU_DEP_2) | instskip(SKIP_4) | instid1(VALU_DEP_1)
	v_max3_num_f32 v12, v69, v73, v74
	ds_bpermute_b32 v73, v80, v11
	ds_bpermute_b32 v74, v80, v12
	s_wait_dscnt 0x0
	v_dual_max_num_f32 v73, v73, v73 :: v_dual_max_num_f32 v74, v74, v74
	v_max_num_f32_e32 v11, v11, v73
	ds_bpermute_b32 v73, v79, v11
	s_wait_dscnt 0x0
	v_dual_max_num_f32 v12, v12, v74 :: v_dual_max_num_f32 v73, v73, v73
	ds_bpermute_b32 v74, v79, v12
	v_max_num_f32_e32 v11, v11, v73
	ds_bpermute_b32 v73, v78, v11
	s_wait_dscnt 0x1
	v_max_num_f32_e32 v74, v74, v74
	s_wait_dscnt 0x0
	s_delay_alu instid0(VALU_DEP_1)
	v_dual_max_num_f32 v12, v12, v74 :: v_dual_max_num_f32 v73, v73, v73
	ds_bpermute_b32 v74, v78, v12
	v_max_num_f32_e32 v11, v11, v73
	ds_bpermute_b32 v73, v77, v11
	s_wait_dscnt 0x1
	v_max_num_f32_e32 v74, v74, v74
	s_wait_dscnt 0x0
	s_delay_alu instid0(VALU_DEP_1)
	v_dual_max_num_f32 v12, v12, v74 :: v_dual_max_num_f32 v73, v73, v73
	ds_bpermute_b32 v74, v77, v12
	v_max_num_f32_e32 v11, v11, v73
	ds_bpermute_b32 v73, v76, v11
	s_wait_dscnt 0x1
	v_max_num_f32_e32 v74, v74, v74
	s_wait_dscnt 0x0
	s_delay_alu instid0(VALU_DEP_1) | instskip(SKIP_2) | instid1(VALU_DEP_1)
	v_dual_max_num_f32 v12, v12, v74 :: v_dual_max_num_f32 v73, v73, v73
	ds_bpermute_b32 v74, v76, v12
	v_max_num_f32_e32 v11, v11, v73
	v_sub_f32_e32 v23, v23, v11
	s_delay_alu instid0(VALU_DEP_1) | instskip(SKIP_1) | instid1(VALU_DEP_2)
	v_mul_f32_e32 v73, 0x3fb8aa3b, v23
	v_cmp_ngt_f32_e64 s6, 0xc2ce8ed0, v23
	v_fma_f32 v80, 0x3fb8aa3b, v23, -v73
	s_wait_dscnt 0x0
	v_max_num_f32_e32 v74, v74, v74
	v_rndne_f32_e32 v85, v73
	s_delay_alu instid0(VALU_DEP_2) | instskip(NEXT) | instid1(VALU_DEP_2)
	v_max_num_f32_e32 v12, v12, v74
	v_dual_sub_f32 v24, v24, v11 :: v_dual_sub_f32 v73, v73, v85
	v_sub_f32_e32 v70, v70, v11
	v_cvt_i32_f32_e32 v85, v85
	s_delay_alu instid0(VALU_DEP_4) | instskip(NEXT) | instid1(VALU_DEP_4)
	v_sub_f32_e32 v71, v71, v12
	v_mul_f32_e32 v74, 0x3fb8aa3b, v24
	v_sub_f32_e32 v72, v72, v12
	v_dual_sub_f32 v69, v69, v12 :: v_dual_mul_f32 v76, 0x3fb8aa3b, v70
	s_delay_alu instid0(VALU_DEP_4) | instskip(NEXT) | instid1(VALU_DEP_4)
	v_mul_f32_e32 v77, 0x3fb8aa3b, v71
	v_fma_f32 v86, 0x3fb8aa3b, v24, -v74
	v_rndne_f32_e32 v87, v74
	s_delay_alu instid0(VALU_DEP_4) | instskip(NEXT) | instid1(VALU_DEP_4)
	v_dual_mul_f32 v78, 0x3fb8aa3b, v72 :: v_dual_mul_f32 v79, 0x3fb8aa3b, v69
	v_fma_f32 v90, 0x3fb8aa3b, v71, -v77
	v_rndne_f32_e32 v91, v77
	v_fmac_f32_e32 v86, 0x32a5705f, v24
	v_fma_f32 v88, 0x3fb8aa3b, v70, -v76
	v_rndne_f32_e32 v89, v76
	v_fmac_f32_e32 v90, 0x32a5705f, v71
	v_sub_f32_e32 v77, v77, v91
	v_fmac_f32_e32 v80, 0x32a5705f, v23
	v_fma_f32 v92, 0x3fb8aa3b, v72, -v78
	v_rndne_f32_e32 v93, v78
	v_fma_f32 v94, 0x3fb8aa3b, v69, -v79
	v_dual_add_f32 v77, v77, v90 :: v_dual_sub_f32 v74, v74, v87
	v_add_f32_e32 v73, v73, v80
	v_cvt_i32_f32_e32 v87, v87
	v_rndne_f32_e32 v95, v79
	v_cmp_ngt_f32_e32 vcc_lo, 0xc2ce8ed0, v24
	v_add_f32_e32 v74, v74, v86
	v_fmac_f32_e32 v88, 0x32a5705f, v70
	v_fmac_f32_e32 v92, 0x32a5705f, v72
	v_dual_fmac_f32 v94, 0x32a5705f, v69 :: v_dual_sub_f32 v79, v79, v95
	s_delay_alu instid0(VALU_DEP_4)
	v_exp_f32_e32 v74, v74
	v_sub_f32_e32 v76, v76, v89
	v_exp_f32_e32 v73, v73
	v_exp_f32_e32 v77, v77
	v_add_f32_e32 v79, v79, v94
	v_cvt_i32_f32_e32 v89, v89
	v_add_f32_e32 v76, v76, v88
	v_cvt_i32_f32_e32 v91, v91
	v_cvt_i32_f32_e32 v95, v95
	v_exp_f32_e32 v79, v79
	v_ldexp_f32 v74, v74, v87
	v_exp_f32_e32 v76, v76
	v_ldexp_f32 v73, v73, v85
	v_cmp_ngt_f32_e64 s2, 0xc2ce8ed0, v70
	v_ldexp_f32 v77, v77, v91
	s_wait_alu 0xfffd
	v_cndmask_b32_e32 v74, 0, v74, vcc_lo
	v_cmp_nlt_f32_e32 vcc_lo, 0x42b17218, v24
	v_sub_f32_e32 v78, v78, v93
	v_cvt_i32_f32_e32 v93, v93
	v_cmp_ngt_f32_e64 s3, 0xc2ce8ed0, v71
	v_cmp_ngt_f32_e64 s4, 0xc2ce8ed0, v72
	v_ldexp_f32 v76, v76, v89
	v_add_f32_e32 v78, v78, v92
	v_ldexp_f32 v79, v79, v95
	v_cmp_ngt_f32_e64 s5, 0xc2ce8ed0, v69
	s_wait_alu 0xf1ff
	v_cndmask_b32_e64 v73, 0, v73, s6
	v_cndmask_b32_e64 v24, 0, v76, s2
	v_exp_f32_e32 v78, v78
	v_cmp_nlt_f32_e64 s2, 0x42b17218, v70
	v_cndmask_b32_e64 v70, 0, v77, s3
	v_cmp_nlt_f32_e64 s3, 0x42b17218, v71
	v_cmp_nlt_f32_e64 s6, 0x42b17218, v23
	s_wait_alu 0xf1ff
	s_delay_alu instid0(VALU_DEP_2) | instskip(NEXT) | instid1(VALU_DEP_2)
	v_cndmask_b32_e64 v70, 0x7f800000, v70, s3
	v_cndmask_b32_e64 v23, 0x7f800000, v73, s6
	s_delay_alu instid0(TRANS32_DEP_1) | instskip(SKIP_1) | instid1(VALU_DEP_2)
	v_ldexp_f32 v78, v78, v93
	v_cndmask_b32_e64 v73, 0x7f800000, v24, s2
	v_cndmask_b32_e64 v71, 0, v78, s4
	v_cmp_nlt_f32_e64 s4, 0x42b17218, v72
	v_cndmask_b32_e64 v72, 0, v79, s5
	v_cmp_nlt_f32_e64 s5, 0x42b17218, v69
	s_wait_alu 0xfffd
	v_cndmask_b32_e32 v69, 0x7f800000, v74, vcc_lo
	v_cvt_f16_f32_e32 v74, v23
	s_wait_alu 0xf1ff
	v_cndmask_b32_e64 v71, 0x7f800000, v71, s4
	v_cvt_f16_f32_e32 v77, v73
	v_cndmask_b32_e64 v72, 0x7f800000, v72, s5
	v_add_f32_e32 v24, v23, v69
	v_cvt_f16_f32_e32 v23, v69
	v_cvt_f16_f32_e32 v69, v70
	;; [unrolled: 1-line block ×3, first 2 shown]
	v_add_f32_e32 v70, v70, v71
	v_cvt_f16_f32_e32 v71, v72
	v_fmac_f32_e32 v24, v68, v73
	v_pack_b32_f16 v69, v74, v69
	v_pack_b32_f16 v74, v23, v76
	v_and_b32_e32 v73, 0xffff, v77
	v_dual_mov_b32 v23, v70 :: v_dual_and_b32 v148, 0xffff, v71
	ds_store_2addr_b32 v48, v69, v74 offset1:32
	s_wait_loadcnt 0x1
	ds_store_b128 v42, v[25:28]
	s_wait_loadcnt 0x0
	ds_store_b128 v43, v[81:84]
	s_wait_dscnt 0x0
	s_barrier_signal -1
	s_barrier_wait -1
	global_inv scope:SCOPE_SE
	ds_load_2addr_b64 v[25:28], v44 offset1:32
	ds_load_2addr_b64 v[68:71], v44 offset0:64 offset1:96
	ds_load_b128 v[76:79], v41
	ds_load_b128 v[80:83], v41 offset:16
	ds_load_2addr_b64 v[84:87], v44 offset0:128 offset1:160
	ds_load_2addr_b64 v[88:91], v44 offset0:192 offset1:224
	ds_load_2addr_b64 v[92:95], v49 offset1:32
	ds_load_2addr_b64 v[96:99], v49 offset0:64 offset1:96
	ds_load_2addr_b64 v[100:103], v49 offset0:128 offset1:160
	ds_load_2addr_b64 v[104:107], v49 offset0:192 offset1:224
	ds_load_2addr_b64 v[108:111], v50 offset1:32
	ds_load_2addr_b64 v[112:115], v50 offset0:64 offset1:96
	;; [unrolled: 4-line block ×3, first 2 shown]
	ds_load_2addr_b64 v[132:135], v51 offset0:128 offset1:160
	ds_load_2addr_b64 v[136:139], v51 offset0:192 offset1:224
	s_wait_loadcnt_dscnt 0x0
	s_barrier_signal -1
	s_barrier_wait -1
	global_inv scope:SCOPE_SE
	s_clause 0x1
	global_load_b128 v[140:143], v[21:22], off
	global_load_b128 v[144:147], v[21:22], off offset:512
	v_mul_u32_u24_e32 v21, 0x10001, v73
	v_fmac_f32_e32 v23, v75, v72
	v_lshrrev_b32_e32 v72, 16, v76
	v_and_b32_e32 v73, 0xffff, v76
	v_mul_u32_u24_e32 v22, 0x10001, v148
	v_pk_mul_f16 v67, v67, v21
	v_pk_mul_f16 v65, v65, v21
	v_mul_u32_u24_e32 v72, 0x10001, v72
	v_mul_u32_u24_e32 v73, 0x10001, v73
	v_pk_mul_f16 v66, v66, v21
	v_pk_mul_f16 v62, v62, v21
	;; [unrolled: 1-line block ×12, first 2 shown]
	v_lshrrev_b32_e32 v74, 16, v77
	v_and_b32_e32 v75, 0xffff, v77
	v_pk_mul_f16 v152, v25, v73
	v_pk_mul_f16 v25, v25, v72
	v_lshrrev_b32_e32 v76, 16, v78
	v_and_b32_e32 v77, 0xffff, v78
	v_mul_u32_u24_e32 v75, 0x10001, v75
	v_mul_u32_u24_e32 v74, 0x10001, v74
	v_pk_fma_f16 v67, v26, v73, v67
	v_pk_fma_f16 v26, v26, v72, v59
	v_pk_fma_f16 v59, v27, v73, v65
	v_pk_fma_f16 v27, v27, v72, v57
	v_pk_fma_f16 v57, v28, v73, v66
	v_pk_fma_f16 v28, v28, v72, v58
	v_pk_fma_f16 v58, v68, v73, v62
	v_pk_fma_f16 v54, v68, v72, v54
	v_pk_fma_f16 v62, v69, v73, v64
	v_pk_fma_f16 v56, v69, v72, v56
	v_pk_fma_f16 v60, v70, v73, v60
	v_pk_fma_f16 v53, v70, v72, v53
	v_pk_fma_f16 v61, v71, v73, v61
	v_pk_fma_f16 v52, v71, v72, v52
	v_pk_fma_f16 v21, v63, v21, v152
	v_pk_fma_f16 v22, v55, v22, v25
	v_lshrrev_b32_e32 v78, 16, v79
	v_and_b32_e32 v79, 0xffff, v79
	v_mul_u32_u24_e32 v77, 0x10001, v77
	v_mul_u32_u24_e32 v76, 0x10001, v76
	v_pk_fma_f16 v25, v85, v75, v67
	v_pk_fma_f16 v26, v85, v74, v26
	v_pk_fma_f16 v55, v86, v75, v59
	v_pk_fma_f16 v27, v86, v74, v27
	v_pk_fma_f16 v57, v87, v75, v57
	v_pk_fma_f16 v28, v87, v74, v28
	v_pk_fma_f16 v58, v88, v75, v58
	v_pk_fma_f16 v54, v88, v74, v54
	v_pk_fma_f16 v59, v89, v75, v62
	v_pk_fma_f16 v56, v89, v74, v56
	v_pk_fma_f16 v60, v90, v75, v60
	v_pk_fma_f16 v53, v90, v74, v53
	v_pk_fma_f16 v61, v91, v75, v61
	v_pk_fma_f16 v52, v91, v74, v52
	v_pk_fma_f16 v21, v84, v75, v21
	v_pk_fma_f16 v22, v84, v74, v22
	;; [unrolled: 20-line block ×6, first 2 shown]
	v_mul_u32_u24_e32 v83, 0x10001, v83
	v_mul_u32_u24_e32 v151, 0x10001, v151
	v_pk_fma_f16 v25, v125, v82, v25
	v_pk_fma_f16 v26, v125, v150, v26
	v_pk_fma_f16 v55, v126, v82, v55
	v_pk_fma_f16 v27, v126, v150, v27
	v_pk_fma_f16 v57, v127, v82, v57
	v_pk_fma_f16 v28, v127, v150, v28
	v_pk_fma_f16 v58, v128, v82, v58
	v_pk_fma_f16 v54, v128, v150, v54
	v_pk_fma_f16 v59, v129, v82, v59
	v_pk_fma_f16 v56, v129, v150, v56
	v_pk_fma_f16 v60, v130, v82, v60
	v_pk_fma_f16 v53, v130, v150, v53
	v_pk_fma_f16 v61, v131, v82, v61
	v_pk_fma_f16 v52, v131, v150, v52
	v_pk_fma_f16 v21, v124, v82, v21
	v_pk_fma_f16 v22, v124, v150, v22
	v_pk_fma_f16 v124, v133, v83, v25
	v_pk_fma_f16 v125, v133, v151, v26
	v_pk_fma_f16 v126, v134, v83, v55
	v_pk_fma_f16 v127, v134, v151, v27
	v_pk_fma_f16 v128, v135, v83, v57
	v_pk_fma_f16 v129, v135, v151, v28
	v_pk_fma_f16 v130, v136, v83, v58
	v_pk_fma_f16 v131, v136, v151, v54
	v_pk_fma_f16 v133, v137, v83, v59
	v_pk_fma_f16 v134, v137, v151, v56
	v_pk_fma_f16 v135, v138, v83, v60
	v_pk_fma_f16 v136, v138, v151, v53
	v_pk_fma_f16 v137, v139, v83, v61
	v_pk_fma_f16 v138, v139, v151, v52
	v_pk_fma_f16 v139, v132, v83, v21
	v_pk_fma_f16 v132, v132, v151, v22
	s_wait_loadcnt 0x1
	ds_store_b128 v42, v[140:143]
	s_wait_loadcnt 0x0
	ds_store_b128 v43, v[144:147]
	s_wait_dscnt 0x0
	s_barrier_signal -1
	s_barrier_wait -1
	global_inv scope:SCOPE_SE
	ds_load_2addr_b64 v[25:28], v44 offset1:32
	ds_load_2addr_b64 v[52:55], v44 offset0:64 offset1:96
	ds_load_b128 v[56:59], v41 offset:32
	ds_load_b128 v[60:63], v41 offset:48
	ds_load_2addr_b64 v[64:67], v44 offset0:128 offset1:160
	ds_load_2addr_b64 v[68:71], v44 offset0:192 offset1:224
	ds_load_2addr_b64 v[72:75], v49 offset1:32
	ds_load_2addr_b64 v[76:79], v49 offset0:64 offset1:96
	ds_load_2addr_b64 v[80:83], v49 offset0:128 offset1:160
	ds_load_2addr_b64 v[84:87], v49 offset0:192 offset1:224
	ds_load_2addr_b64 v[88:91], v50 offset1:32
	ds_load_2addr_b64 v[92:95], v50 offset0:64 offset1:96
	;; [unrolled: 4-line block ×3, first 2 shown]
	ds_load_2addr_b64 v[112:115], v51 offset0:128 offset1:160
	ds_load_2addr_b64 v[116:119], v51 offset0:192 offset1:224
	s_wait_loadcnt_dscnt 0x0
	s_barrier_signal -1
	s_barrier_wait -1
	global_inv scope:SCOPE_SE
	s_clause 0x1
	global_load_b128 v[120:123], v[19:20], off
	global_load_b128 v[19:22], v[19:20], off offset:512
	v_lshrrev_b32_e32 v140, 16, v56
	v_and_b32_e32 v56, 0xffff, v56
	v_lshrrev_b32_e32 v141, 16, v57
	v_and_b32_e32 v57, 0xffff, v57
	v_lshrrev_b32_e32 v142, 16, v58
	v_mul_u32_u24_e32 v140, 0x10001, v140
	v_mul_u32_u24_e32 v56, 0x10001, v56
	v_and_b32_e32 v58, 0xffff, v58
	v_mul_u32_u24_e32 v57, 0x10001, v57
	v_mul_u32_u24_e32 v141, 0x10001, v141
	v_lshrrev_b32_e32 v143, 16, v59
	v_pk_fma_f16 v139, v25, v56, v139
	v_pk_fma_f16 v25, v25, v140, v132
	;; [unrolled: 1-line block ×16, first 2 shown]
	v_and_b32_e32 v59, 0xffff, v59
	v_mul_u32_u24_e32 v58, 0x10001, v58
	v_mul_u32_u24_e32 v142, 0x10001, v142
	v_pk_fma_f16 v130, v64, v57, v139
	v_pk_fma_f16 v25, v64, v141, v25
	v_pk_fma_f16 v64, v65, v57, v124
	v_pk_fma_f16 v26, v65, v141, v26
	v_pk_fma_f16 v65, v66, v57, v125
	v_pk_fma_f16 v27, v66, v141, v27
	v_pk_fma_f16 v66, v67, v57, v126
	v_pk_fma_f16 v28, v67, v141, v28
	v_pk_fma_f16 v67, v68, v57, v127
	v_pk_fma_f16 v52, v68, v141, v52
	v_pk_fma_f16 v68, v69, v57, v128
	v_pk_fma_f16 v53, v69, v141, v53
	v_pk_fma_f16 v69, v70, v57, v129
	v_pk_fma_f16 v54, v70, v141, v54
	v_pk_fma_f16 v56, v71, v57, v56
	v_pk_fma_f16 v55, v71, v141, v55
	v_lshrrev_b32_e32 v144, 16, v60
	v_and_b32_e32 v60, 0xffff, v60
	v_mul_u32_u24_e32 v59, 0x10001, v59
	v_mul_u32_u24_e32 v143, 0x10001, v143
	v_pk_fma_f16 v57, v72, v58, v130
	v_pk_fma_f16 v25, v72, v142, v25
	v_pk_fma_f16 v64, v73, v58, v64
	v_pk_fma_f16 v26, v73, v142, v26
	v_pk_fma_f16 v65, v74, v58, v65
	v_pk_fma_f16 v27, v74, v142, v27
	v_pk_fma_f16 v66, v75, v58, v66
	v_pk_fma_f16 v28, v75, v142, v28
	v_pk_fma_f16 v67, v76, v58, v67
	v_pk_fma_f16 v52, v76, v142, v52
	v_pk_fma_f16 v68, v77, v58, v68
	v_pk_fma_f16 v53, v77, v142, v53
	v_pk_fma_f16 v69, v78, v58, v69
	v_pk_fma_f16 v54, v78, v142, v54
	v_pk_fma_f16 v56, v79, v58, v56
	v_pk_fma_f16 v55, v79, v142, v55
	v_lshrrev_b32_e32 v145, 16, v61
	;; [unrolled: 20-line block ×4, first 2 shown]
	v_and_b32_e32 v63, 0xffff, v63
	v_mul_u32_u24_e32 v62, 0x10001, v62
	v_mul_u32_u24_e32 v146, 0x10001, v146
	v_pk_fma_f16 v57, v96, v61, v57
	v_pk_fma_f16 v25, v96, v145, v25
	;; [unrolled: 1-line block ×16, first 2 shown]
	v_mul_u32_u24_e32 v63, 0x10001, v63
	v_mul_u32_u24_e32 v147, 0x10001, v147
	v_pk_fma_f16 v57, v104, v62, v57
	v_pk_fma_f16 v25, v104, v146, v25
	;; [unrolled: 1-line block ×32, first 2 shown]
	s_wait_loadcnt 0x1
	ds_store_b128 v42, v[120:123]
	s_wait_loadcnt 0x0
	ds_store_b128 v43, v[19:22]
	s_wait_dscnt 0x0
	s_barrier_signal -1
	s_barrier_wait -1
	global_inv scope:SCOPE_SE
	ds_load_2addr_b64 v[19:22], v44 offset1:32
	ds_load_2addr_b64 v[25:28], v44 offset0:64 offset1:96
	ds_load_b128 v[52:55], v41 offset:64
	ds_load_b128 v[56:59], v41 offset:80
	ds_load_2addr_b64 v[60:63], v44 offset0:128 offset1:160
	ds_load_2addr_b64 v[64:67], v44 offset0:192 offset1:224
	ds_load_2addr_b64 v[68:71], v49 offset1:32
	ds_load_2addr_b64 v[72:75], v49 offset0:64 offset1:96
	ds_load_2addr_b64 v[76:79], v49 offset0:128 offset1:160
	ds_load_2addr_b64 v[80:83], v49 offset0:192 offset1:224
	ds_load_2addr_b64 v[84:87], v50 offset1:32
	ds_load_2addr_b64 v[88:91], v50 offset0:64 offset1:96
	;; [unrolled: 4-line block ×3, first 2 shown]
	ds_load_2addr_b64 v[108:111], v51 offset0:128 offset1:160
	ds_load_2addr_b64 v[112:115], v51 offset0:192 offset1:224
	s_wait_loadcnt_dscnt 0x0
	s_barrier_signal -1
	s_barrier_wait -1
	global_inv scope:SCOPE_SE
	s_clause 0x1
	global_load_b128 v[116:119], v[17:18], off
	global_load_b128 v[120:123], v[17:18], off offset:512
	v_lshrrev_b32_e32 v17, 16, v52
	v_and_b32_e32 v18, 0xffff, v52
	v_lshrrev_b32_e32 v52, 16, v53
	v_and_b32_e32 v53, 0xffff, v53
	v_lshrrev_b32_e32 v140, 16, v54
	v_mul_u32_u24_e32 v17, 0x10001, v17
	v_mul_u32_u24_e32 v18, 0x10001, v18
	v_and_b32_e32 v54, 0xffff, v54
	v_mul_u32_u24_e32 v53, 0x10001, v53
	v_mul_u32_u24_e32 v52, 0x10001, v52
	v_lshrrev_b32_e32 v141, 16, v55
	v_pk_fma_f16 v124, v19, v18, v124
	v_pk_fma_f16 v19, v19, v17, v125
	;; [unrolled: 1-line block ×16, first 2 shown]
	v_and_b32_e32 v55, 0xffff, v55
	v_mul_u32_u24_e32 v54, 0x10001, v54
	v_mul_u32_u24_e32 v140, 0x10001, v140
	v_pk_fma_f16 v28, v60, v53, v124
	v_pk_fma_f16 v19, v60, v52, v19
	v_pk_fma_f16 v60, v61, v53, v125
	v_pk_fma_f16 v20, v61, v52, v20
	v_pk_fma_f16 v61, v62, v53, v126
	v_pk_fma_f16 v21, v62, v52, v21
	v_pk_fma_f16 v62, v63, v53, v127
	v_pk_fma_f16 v22, v63, v52, v22
	v_pk_fma_f16 v63, v64, v53, v128
	v_pk_fma_f16 v25, v64, v52, v25
	v_pk_fma_f16 v64, v65, v53, v129
	v_pk_fma_f16 v26, v65, v52, v26
	v_pk_fma_f16 v65, v66, v53, v130
	v_pk_fma_f16 v27, v66, v52, v27
	v_pk_fma_f16 v18, v67, v53, v18
	v_pk_fma_f16 v17, v67, v52, v17
	v_lshrrev_b32_e32 v142, 16, v56
	v_and_b32_e32 v56, 0xffff, v56
	v_mul_u32_u24_e32 v55, 0x10001, v55
	v_mul_u32_u24_e32 v141, 0x10001, v141
	v_pk_fma_f16 v28, v68, v54, v28
	v_pk_fma_f16 v19, v68, v140, v19
	v_pk_fma_f16 v52, v69, v54, v60
	v_pk_fma_f16 v20, v69, v140, v20
	v_pk_fma_f16 v53, v70, v54, v61
	v_pk_fma_f16 v21, v70, v140, v21
	v_pk_fma_f16 v60, v71, v54, v62
	v_pk_fma_f16 v22, v71, v140, v22
	v_pk_fma_f16 v61, v72, v54, v63
	v_pk_fma_f16 v25, v72, v140, v25
	v_pk_fma_f16 v62, v73, v54, v64
	v_pk_fma_f16 v26, v73, v140, v26
	v_pk_fma_f16 v63, v74, v54, v65
	v_pk_fma_f16 v27, v74, v140, v27
	v_pk_fma_f16 v18, v75, v54, v18
	v_pk_fma_f16 v17, v75, v140, v17
	v_lshrrev_b32_e32 v143, 16, v57
	;; [unrolled: 20-line block ×4, first 2 shown]
	v_and_b32_e32 v59, 0xffff, v59
	v_mul_u32_u24_e32 v58, 0x10001, v58
	v_mul_u32_u24_e32 v144, 0x10001, v144
	v_pk_fma_f16 v28, v92, v57, v28
	v_pk_fma_f16 v19, v92, v143, v19
	;; [unrolled: 1-line block ×16, first 2 shown]
	v_mul_u32_u24_e32 v59, 0x10001, v59
	v_mul_u32_u24_e32 v145, 0x10001, v145
	v_pk_fma_f16 v28, v100, v58, v28
	v_pk_fma_f16 v19, v100, v144, v19
	;; [unrolled: 1-line block ×32, first 2 shown]
	s_wait_loadcnt 0x1
	ds_store_b128 v42, v[116:119]
	s_wait_loadcnt 0x0
	ds_store_b128 v43, v[120:123]
	s_wait_dscnt 0x0
	s_barrier_signal -1
	s_barrier_wait -1
	global_inv scope:SCOPE_SE
	ds_load_2addr_b64 v[17:20], v44 offset1:32
	ds_load_2addr_b64 v[25:28], v44 offset0:64 offset1:96
	ds_load_b128 v[52:55], v41 offset:96
	ds_load_b128 v[56:59], v41 offset:112
	ds_load_2addr_b64 v[60:63], v44 offset0:128 offset1:160
	ds_load_2addr_b64 v[64:67], v44 offset0:192 offset1:224
	ds_load_2addr_b64 v[68:71], v49 offset1:32
	ds_load_2addr_b64 v[72:75], v49 offset0:64 offset1:96
	ds_load_2addr_b64 v[76:79], v49 offset0:128 offset1:160
	ds_load_2addr_b64 v[80:83], v49 offset0:192 offset1:224
	ds_load_2addr_b64 v[84:87], v50 offset1:32
	ds_load_2addr_b64 v[88:91], v50 offset0:64 offset1:96
	;; [unrolled: 4-line block ×3, first 2 shown]
	ds_load_2addr_b64 v[108:111], v51 offset0:128 offset1:160
	ds_load_2addr_b64 v[112:115], v51 offset0:192 offset1:224
	s_wait_loadcnt_dscnt 0x0
	s_barrier_signal -1
	s_barrier_wait -1
	global_inv scope:SCOPE_SE
	s_clause 0x1
	global_load_b128 v[116:119], v[15:16], off
	global_load_b128 v[120:123], v[15:16], off offset:512
	v_lshrrev_b32_e32 v15, 16, v52
	v_and_b32_e32 v16, 0xffff, v52
	v_lshrrev_b32_e32 v52, 16, v53
	v_and_b32_e32 v53, 0xffff, v53
	;; [unrolled: 2-line block ×3, first 2 shown]
	v_mul_u32_u24_e32 v16, 0x10001, v16
	v_mul_u32_u24_e32 v15, 0x10001, v15
	v_lshrrev_b32_e32 v138, 16, v54
	v_and_b32_e32 v54, 0xffff, v54
	v_mul_u32_u24_e32 v53, 0x10001, v53
	v_mul_u32_u24_e32 v52, 0x10001, v52
	;; [unrolled: 1-line block ×3, first 2 shown]
	v_pk_fma_f16 v59, v17, v16, v124
	v_pk_fma_f16 v17, v17, v15, v125
	v_pk_fma_f16 v124, v18, v16, v126
	v_pk_fma_f16 v18, v18, v15, v127
	v_pk_fma_f16 v125, v19, v16, v128
	v_pk_fma_f16 v19, v19, v15, v21
	v_pk_fma_f16 v21, v20, v16, v129
	v_pk_fma_f16 v20, v20, v15, v22
	v_pk_fma_f16 v22, v25, v16, v130
	v_pk_fma_f16 v25, v25, v15, v131
	v_lshrrev_b32_e32 v139, 16, v55
	v_and_b32_e32 v55, 0xffff, v55
	v_mul_u32_u24_e32 v54, 0x10001, v54
	v_mul_u32_u24_e32 v138, 0x10001, v138
	v_pk_fma_f16 v126, v26, v16, v132
	v_pk_fma_f16 v26, v26, v15, v133
	v_pk_fma_f16 v127, v27, v16, v134
	v_pk_fma_f16 v27, v27, v15, v135
	v_pk_fma_f16 v16, v28, v16, v136
	v_pk_fma_f16 v15, v28, v15, v137
	v_pk_fma_f16 v28, v60, v53, v59
	v_pk_fma_f16 v17, v60, v52, v17
	v_pk_fma_f16 v59, v61, v53, v124
	v_pk_fma_f16 v18, v61, v52, v18
	v_pk_fma_f16 v60, v62, v53, v125
	v_pk_fma_f16 v19, v62, v52, v19
	v_pk_fma_f16 v21, v63, v53, v21
	v_pk_fma_f16 v20, v63, v52, v20
	v_pk_fma_f16 v22, v64, v53, v22
	v_pk_fma_f16 v25, v64, v52, v25
	v_lshrrev_b32_e32 v140, 16, v56
	v_and_b32_e32 v56, 0xffff, v56
	v_mul_u32_u24_e32 v55, 0x10001, v55
	v_mul_u32_u24_e32 v139, 0x10001, v139
	v_pk_fma_f16 v61, v65, v53, v126
	v_pk_fma_f16 v26, v65, v52, v26
	v_pk_fma_f16 v62, v66, v53, v127
	v_pk_fma_f16 v27, v66, v52, v27
	v_pk_fma_f16 v16, v67, v53, v16
	v_pk_fma_f16 v15, v67, v52, v15
	v_pk_fma_f16 v28, v68, v54, v28
	v_pk_fma_f16 v17, v68, v138, v17
	v_pk_fma_f16 v52, v69, v54, v59
	v_pk_fma_f16 v18, v69, v138, v18
	v_pk_fma_f16 v53, v70, v54, v60
	v_pk_fma_f16 v19, v70, v138, v19
	v_pk_fma_f16 v21, v71, v54, v21
	v_pk_fma_f16 v20, v71, v138, v20
	v_pk_fma_f16 v22, v72, v54, v22
	v_pk_fma_f16 v25, v72, v138, v25
	v_lshrrev_b32_e32 v141, 16, v57
	v_and_b32_e32 v57, 0xffff, v57
	v_mul_u32_u24_e32 v56, 0x10001, v56
	v_mul_u32_u24_e32 v140, 0x10001, v140
	v_pk_fma_f16 v59, v73, v54, v61
	v_pk_fma_f16 v26, v73, v138, v26
	v_pk_fma_f16 v60, v74, v54, v62
	v_pk_fma_f16 v27, v74, v138, v27
	v_pk_fma_f16 v16, v75, v54, v16
	v_pk_fma_f16 v15, v75, v138, v15
	v_pk_fma_f16 v28, v76, v55, v28
	v_pk_fma_f16 v17, v76, v139, v17
	v_pk_fma_f16 v52, v77, v55, v52
	v_pk_fma_f16 v18, v77, v139, v18
	v_pk_fma_f16 v53, v78, v55, v53
	v_pk_fma_f16 v19, v78, v139, v19
	v_pk_fma_f16 v21, v79, v55, v21
	v_pk_fma_f16 v20, v79, v139, v20
	v_pk_fma_f16 v22, v80, v55, v22
	v_pk_fma_f16 v25, v80, v139, v25
	v_lshrrev_b32_e32 v142, 16, v58
	v_and_b32_e32 v58, 0xffff, v58
	v_mul_u32_u24_e32 v57, 0x10001, v57
	v_mul_u32_u24_e32 v141, 0x10001, v141
	v_pk_fma_f16 v54, v81, v55, v59
	v_pk_fma_f16 v26, v81, v139, v26
	v_pk_fma_f16 v59, v82, v55, v60
	v_pk_fma_f16 v27, v82, v139, v27
	v_pk_fma_f16 v16, v83, v55, v16
	v_pk_fma_f16 v15, v83, v139, v15
	v_pk_fma_f16 v28, v84, v56, v28
	v_pk_fma_f16 v17, v84, v140, v17
	;; [unrolled: 1-line block ×10, first 2 shown]
	v_mul_u32_u24_e32 v58, 0x10001, v58
	v_mul_u32_u24_e32 v142, 0x10001, v142
	v_pk_fma_f16 v54, v89, v56, v54
	v_pk_fma_f16 v26, v89, v140, v26
	;; [unrolled: 1-line block ×16, first 2 shown]
	v_mul_u32_u24_e32 v143, 0x10001, v143
	v_pk_fma_f16 v54, v97, v57, v54
	v_pk_fma_f16 v26, v97, v141, v26
	;; [unrolled: 1-line block ×32, first 2 shown]
	s_wait_loadcnt 0x1
	ds_store_b128 v42, v[116:119]
	s_wait_loadcnt 0x0
	ds_store_b128 v43, v[120:123]
	s_wait_dscnt 0x0
	s_barrier_signal -1
	s_barrier_wait -1
	global_inv scope:SCOPE_SE
	ds_load_2addr_b64 v[15:18], v44 offset1:32
	ds_load_2addr_b64 v[19:22], v44 offset0:64 offset1:96
	ds_load_b128 v[25:28], v41 offset:128
	ds_load_b128 v[52:55], v41 offset:144
	ds_load_2addr_b64 v[56:59], v44 offset0:128 offset1:160
	ds_load_2addr_b64 v[60:63], v44 offset0:192 offset1:224
	ds_load_2addr_b64 v[64:67], v49 offset1:32
	ds_load_2addr_b64 v[68:71], v49 offset0:64 offset1:96
	ds_load_2addr_b64 v[72:75], v49 offset0:128 offset1:160
	ds_load_2addr_b64 v[76:79], v49 offset0:192 offset1:224
	ds_load_2addr_b64 v[80:83], v50 offset1:32
	ds_load_2addr_b64 v[84:87], v50 offset0:64 offset1:96
	;; [unrolled: 4-line block ×3, first 2 shown]
	ds_load_2addr_b64 v[104:107], v51 offset0:128 offset1:160
	ds_load_2addr_b64 v[108:111], v51 offset0:192 offset1:224
	s_wait_loadcnt_dscnt 0x0
	s_barrier_signal -1
	s_barrier_wait -1
	global_inv scope:SCOPE_SE
	s_clause 0x1
	global_load_b128 v[116:119], v[13:14], off
	global_load_b128 v[120:123], v[13:14], off offset:512
	v_pk_fma_f16 v14, v113, v143, v125
	v_lshrrev_b32_e32 v125, 16, v25
	v_and_b32_e32 v25, 0xffff, v25
	v_pk_fma_f16 v13, v113, v144, v124
	v_pk_fma_f16 v113, v114, v144, v126
	;; [unrolled: 1-line block ×5, first 2 shown]
	v_lshrrev_b32_e32 v126, 16, v26
	v_and_b32_e32 v26, 0xffff, v26
	v_lshrrev_b32_e32 v140, 16, v54
	v_and_b32_e32 v54, 0xffff, v54
	;; [unrolled: 2-line block ×3, first 2 shown]
	v_mul_u32_u24_e32 v25, 0x10001, v25
	v_mul_u32_u24_e32 v125, 0x10001, v125
	v_lshrrev_b32_e32 v127, 16, v27
	v_and_b32_e32 v27, 0xffff, v27
	v_mul_u32_u24_e32 v26, 0x10001, v26
	v_mul_u32_u24_e32 v126, 0x10001, v126
	;; [unrolled: 1-line block ×4, first 2 shown]
	v_pk_fma_f16 v54, v15, v25, v130
	v_pk_fma_f16 v15, v15, v125, v131
	v_pk_fma_f16 v55, v16, v25, v132
	v_pk_fma_f16 v16, v16, v125, v133
	v_pk_fma_f16 v130, v17, v25, v134
	v_pk_fma_f16 v17, v17, v125, v135
	v_pk_fma_f16 v131, v18, v25, v136
	v_pk_fma_f16 v18, v18, v125, v137
	v_pk_fma_f16 v132, v19, v25, v138
	v_pk_fma_f16 v19, v19, v125, v112
	v_pk_fma_f16 v13, v20, v25, v13
	v_pk_fma_f16 v14, v20, v125, v14
	v_pk_fma_f16 v20, v21, v25, v113
	v_pk_fma_f16 v21, v21, v125, v114
	v_pk_fma_f16 v25, v22, v25, v124
	v_pk_fma_f16 v22, v22, v125, v115
	v_lshrrev_b32_e32 v128, 16, v28
	v_and_b32_e32 v28, 0xffff, v28
	v_mul_u32_u24_e32 v27, 0x10001, v27
	v_mul_u32_u24_e32 v127, 0x10001, v127
	v_pk_fma_f16 v54, v56, v26, v54
	v_pk_fma_f16 v15, v56, v126, v15
	v_pk_fma_f16 v55, v57, v26, v55
	v_pk_fma_f16 v16, v57, v126, v16
	v_pk_fma_f16 v56, v58, v26, v130
	v_pk_fma_f16 v17, v58, v126, v17
	v_pk_fma_f16 v57, v59, v26, v131
	v_pk_fma_f16 v18, v59, v126, v18
	v_pk_fma_f16 v58, v60, v26, v132
	v_pk_fma_f16 v19, v60, v126, v19
	v_pk_fma_f16 v13, v61, v26, v13
	v_pk_fma_f16 v14, v61, v126, v14
	v_pk_fma_f16 v20, v62, v26, v20
	v_pk_fma_f16 v21, v62, v126, v21
	v_pk_fma_f16 v25, v63, v26, v25
	v_pk_fma_f16 v22, v63, v126, v22
	v_lshrrev_b32_e32 v129, 16, v52
	v_and_b32_e32 v52, 0xffff, v52
	v_mul_u32_u24_e32 v28, 0x10001, v28
	v_mul_u32_u24_e32 v128, 0x10001, v128
	v_pk_fma_f16 v26, v64, v27, v54
	v_pk_fma_f16 v15, v64, v127, v15
	v_pk_fma_f16 v54, v65, v27, v55
	v_pk_fma_f16 v16, v65, v127, v16
	v_pk_fma_f16 v55, v66, v27, v56
	v_pk_fma_f16 v17, v66, v127, v17
	v_pk_fma_f16 v56, v67, v27, v57
	v_pk_fma_f16 v18, v67, v127, v18
	v_pk_fma_f16 v57, v68, v27, v58
	v_pk_fma_f16 v19, v68, v127, v19
	v_pk_fma_f16 v13, v69, v27, v13
	v_pk_fma_f16 v14, v69, v127, v14
	v_pk_fma_f16 v20, v70, v27, v20
	v_pk_fma_f16 v21, v70, v127, v21
	v_pk_fma_f16 v25, v71, v27, v25
	v_pk_fma_f16 v22, v71, v127, v22
	v_lshrrev_b32_e32 v139, 16, v53
	v_and_b32_e32 v53, 0xffff, v53
	v_mul_u32_u24_e32 v52, 0x10001, v52
	v_mul_u32_u24_e32 v129, 0x10001, v129
	v_pk_fma_f16 v26, v72, v28, v26
	v_pk_fma_f16 v15, v72, v128, v15
	;; [unrolled: 1-line block ×16, first 2 shown]
	v_mul_u32_u24_e32 v53, 0x10001, v53
	v_mul_u32_u24_e32 v139, 0x10001, v139
	v_pk_fma_f16 v26, v80, v52, v26
	v_pk_fma_f16 v15, v80, v129, v15
	;; [unrolled: 1-line block ×32, first 2 shown]
	s_wait_loadcnt 0x1
	ds_store_b128 v42, v[116:119]
	s_wait_loadcnt 0x0
	ds_store_b128 v43, v[120:123]
	s_wait_dscnt 0x0
	s_barrier_signal -1
	s_barrier_wait -1
	global_inv scope:SCOPE_SE
	ds_load_2addr_b64 v[13:16], v44 offset1:32
	ds_load_2addr_b64 v[17:20], v44 offset0:64 offset1:96
	ds_load_b128 v[25:28], v41 offset:160
	ds_load_b128 v[52:55], v41 offset:176
	ds_load_2addr_b64 v[56:59], v44 offset0:128 offset1:160
	ds_load_2addr_b64 v[60:63], v44 offset0:192 offset1:224
	ds_load_2addr_b64 v[64:67], v49 offset1:32
	ds_load_2addr_b64 v[68:71], v49 offset0:64 offset1:96
	ds_load_2addr_b64 v[72:75], v49 offset0:128 offset1:160
	ds_load_2addr_b64 v[76:79], v49 offset0:192 offset1:224
	ds_load_2addr_b64 v[80:83], v50 offset1:32
	ds_load_2addr_b64 v[84:87], v50 offset0:64 offset1:96
	;; [unrolled: 4-line block ×3, first 2 shown]
	ds_load_2addr_b64 v[120:123], v51 offset0:128 offset1:160
	ds_load_2addr_b64 v[124:127], v51 offset0:192 offset1:224
	s_wait_loadcnt_dscnt 0x0
	s_barrier_signal -1
	s_barrier_wait -1
	global_inv scope:SCOPE_SE
	s_clause 0x1
	global_load_b128 v[128:131], v[9:10], off
	global_load_b128 v[132:135], v[9:10], off offset:512
	v_mul_u32_u24_e32 v140, 0x10001, v140
	v_mul_u32_u24_e32 v141, 0x10001, v141
	v_pk_fma_f16 v9, v96, v142, v136
	v_pk_fma_f16 v136, v98, v142, v145
	;; [unrolled: 1-line block ×14, first 2 shown]
	v_lshrrev_b32_e32 v108, 16, v25
	v_and_b32_e32 v25, 0xffff, v25
	v_pk_fma_f16 v137, v99, v142, v147
	v_pk_fma_f16 v99, v99, v140, v148
	;; [unrolled: 1-line block ×12, first 2 shown]
	v_lshrrev_b32_e32 v109, 16, v26
	v_and_b32_e32 v26, 0xffff, v26
	v_mul_u32_u24_e32 v25, 0x10001, v25
	v_mul_u32_u24_e32 v108, 0x10001, v108
	v_pk_fma_f16 v104, v107, v143, v137
	v_pk_fma_f16 v99, v107, v141, v99
	;; [unrolled: 1-line block ×6, first 2 shown]
	v_lshrrev_b32_e32 v110, 16, v27
	v_and_b32_e32 v27, 0xffff, v27
	v_lshrrev_b32_e32 v138, 16, v54
	v_and_b32_e32 v54, 0xffff, v54
	;; [unrolled: 2-line block ×3, first 2 shown]
	v_mul_u32_u24_e32 v26, 0x10001, v26
	v_mul_u32_u24_e32 v109, 0x10001, v109
	v_pk_fma_f16 v9, v13, v25, v9
	v_pk_fma_f16 v10, v13, v108, v10
	v_lshrrev_b32_e32 v111, 16, v28
	v_and_b32_e32 v28, 0xffff, v28
	v_mul_u32_u24_e32 v27, 0x10001, v27
	v_mul_u32_u24_e32 v110, 0x10001, v110
	;; [unrolled: 1-line block ×4, first 2 shown]
	v_pk_fma_f16 v13, v14, v25, v96
	v_pk_fma_f16 v14, v14, v108, v97
	;; [unrolled: 1-line block ×16, first 2 shown]
	v_lshrrev_b32_e32 v136, 16, v52
	v_and_b32_e32 v52, 0xffff, v52
	v_mul_u32_u24_e32 v28, 0x10001, v28
	v_mul_u32_u24_e32 v111, 0x10001, v111
	v_pk_fma_f16 v13, v57, v26, v13
	v_pk_fma_f16 v14, v57, v109, v14
	;; [unrolled: 1-line block ×16, first 2 shown]
	v_lshrrev_b32_e32 v137, 16, v53
	v_and_b32_e32 v53, 0xffff, v53
	v_mul_u32_u24_e32 v52, 0x10001, v52
	v_mul_u32_u24_e32 v136, 0x10001, v136
	v_pk_fma_f16 v13, v65, v27, v13
	v_pk_fma_f16 v14, v65, v110, v14
	;; [unrolled: 1-line block ×16, first 2 shown]
	v_mul_u32_u24_e32 v53, 0x10001, v53
	v_mul_u32_u24_e32 v137, 0x10001, v137
	v_pk_fma_f16 v13, v73, v28, v13
	v_pk_fma_f16 v14, v73, v111, v14
	v_pk_fma_f16 v22, v74, v28, v22
	v_pk_fma_f16 v15, v74, v111, v15
	v_pk_fma_f16 v25, v75, v28, v25
	v_pk_fma_f16 v16, v75, v111, v16
	v_pk_fma_f16 v26, v76, v28, v26
	v_pk_fma_f16 v17, v76, v111, v17
	v_pk_fma_f16 v27, v77, v28, v54
	v_pk_fma_f16 v18, v77, v111, v18
	v_pk_fma_f16 v54, v78, v28, v55
	v_pk_fma_f16 v19, v78, v111, v19
	v_pk_fma_f16 v21, v79, v28, v21
	v_pk_fma_f16 v20, v79, v111, v20
	v_pk_fma_f16 v9, v80, v52, v9
	v_pk_fma_f16 v10, v80, v136, v10
	v_mul_u32_u24_e32 v138, 0x10001, v138
	v_pk_fma_f16 v13, v81, v52, v13
	v_pk_fma_f16 v14, v81, v136, v14
	;; [unrolled: 1-line block ×32, first 2 shown]
	s_wait_loadcnt 0x1
	ds_store_b128 v42, v[128:131]
	s_wait_loadcnt 0x0
	ds_store_b128 v43, v[132:135]
	s_wait_dscnt 0x0
	s_barrier_signal -1
	s_barrier_wait -1
	global_inv scope:SCOPE_SE
	ds_load_2addr_b64 v[13:16], v44 offset1:32
	ds_load_2addr_b64 v[17:20], v44 offset0:64 offset1:96
	ds_load_b128 v[25:28], v41 offset:192
	ds_load_b128 v[52:55], v41 offset:208
	ds_load_2addr_b64 v[56:59], v44 offset0:128 offset1:160
	ds_load_2addr_b64 v[60:63], v44 offset0:192 offset1:224
	ds_load_2addr_b64 v[64:67], v49 offset1:32
	ds_load_2addr_b64 v[68:71], v49 offset0:64 offset1:96
	ds_load_2addr_b64 v[72:75], v49 offset0:128 offset1:160
	ds_load_2addr_b64 v[76:79], v49 offset0:192 offset1:224
	ds_load_2addr_b64 v[80:83], v50 offset1:32
	ds_load_2addr_b64 v[84:87], v50 offset0:64 offset1:96
	;; [unrolled: 4-line block ×3, first 2 shown]
	ds_load_2addr_b64 v[104:107], v51 offset0:128 offset1:160
	ds_load_2addr_b64 v[108:111], v51 offset0:192 offset1:224
	s_wait_loadcnt_dscnt 0x0
	s_barrier_signal -1
	s_barrier_wait -1
	global_inv scope:SCOPE_SE
	s_clause 0x1
	global_load_b128 v[128:131], v[7:8], off
	global_load_b128 v[7:10], v[7:8], off offset:512
	v_mul_u32_u24_e32 v139, 0x10001, v139
	v_pk_fma_f16 v132, v113, v140, v136
	v_pk_fma_f16 v113, v113, v138, v142
	v_pk_fma_f16 v133, v115, v140, v144
	v_pk_fma_f16 v115, v115, v138, v145
	v_pk_fma_f16 v135, v117, v140, v148
	v_pk_fma_f16 v117, v117, v138, v149
	v_pk_fma_f16 v22, v114, v140, v22
	v_pk_fma_f16 v114, v114, v138, v143
	v_pk_fma_f16 v134, v116, v140, v146
	v_pk_fma_f16 v116, v116, v138, v147
	v_pk_fma_f16 v136, v118, v140, v150
	v_pk_fma_f16 v118, v118, v138, v151
	v_pk_fma_f16 v21, v119, v140, v21
	v_pk_fma_f16 v119, v119, v138, v137
	v_pk_fma_f16 v137, v120, v141, v152
	v_pk_fma_f16 v112, v120, v139, v112
	v_pk_fma_f16 v120, v121, v141, v132
	v_pk_fma_f16 v113, v121, v139, v113
	v_pk_fma_f16 v121, v123, v141, v133
	v_pk_fma_f16 v115, v123, v139, v115
	v_pk_fma_f16 v123, v125, v141, v135
	v_pk_fma_f16 v117, v125, v139, v117
	v_lshrrev_b32_e32 v125, 16, v25
	v_and_b32_e32 v25, 0xffff, v25
	v_pk_fma_f16 v22, v122, v141, v22
	v_pk_fma_f16 v114, v122, v139, v114
	;; [unrolled: 1-line block ×8, first 2 shown]
	v_lshrrev_b32_e32 v126, 16, v26
	v_and_b32_e32 v26, 0xffff, v26
	v_mul_u32_u24_e32 v25, 0x10001, v25
	v_mul_u32_u24_e32 v125, 0x10001, v125
	v_lshrrev_b32_e32 v127, 16, v27
	v_and_b32_e32 v27, 0xffff, v27
	v_mul_u32_u24_e32 v26, 0x10001, v26
	v_mul_u32_u24_e32 v126, 0x10001, v126
	v_pk_fma_f16 v137, v13, v25, v137
	v_pk_fma_f16 v13, v13, v125, v112
	v_pk_fma_f16 v112, v14, v25, v120
	v_pk_fma_f16 v14, v14, v125, v113
	v_pk_fma_f16 v22, v15, v25, v22
	v_pk_fma_f16 v15, v15, v125, v114
	v_pk_fma_f16 v113, v16, v25, v121
	v_pk_fma_f16 v16, v16, v125, v115
	v_pk_fma_f16 v114, v17, v25, v122
	v_pk_fma_f16 v17, v17, v125, v116
	v_pk_fma_f16 v115, v18, v25, v123
	v_pk_fma_f16 v18, v18, v125, v117
	v_pk_fma_f16 v116, v19, v25, v124
	v_pk_fma_f16 v19, v19, v125, v118
	v_pk_fma_f16 v21, v20, v25, v21
	v_pk_fma_f16 v20, v20, v125, v119
	v_lshrrev_b32_e32 v132, 16, v28
	v_and_b32_e32 v28, 0xffff, v28
	v_mul_u32_u24_e32 v27, 0x10001, v27
	v_mul_u32_u24_e32 v127, 0x10001, v127
	v_pk_fma_f16 v25, v56, v26, v137
	v_pk_fma_f16 v13, v56, v126, v13
	v_pk_fma_f16 v56, v57, v26, v112
	v_pk_fma_f16 v14, v57, v126, v14
	v_pk_fma_f16 v22, v58, v26, v22
	v_pk_fma_f16 v15, v58, v126, v15
	v_pk_fma_f16 v57, v59, v26, v113
	v_pk_fma_f16 v16, v59, v126, v16
	v_pk_fma_f16 v58, v60, v26, v114
	v_pk_fma_f16 v17, v60, v126, v17
	v_pk_fma_f16 v59, v61, v26, v115
	v_pk_fma_f16 v18, v61, v126, v18
	v_pk_fma_f16 v60, v62, v26, v116
	v_pk_fma_f16 v19, v62, v126, v19
	v_pk_fma_f16 v21, v63, v26, v21
	v_pk_fma_f16 v20, v63, v126, v20
	v_lshrrev_b32_e32 v133, 16, v52
	v_and_b32_e32 v52, 0xffff, v52
	v_mul_u32_u24_e32 v28, 0x10001, v28
	v_mul_u32_u24_e32 v132, 0x10001, v132
	v_pk_fma_f16 v25, v64, v27, v25
	v_pk_fma_f16 v13, v64, v127, v13
	v_pk_fma_f16 v26, v65, v27, v56
	v_pk_fma_f16 v14, v65, v127, v14
	v_pk_fma_f16 v22, v66, v27, v22
	v_pk_fma_f16 v15, v66, v127, v15
	v_pk_fma_f16 v56, v67, v27, v57
	v_pk_fma_f16 v16, v67, v127, v16
	v_pk_fma_f16 v57, v68, v27, v58
	v_pk_fma_f16 v17, v68, v127, v17
	v_pk_fma_f16 v58, v69, v27, v59
	v_pk_fma_f16 v18, v69, v127, v18
	v_pk_fma_f16 v59, v70, v27, v60
	v_pk_fma_f16 v19, v70, v127, v19
	v_pk_fma_f16 v21, v71, v27, v21
	v_pk_fma_f16 v20, v71, v127, v20
	v_lshrrev_b32_e32 v134, 16, v53
	v_and_b32_e32 v53, 0xffff, v53
	v_mul_u32_u24_e32 v52, 0x10001, v52
	v_mul_u32_u24_e32 v133, 0x10001, v133
	v_pk_fma_f16 v25, v72, v28, v25
	v_pk_fma_f16 v13, v72, v132, v13
	v_pk_fma_f16 v26, v73, v28, v26
	v_pk_fma_f16 v14, v73, v132, v14
	v_pk_fma_f16 v22, v74, v28, v22
	v_pk_fma_f16 v15, v74, v132, v15
	v_pk_fma_f16 v27, v75, v28, v56
	v_pk_fma_f16 v16, v75, v132, v16
	v_pk_fma_f16 v56, v76, v28, v57
	v_pk_fma_f16 v17, v76, v132, v17
	v_pk_fma_f16 v57, v77, v28, v58
	v_pk_fma_f16 v18, v77, v132, v18
	v_pk_fma_f16 v58, v78, v28, v59
	v_pk_fma_f16 v19, v78, v132, v19
	v_pk_fma_f16 v21, v79, v28, v21
	v_pk_fma_f16 v20, v79, v132, v20
	v_lshrrev_b32_e32 v135, 16, v54
	v_and_b32_e32 v54, 0xffff, v54
	v_mul_u32_u24_e32 v53, 0x10001, v53
	v_mul_u32_u24_e32 v134, 0x10001, v134
	v_pk_fma_f16 v25, v80, v52, v25
	v_pk_fma_f16 v13, v80, v133, v13
	v_pk_fma_f16 v26, v81, v52, v26
	v_pk_fma_f16 v14, v81, v133, v14
	v_pk_fma_f16 v22, v82, v52, v22
	v_pk_fma_f16 v15, v82, v133, v15
	v_pk_fma_f16 v27, v83, v52, v27
	v_pk_fma_f16 v16, v83, v133, v16
	v_pk_fma_f16 v28, v84, v52, v56
	v_pk_fma_f16 v17, v84, v133, v17
	v_pk_fma_f16 v56, v85, v52, v57
	v_pk_fma_f16 v18, v85, v133, v18
	v_pk_fma_f16 v57, v86, v52, v58
	v_pk_fma_f16 v19, v86, v133, v19
	v_pk_fma_f16 v21, v87, v52, v21
	v_pk_fma_f16 v20, v87, v133, v20
	v_lshrrev_b32_e32 v136, 16, v55
	v_and_b32_e32 v55, 0xffff, v55
	v_mul_u32_u24_e32 v54, 0x10001, v54
	v_mul_u32_u24_e32 v135, 0x10001, v135
	v_pk_fma_f16 v25, v88, v53, v25
	v_pk_fma_f16 v13, v88, v134, v13
	v_pk_fma_f16 v26, v89, v53, v26
	v_pk_fma_f16 v14, v89, v134, v14
	v_pk_fma_f16 v22, v90, v53, v22
	v_pk_fma_f16 v15, v90, v134, v15
	v_pk_fma_f16 v27, v91, v53, v27
	v_pk_fma_f16 v16, v91, v134, v16
	v_pk_fma_f16 v28, v92, v53, v28
	v_pk_fma_f16 v17, v92, v134, v17
	v_pk_fma_f16 v52, v93, v53, v56
	v_pk_fma_f16 v18, v93, v134, v18
	v_pk_fma_f16 v56, v94, v53, v57
	v_pk_fma_f16 v19, v94, v134, v19
	v_pk_fma_f16 v21, v95, v53, v21
	v_pk_fma_f16 v20, v95, v134, v20
	v_mul_u32_u24_e32 v55, 0x10001, v55
	v_mul_u32_u24_e32 v136, 0x10001, v136
	v_pk_fma_f16 v25, v96, v54, v25
	v_pk_fma_f16 v13, v96, v135, v13
	v_pk_fma_f16 v26, v97, v54, v26
	v_pk_fma_f16 v14, v97, v135, v14
	v_pk_fma_f16 v22, v98, v54, v22
	v_pk_fma_f16 v15, v98, v135, v15
	v_pk_fma_f16 v27, v99, v54, v27
	v_pk_fma_f16 v16, v99, v135, v16
	v_pk_fma_f16 v28, v100, v54, v28
	v_pk_fma_f16 v17, v100, v135, v17
	v_pk_fma_f16 v52, v101, v54, v52
	v_pk_fma_f16 v18, v101, v135, v18
	v_pk_fma_f16 v53, v102, v54, v56
	v_pk_fma_f16 v19, v102, v135, v19
	v_pk_fma_f16 v21, v103, v54, v21
	v_pk_fma_f16 v20, v103, v135, v20
	v_pk_fma_f16 v112, v104, v55, v25
	v_pk_fma_f16 v113, v104, v136, v13
	v_pk_fma_f16 v114, v105, v55, v26
	v_pk_fma_f16 v115, v105, v136, v14
	v_pk_fma_f16 v22, v106, v55, v22
	v_pk_fma_f16 v116, v106, v136, v15
	v_pk_fma_f16 v117, v107, v55, v27
	v_pk_fma_f16 v118, v107, v136, v16
	v_pk_fma_f16 v119, v108, v55, v28
	v_pk_fma_f16 v108, v108, v136, v17
	v_pk_fma_f16 v120, v109, v55, v52
	v_pk_fma_f16 v109, v109, v136, v18
	v_pk_fma_f16 v121, v110, v55, v53
	v_pk_fma_f16 v110, v110, v136, v19
	v_pk_fma_f16 v21, v111, v55, v21
	v_pk_fma_f16 v111, v111, v136, v20
	s_wait_loadcnt 0x1
	ds_store_b128 v42, v[128:131]
	s_wait_loadcnt 0x0
	ds_store_b128 v43, v[7:10]
	s_wait_dscnt 0x0
	s_barrier_signal -1
	s_barrier_wait -1
	global_inv scope:SCOPE_SE
	ds_load_2addr_b64 v[7:10], v44 offset1:32
	ds_load_2addr_b64 v[13:16], v44 offset0:64 offset1:96
	ds_load_b128 v[17:20], v41 offset:224
	ds_load_b128 v[25:28], v41 offset:240
	ds_load_2addr_b64 v[52:55], v44 offset0:128 offset1:160
	ds_load_2addr_b64 v[56:59], v44 offset0:192 offset1:224
	ds_load_2addr_b64 v[60:63], v49 offset1:32
	ds_load_2addr_b64 v[64:67], v49 offset0:64 offset1:96
	ds_load_2addr_b64 v[68:71], v49 offset0:128 offset1:160
	ds_load_2addr_b64 v[72:75], v49 offset0:192 offset1:224
	ds_load_2addr_b64 v[76:79], v50 offset1:32
	ds_load_2addr_b64 v[80:83], v50 offset0:64 offset1:96
	;; [unrolled: 4-line block ×3, first 2 shown]
	ds_load_2addr_b64 v[100:103], v51 offset0:128 offset1:160
	ds_load_2addr_b64 v[104:107], v51 offset0:192 offset1:224
	s_wait_loadcnt_dscnt 0x0
	s_barrier_signal -1
	s_barrier_wait -1
	global_inv scope:SCOPE_SE
	v_lshrrev_b32_e32 v122, 16, v17
	v_and_b32_e32 v17, 0xffff, v17
	v_lshrrev_b32_e32 v123, 16, v18
	v_and_b32_e32 v18, 0xffff, v18
	v_lshrrev_b32_e32 v124, 16, v19
	v_mul_u32_u24_e32 v122, 0x10001, v122
	v_mul_u32_u24_e32 v17, 0x10001, v17
	v_and_b32_e32 v19, 0xffff, v19
	v_mul_u32_u24_e32 v18, 0x10001, v18
	v_mul_u32_u24_e32 v123, 0x10001, v123
	v_lshrrev_b32_e32 v125, 16, v20
	v_pk_fma_f16 v112, v7, v17, v112
	v_pk_fma_f16 v7, v7, v122, v113
	;; [unrolled: 1-line block ×16, first 2 shown]
	v_and_b32_e32 v20, 0xffff, v20
	v_mul_u32_u24_e32 v19, 0x10001, v19
	v_mul_u32_u24_e32 v124, 0x10001, v124
	v_pk_fma_f16 v21, v52, v18, v112
	v_pk_fma_f16 v7, v52, v123, v7
	v_pk_fma_f16 v52, v53, v18, v113
	v_pk_fma_f16 v8, v53, v123, v8
	v_pk_fma_f16 v22, v54, v18, v22
	v_pk_fma_f16 v9, v54, v123, v9
	v_pk_fma_f16 v53, v55, v18, v114
	v_pk_fma_f16 v10, v55, v123, v10
	v_pk_fma_f16 v54, v56, v18, v115
	v_pk_fma_f16 v13, v56, v123, v13
	v_pk_fma_f16 v55, v57, v18, v108
	v_pk_fma_f16 v14, v57, v123, v14
	v_pk_fma_f16 v56, v58, v18, v109
	v_pk_fma_f16 v15, v58, v123, v15
	v_pk_fma_f16 v17, v59, v18, v17
	v_pk_fma_f16 v16, v59, v123, v16
	v_lshrrev_b32_e32 v126, 16, v25
	v_and_b32_e32 v25, 0xffff, v25
	v_mul_u32_u24_e32 v20, 0x10001, v20
	v_mul_u32_u24_e32 v125, 0x10001, v125
	v_pk_fma_f16 v18, v60, v19, v21
	v_pk_fma_f16 v7, v60, v124, v7
	;; [unrolled: 1-line block ×16, first 2 shown]
	s_load_b32 s2, s[24:25], 0x4
	v_lshrrev_b32_e32 v127, 16, v26
	v_and_b32_e32 v26, 0xffff, v26
	v_mul_u32_u24_e32 v25, 0x10001, v25
	v_mul_u32_u24_e32 v126, 0x10001, v126
	v_pk_fma_f16 v18, v68, v20, v18
	v_pk_fma_f16 v7, v68, v125, v7
	v_pk_fma_f16 v19, v69, v20, v21
	v_pk_fma_f16 v8, v69, v125, v8
	v_pk_fma_f16 v21, v70, v20, v22
	v_pk_fma_f16 v9, v70, v125, v9
	v_pk_fma_f16 v22, v71, v20, v52
	v_pk_fma_f16 v10, v71, v125, v10
	v_pk_fma_f16 v52, v72, v20, v53
	v_pk_fma_f16 v13, v72, v125, v13
	v_pk_fma_f16 v53, v73, v20, v54
	v_pk_fma_f16 v14, v73, v125, v14
	v_pk_fma_f16 v54, v74, v20, v55
	v_pk_fma_f16 v15, v74, v125, v15
	v_pk_fma_f16 v17, v75, v20, v17
	v_pk_fma_f16 v16, v75, v125, v16
	v_lshrrev_b32_e32 v128, 16, v27
	v_and_b32_e32 v27, 0xffff, v27
	v_mul_u32_u24_e32 v26, 0x10001, v26
	v_mul_u32_u24_e32 v127, 0x10001, v127
	v_pk_fma_f16 v18, v76, v25, v18
	v_pk_fma_f16 v7, v76, v126, v7
	v_pk_fma_f16 v19, v77, v25, v19
	v_pk_fma_f16 v8, v77, v126, v8
	v_pk_fma_f16 v20, v78, v25, v21
	v_pk_fma_f16 v9, v78, v126, v9
	v_pk_fma_f16 v21, v79, v25, v22
	v_pk_fma_f16 v10, v79, v126, v10
	v_pk_fma_f16 v22, v80, v25, v52
	v_pk_fma_f16 v13, v80, v126, v13
	v_pk_fma_f16 v52, v81, v25, v53
	v_pk_fma_f16 v14, v81, v126, v14
	v_pk_fma_f16 v53, v82, v25, v54
	v_pk_fma_f16 v15, v82, v126, v15
	v_pk_fma_f16 v17, v83, v25, v17
	v_pk_fma_f16 v16, v83, v126, v16
	;; [unrolled: 20-line block ×3, first 2 shown]
	v_mul_u32_u24_e32 v28, 0x10001, v28
	v_mul_u32_u24_e32 v129, 0x10001, v129
	v_pk_fma_f16 v18, v92, v27, v18
	v_pk_fma_f16 v7, v92, v128, v7
	;; [unrolled: 1-line block ×16, first 2 shown]
	s_wait_kmcnt 0x0
	s_lshl_b32 s2, s2, 6
	v_pk_fma_f16 v63, v100, v28, v18
	v_pk_fma_f16 v55, v100, v129, v7
	;; [unrolled: 1-line block ×16, first 2 shown]
	s_wait_alu 0xfffe
	s_add_co_i32 s14, s2, s14
	s_wait_alu 0xfffe
	s_cmp_ge_i32 s14, s30
	s_cbranch_scc0 .LBB13_13
; %bb.14:
	v_dual_mov_b32 v2, 32 :: v_dual_mov_b32 v3, v32
.LBB13_15:
	s_delay_alu instid0(VALU_DEP_1)
	v_cmp_lt_i32_e32 vcc_lo, v37, v2
	s_cmp_lg_u64 s[12:13], 0
	s_cselect_b32 s2, -1, 0
	s_cmp_eq_u32 s10, 0
	s_wait_alu 0xfffd
	v_cndmask_b32_e32 v4, v3, v37, vcc_lo
	v_cmp_lt_i32_e32 vcc_lo, v36, v2
	s_cselect_b32 s3, -1, 0
	s_wait_alu 0xfffe
	s_and_b32 s2, s3, s2
	v_lshlrev_b32_e32 v4, 2, v4
	s_wait_alu 0xfffd
	v_cndmask_b32_e32 v6, v3, v36, vcc_lo
	v_cmp_lt_i32_e32 vcc_lo, v35, v2
	ds_bpermute_b32 v5, v4, v24
	v_lshlrev_b32_e32 v6, 2, v6
	s_wait_alu 0xfffd
	v_cndmask_b32_e32 v8, v3, v35, vcc_lo
	v_cmp_lt_i32_e32 vcc_lo, v34, v2
	s_wait_dscnt 0x0
	s_delay_alu instid0(VALU_DEP_2)
	v_dual_add_f32 v5, v24, v5 :: v_dual_lshlrev_b32 v8, 2, v8
	ds_bpermute_b32 v4, v4, v23
	ds_bpermute_b32 v7, v6, v5
	s_wait_dscnt 0x0
	v_dual_add_f32 v5, v5, v7 :: v_dual_add_f32 v4, v23, v4
	ds_bpermute_b32 v6, v6, v4
	s_wait_dscnt 0x0
	v_add_f32_e32 v4, v4, v6
	ds_bpermute_b32 v6, v8, v5
	ds_bpermute_b32 v7, v8, v4
	s_wait_alu 0xfffd
	v_cndmask_b32_e32 v8, v3, v34, vcc_lo
	v_cmp_lt_i32_e32 vcc_lo, v33, v2
	s_delay_alu instid0(VALU_DEP_2) | instskip(SKIP_4) | instid1(VALU_DEP_1)
	v_lshlrev_b32_e32 v8, 2, v8
	s_wait_alu 0xfffd
	v_cndmask_b32_e32 v2, v3, v33, vcc_lo
	s_wait_alu 0xfffe
	s_and_b32 vcc_lo, exec_lo, s2
	v_lshlrev_b32_e32 v2, 2, v2
	s_wait_dscnt 0x0
	v_dual_add_f32 v5, v5, v6 :: v_dual_add_f32 v4, v4, v7
	ds_bpermute_b32 v6, v8, v5
	ds_bpermute_b32 v7, v8, v4
	s_wait_dscnt 0x1
	v_add_f32_e32 v3, v5, v6
	s_wait_dscnt 0x0
	v_add_f32_e32 v5, v4, v7
	ds_bpermute_b32 v4, v2, v3
	ds_bpermute_b32 v2, v2, v5
	s_wait_dscnt 0x0
	v_dual_add_f32 v4, v3, v4 :: v_dual_add_f32 v5, v5, v2
	s_wait_alu 0xfffe
	s_cbranch_vccz .LBB13_18
; %bb.16:
	v_add_nc_u32_e32 v2, s33, v29
	s_delay_alu instid0(VALU_DEP_1) | instskip(NEXT) | instid1(VALU_DEP_1)
	v_ashrrev_i32_e32 v3, 31, v2
	v_lshlrev_b64_e32 v[2:3], 2, v[2:3]
	s_delay_alu instid0(VALU_DEP_1) | instskip(SKIP_1) | instid1(VALU_DEP_2)
	v_add_co_u32 v2, vcc_lo, s12, v2
	s_wait_alu 0xfffd
	v_add_co_ci_u32_e64 v3, null, s13, v3, vcc_lo
	global_load_b64 v[2:3], v[2:3], off
	v_max_num_f32_e32 v6, v11, v11
	s_wait_loadcnt 0x0
	v_dual_max_num_f32 v8, v12, v12 :: v_dual_max_num_f32 v7, v2, v2
	v_max_num_f32_e32 v9, v3, v3
	s_delay_alu instid0(VALU_DEP_1) | instskip(NEXT) | instid1(VALU_DEP_1)
	v_dual_max_num_f32 v6, v6, v7 :: v_dual_max_num_f32 v7, v8, v9
	v_dual_sub_f32 v8, v11, v6 :: v_dual_sub_f32 v9, v12, v7
	v_dual_sub_f32 v3, v3, v7 :: v_dual_sub_f32 v2, v2, v6
	s_delay_alu instid0(VALU_DEP_2) | instskip(NEXT) | instid1(VALU_DEP_2)
	v_cmp_ngt_f32_e32 vcc_lo, 0xc2ce8ed0, v8
	v_dual_mul_f32 v13, 0x3fb8aa3b, v3 :: v_dual_mul_f32 v10, 0x3fb8aa3b, v8
	s_delay_alu instid0(VALU_DEP_3) | instskip(NEXT) | instid1(VALU_DEP_2)
	v_mul_f32_e32 v11, 0x3fb8aa3b, v2
	v_fma_f32 v20, 0x3fb8aa3b, v3, -v13
	s_delay_alu instid0(VALU_DEP_3) | instskip(SKIP_4) | instid1(VALU_DEP_4)
	v_rndne_f32_e32 v15, v10
	v_rndne_f32_e32 v21, v13
	v_fma_f32 v14, 0x3fb8aa3b, v8, -v10
	v_fma_f32 v16, 0x3fb8aa3b, v2, -v11
	v_rndne_f32_e32 v17, v11
	v_dual_sub_f32 v10, v10, v15 :: v_dual_sub_f32 v13, v13, v21
	v_fmac_f32_e32 v20, 0x32a5705f, v3
	s_delay_alu instid0(VALU_DEP_3) | instskip(NEXT) | instid1(VALU_DEP_2)
	v_dual_fmac_f32 v14, 0x32a5705f, v8 :: v_dual_sub_f32 v11, v11, v17
	v_dual_fmac_f32 v16, 0x32a5705f, v2 :: v_dual_add_f32 v13, v13, v20
	v_mul_f32_e32 v12, 0x3fb8aa3b, v9
	s_delay_alu instid0(VALU_DEP_2) | instskip(SKIP_2) | instid1(VALU_DEP_4)
	v_dual_add_f32 v10, v10, v14 :: v_dual_add_f32 v11, v11, v16
	v_cvt_i32_f32_e32 v14, v15
	v_cvt_i32_f32_e32 v15, v17
	v_fma_f32 v18, 0x3fb8aa3b, v9, -v12
	v_rndne_f32_e32 v19, v12
	v_exp_f32_e32 v10, v10
	v_exp_f32_e32 v11, v11
	;; [unrolled: 1-line block ×3, first 2 shown]
	v_fmac_f32_e32 v18, 0x32a5705f, v9
	v_sub_f32_e32 v12, v12, v19
	v_cvt_i32_f32_e32 v16, v19
	s_delay_alu instid0(VALU_DEP_2) | instskip(NEXT) | instid1(TRANS32_DEP_3)
	v_add_f32_e32 v12, v12, v18
	v_ldexp_f32 v10, v10, v14
	s_delay_alu instid0(TRANS32_DEP_2) | instskip(SKIP_1) | instid1(VALU_DEP_4)
	v_ldexp_f32 v11, v11, v15
	v_cvt_i32_f32_e32 v14, v21
	v_exp_f32_e32 v12, v12
	s_wait_alu 0xfffd
	v_cndmask_b32_e32 v10, 0, v10, vcc_lo
	v_cmp_ngt_f32_e32 vcc_lo, 0xc2ce8ed0, v9
	v_ldexp_f32 v13, v13, v14
	s_delay_alu instid0(TRANS32_DEP_1) | instskip(SKIP_1) | instid1(VALU_DEP_1)
	v_ldexp_f32 v12, v12, v16
	s_wait_alu 0xfffd
	v_cndmask_b32_e32 v12, 0, v12, vcc_lo
	v_cmp_nlt_f32_e32 vcc_lo, 0x42b17218, v8
	s_wait_alu 0xfffd
	v_cndmask_b32_e32 v8, 0x7f800000, v10, vcc_lo
	v_cmp_ngt_f32_e32 vcc_lo, 0xc2ce8ed0, v2
	s_wait_alu 0xfffd
	v_cndmask_b32_e32 v10, 0, v11, vcc_lo
	v_cmp_nlt_f32_e32 vcc_lo, 0x42b17218, v9
	v_cvt_f16_f32_e32 v11, v8
	s_wait_alu 0xfffd
	v_cndmask_b32_e32 v9, 0x7f800000, v12, vcc_lo
	v_cmp_ngt_f32_e32 vcc_lo, 0xc2ce8ed0, v3
	s_wait_alu 0xfffd
	v_dual_cndmask_b32 v12, 0, v13 :: v_dual_and_b32 v11, 0xffff, v11
	v_cmp_nlt_f32_e32 vcc_lo, 0x42b17218, v2
	s_wait_alu 0xfffd
	v_cndmask_b32_e32 v2, 0x7f800000, v10, vcc_lo
	v_cvt_f16_f32_e32 v10, v9
	v_cmp_nlt_f32_e32 vcc_lo, 0x42b17218, v3
	s_delay_alu instid0(VALU_DEP_3) | instskip(NEXT) | instid1(VALU_DEP_3)
	v_fmac_f32_e32 v2, v4, v8
	v_and_b32_e32 v8, 0xffff, v10
	s_wait_alu 0xfffd
	v_cndmask_b32_e32 v3, 0x7f800000, v12, vcc_lo
	v_mul_u32_u24_e32 v10, 0x10001, v11
	v_dual_mov_b32 v12, v7 :: v_dual_mov_b32 v11, v6
	s_delay_alu instid0(VALU_DEP_3) | instskip(SKIP_1) | instid1(VALU_DEP_4)
	v_dual_mov_b32 v4, v2 :: v_dual_fmac_f32 v3, v5, v9
	v_mul_u32_u24_e32 v5, 0x10001, v8
	v_pk_mul_f16 v63, v63, v10
	v_pk_mul_f16 v67, v67, v10
	v_pk_mul_f16 v65, v65, v10
	v_pk_mul_f16 v66, v66, v10
	v_pk_mul_f16 v62, v62, v10
	v_pk_mul_f16 v64, v64, v10
	v_pk_mul_f16 v60, v60, v10
	v_pk_mul_f16 v61, v61, v10
	v_pk_mul_f16 v55, v55, v5
	v_pk_mul_f16 v59, v59, v5
	v_pk_mul_f16 v57, v57, v5
	v_pk_mul_f16 v58, v58, v5
	v_pk_mul_f16 v54, v54, v5
	v_pk_mul_f16 v56, v56, v5
	v_pk_mul_f16 v53, v53, v5
	v_pk_mul_f16 v52, v52, v5
	v_mov_b32_e32 v5, v3
	s_mov_b32 s2, exec_lo
	v_cmpx_gt_i32_e64 s22, v1
	s_cbranch_execnz .LBB13_19
.LBB13_17:
	s_nop 0
	s_sendmsg sendmsg(MSG_DEALLOC_VGPRS)
	s_endpgm
.LBB13_18:
	s_delay_alu instid0(VALU_DEP_1)
	v_dual_mov_b32 v2, v4 :: v_dual_mov_b32 v3, v5
	s_mov_b32 s2, exec_lo
	v_cmpx_gt_i32_e64 s22, v1
	s_cbranch_execz .LBB13_17
.LBB13_19:
	s_load_b32 s1, s[0:1], 0xd4
	v_mov_b32_e32 v6, 1.0
	s_wait_kmcnt 0x0
	s_cmp_lg_u32 s1, 1
	s_cselect_b32 s3, -1, 0
	s_cmp_eq_u32 s1, 1
	s_cselect_b32 s2, -1, 0
	s_wait_alu 0xfffe
	s_and_b32 vcc_lo, exec_lo, s3
	s_wait_alu 0xfffe
	s_cbranch_vccnz .LBB13_21
; %bb.20:
	v_div_scale_f32 v6, null, v4, v4, 1.0
	s_delay_alu instid0(VALU_DEP_1) | instskip(NEXT) | instid1(TRANS32_DEP_1)
	v_rcp_f32_e32 v7, v6
	v_fma_f32 v8, -v6, v7, 1.0
	s_delay_alu instid0(VALU_DEP_1) | instskip(SKIP_1) | instid1(VALU_DEP_1)
	v_fmac_f32_e32 v7, v8, v7
	v_div_scale_f32 v8, vcc_lo, 1.0, v4, 1.0
	v_mul_f32_e32 v9, v8, v7
	s_delay_alu instid0(VALU_DEP_1) | instskip(NEXT) | instid1(VALU_DEP_1)
	v_fma_f32 v10, -v6, v9, v8
	v_fmac_f32_e32 v9, v10, v7
	s_delay_alu instid0(VALU_DEP_1) | instskip(SKIP_1) | instid1(VALU_DEP_1)
	v_fma_f32 v6, -v6, v9, v8
	s_wait_alu 0xfffd
	v_div_fmas_f32 v6, v6, v7, v9
	s_delay_alu instid0(VALU_DEP_1)
	v_div_fixup_f32 v6, v6, v4, 1.0
.LBB13_21:
	v_mad_co_u64_u32 v[7:8], null, s28, s22, v[1:2]
	v_cmp_eq_u32_e32 vcc_lo, 0, v0
	v_lshrrev_b32_e32 v0, 16, v67
	v_cvt_f32_f16_e32 v4, v67
	v_mov_b32_e32 v22, 0
	v_lshrrev_b32_e32 v17, 16, v64
	v_lshrrev_b32_e32 v8, 16, v63
	v_mul_lo_u32 v1, v7, s23
	v_cvt_f32_f16_e32 v19, v0
	v_lshrrev_b32_e32 v10, 16, v66
	v_mul_f32_e32 v9, v6, v4
	v_cvt_f32_f16_e32 v32, v17
	v_cvt_f32_f16_e32 v13, v66
	;; [unrolled: 1-line block ×3, first 2 shown]
	v_lshrrev_b32_e32 v31, 16, v62
	v_add3_u32 v1, s33, v29, v1
	v_cvt_f32_f16_e32 v4, v10
	v_mov_b32_e32 v24, v22
	v_mul_f32_e32 v15, v6, v13
	v_mul_f32_e32 v13, v6, v16
	v_mad_co_u64_u32 v[0:1], null, s1, v1, s[10:11]
	v_cvt_f32_f16_e32 v1, v8
	v_lshrrev_b32_e32 v14, 16, v65
	v_cvt_f32_f16_e32 v29, v64
	v_cvt_f32_f16_e32 v7, v63
	s_delay_alu instid0(VALU_DEP_4)
	v_mul_f32_e32 v8, v6, v1
	v_lshl_add_u32 v21, v0, 9, v30
	v_mov_b32_e32 v18, v22
	v_mul_f32_e32 v10, v6, v19
	v_mul_f32_e32 v16, v6, v4
	v_cvt_f32_f16_e32 v1, v31
	v_add_nc_u32_e32 v17, 0x80, v21
	v_lshlrev_b64_e32 v[19:20], 2, v[21:22]
	v_add_nc_u32_e32 v23, 0x100, v21
	v_cvt_f32_f16_e32 v4, v62
	v_add_nc_u32_e32 v21, 0x180, v21
	v_lshlrev_b64_e32 v[17:18], 2, v[17:18]
	v_cvt_f32_f16_e32 v14, v14
	v_add_co_u32 v25, s0, s16, v19
	s_wait_alu 0xf1ff
	v_add_co_ci_u32_e64 v26, null, s17, v20, s0
	s_delay_alu instid0(VALU_DEP_4)
	v_add_co_u32 v27, s0, s16, v17
	v_lshlrev_b64_e32 v[23:24], 2, v[23:24]
	s_wait_alu 0xf1ff
	v_add_co_ci_u32_e64 v28, null, s17, v18, s0
	v_mul_f32_e32 v18, v6, v1
	v_mul_f32_e32 v17, v6, v4
	v_lshrrev_b32_e32 v1, 16, v61
	v_lshrrev_b32_e32 v4, 16, v60
	v_lshlrev_b64_e32 v[33:34], 2, v[21:22]
	v_mul_f32_e32 v19, v6, v29
	v_add_co_u32 v31, s0, s16, v23
	v_cvt_f32_f16_e32 v1, v1
	v_cvt_f32_f16_e32 v23, v61
	;; [unrolled: 1-line block ×4, first 2 shown]
	v_mul_f32_e32 v7, v6, v7
	v_mul_f32_e32 v14, v6, v14
	;; [unrolled: 1-line block ×3, first 2 shown]
	s_wait_alu 0xf1ff
	v_add_co_ci_u32_e64 v32, null, s17, v24, s0
	v_add_co_u32 v33, s0, s16, v33
	v_mul_f32_e32 v24, v6, v1
	v_mul_f32_e32 v23, v6, v23
	;; [unrolled: 1-line block ×4, first 2 shown]
	s_wait_alu 0xf1ff
	v_add_co_ci_u32_e64 v34, null, s17, v34, s0
	s_and_b32 s0, vcc_lo, s3
	s_clause 0x3
	global_store_b128 v[25:26], v[7:10], off
	global_store_b128 v[27:28], v[13:16], off
	;; [unrolled: 1-line block ×4, first 2 shown]
	s_wait_alu 0xfffe
	s_and_saveexec_b32 s3, s0
	s_cbranch_execz .LBB13_23
; %bb.22:
	v_ashrrev_i32_e32 v1, 31, v0
	s_delay_alu instid0(VALU_DEP_1) | instskip(SKIP_1) | instid1(VALU_DEP_2)
	v_lshlrev_b64_e32 v[6:7], 3, v[0:1]
	v_mov_b32_e32 v1, v11
	v_add_co_u32 v6, vcc_lo, s18, v6
	s_wait_alu 0xfffd
	s_delay_alu instid0(VALU_DEP_3)
	v_add_co_ci_u32_e64 v7, null, s19, v7, vcc_lo
	global_store_b64 v[6:7], v[1:2], off
.LBB13_23:
	s_wait_alu 0xfffe
	s_or_b32 exec_lo, exec_lo, s3
	v_mov_b32_e32 v1, 1.0
	s_and_not1_b32 vcc_lo, exec_lo, s2
	s_wait_alu 0xfffe
	s_cbranch_vccnz .LBB13_25
; %bb.24:
	v_div_scale_f32 v1, null, v5, v5, 1.0
	s_delay_alu instid0(VALU_DEP_1) | instskip(NEXT) | instid1(TRANS32_DEP_1)
	v_rcp_f32_e32 v2, v1
	v_fma_f32 v4, -v1, v2, 1.0
	s_delay_alu instid0(VALU_DEP_1) | instskip(SKIP_1) | instid1(VALU_DEP_1)
	v_fmac_f32_e32 v2, v4, v2
	v_div_scale_f32 v4, vcc_lo, 1.0, v5, 1.0
	v_mul_f32_e32 v6, v4, v2
	s_delay_alu instid0(VALU_DEP_1) | instskip(NEXT) | instid1(VALU_DEP_1)
	v_fma_f32 v7, -v1, v6, v4
	v_fmac_f32_e32 v6, v7, v2
	s_delay_alu instid0(VALU_DEP_1) | instskip(SKIP_1) | instid1(VALU_DEP_1)
	v_fma_f32 v1, -v1, v6, v4
	s_wait_alu 0xfffd
	v_div_fmas_f32 v1, v1, v2, v6
	s_delay_alu instid0(VALU_DEP_1)
	v_div_fixup_f32 v1, v1, v5, 1.0
.LBB13_25:
	v_lshrrev_b32_e32 v2, 16, v59
	v_lshrrev_b32_e32 v5, 16, v55
	v_cvt_f32_f16_e32 v4, v59
	v_cvt_f32_f16_e32 v7, v55
	v_lshrrev_b32_e32 v10, 16, v58
	v_cvt_f32_f16_e32 v2, v2
	v_add_nc_u32_e32 v0, s1, v0
	v_cvt_f32_f16_e32 v5, v5
	v_mov_b32_e32 v18, 0
	v_cvt_f32_f16_e32 v10, v10
	v_cvt_f32_f16_e32 v15, v58
	;; [unrolled: 1-line block ×3, first 2 shown]
	v_mul_f32_e32 v5, v1, v5
	v_mul_f32_e32 v6, v1, v4
	;; [unrolled: 1-line block ×4, first 2 shown]
	v_lshl_add_u32 v17, v0, 9, v30
	v_lshrrev_b32_e32 v2, 16, v57
	v_cvt_f32_f16_e32 v16, v57
	v_lshrrev_b32_e32 v27, 16, v53
	v_cvt_f32_f16_e32 v26, v54
	v_lshlrev_b64_e32 v[8:9], 2, v[17:18]
	v_cvt_f32_f16_e32 v2, v2
	v_mul_f32_e32 v11, v1, v10
	v_mul_f32_e32 v10, v1, v15
	v_lshrrev_b32_e32 v15, 16, v54
	v_cvt_f32_f16_e32 v29, v27
	v_add_co_u32 v21, vcc_lo, s16, v8
	s_wait_alu 0xfffd
	v_add_co_ci_u32_e64 v22, null, s17, v9, vcc_lo
	v_dual_mov_b32 v9, v18 :: v_dual_add_nc_u32 v8, 0x80, v17
	v_cvt_f32_f16_e32 v25, v15
	v_mul_f32_e32 v15, v1, v19
	v_cvt_f32_f16_e32 v30, v53
	s_delay_alu instid0(VALU_DEP_4) | instskip(SKIP_3) | instid1(VALU_DEP_4)
	v_lshlrev_b64_e32 v[13:14], 2, v[8:9]
	v_mul_f32_e32 v9, v1, v2
	v_lshrrev_b32_e32 v2, 16, v56
	v_mul_f32_e32 v8, v1, v16
	v_add_co_u32 v23, vcc_lo, s16, v13
	s_wait_alu 0xfffd
	v_add_co_ci_u32_e64 v24, null, s17, v14, vcc_lo
	v_dual_mov_b32 v14, v18 :: v_dual_add_nc_u32 v13, 0x100, v17
	v_cvt_f32_f16_e32 v2, v2
	v_add_nc_u32_e32 v17, 0x180, v17
	s_delay_alu instid0(VALU_DEP_3) | instskip(NEXT) | instid1(VALU_DEP_3)
	v_lshlrev_b64_e32 v[19:20], 2, v[13:14]
	v_mul_f32_e32 v16, v1, v2
	v_lshrrev_b32_e32 v2, 16, v52
	s_delay_alu instid0(VALU_DEP_4)
	v_lshlrev_b64_e32 v[27:28], 2, v[17:18]
	v_mul_f32_e32 v14, v1, v25
	v_mul_f32_e32 v13, v1, v26
	v_add_co_u32 v25, vcc_lo, s16, v19
	v_cvt_f32_f16_e32 v2, v2
	v_cvt_f32_f16_e32 v19, v52
	s_wait_alu 0xfffd
	v_add_co_ci_u32_e64 v26, null, s17, v20, vcc_lo
	v_mul_f32_e32 v18, v1, v29
	v_mul_f32_e32 v20, v1, v2
	;; [unrolled: 1-line block ×4, first 2 shown]
	v_add_co_u32 v1, vcc_lo, s16, v27
	s_wait_alu 0xfffd
	v_add_co_ci_u32_e64 v2, null, s17, v28, vcc_lo
	s_clause 0x3
	global_store_b128 v[21:22], v[4:7], off
	global_store_b128 v[23:24], v[8:11], off
	;; [unrolled: 1-line block ×4, first 2 shown]
	s_and_b32 exec_lo, exec_lo, s0
	s_cbranch_execz .LBB13_17
; %bb.26:
	v_ashrrev_i32_e32 v1, 31, v0
	v_mov_b32_e32 v2, v12
	s_delay_alu instid0(VALU_DEP_2) | instskip(NEXT) | instid1(VALU_DEP_1)
	v_lshlrev_b64_e32 v[0:1], 3, v[0:1]
	v_add_co_u32 v0, vcc_lo, s18, v0
	s_wait_alu 0xfffd
	s_delay_alu instid0(VALU_DEP_2)
	v_add_co_ci_u32_e64 v1, null, s19, v1, vcc_lo
	global_store_b64 v[0:1], v[2:3], off
	s_nop 0
	s_sendmsg sendmsg(MSG_DEALLOC_VGPRS)
	s_endpgm
	.section	.rodata,"a",@progbits
	.p2align	6, 0x0
	.amdhsa_kernel _ZL15flash_attn_tileILi576ELi512ELi4ELi4ELb0EEvPKcS1_S1_S1_S1_PKiPfP15HIP_vector_typeIfLj2EEffffjfiS5_IjLj3EEiiiiiiiiiiiliiliiiiil
		.amdhsa_group_segment_fixed_size 29696
		.amdhsa_private_segment_fixed_size 0
		.amdhsa_kernarg_size 464
		.amdhsa_user_sgpr_count 2
		.amdhsa_user_sgpr_dispatch_ptr 0
		.amdhsa_user_sgpr_queue_ptr 0
		.amdhsa_user_sgpr_kernarg_segment_ptr 1
		.amdhsa_user_sgpr_dispatch_id 0
		.amdhsa_user_sgpr_private_segment_size 0
		.amdhsa_wavefront_size32 1
		.amdhsa_uses_dynamic_stack 0
		.amdhsa_enable_private_segment 0
		.amdhsa_system_sgpr_workgroup_id_x 1
		.amdhsa_system_sgpr_workgroup_id_y 1
		.amdhsa_system_sgpr_workgroup_id_z 1
		.amdhsa_system_sgpr_workgroup_info 0
		.amdhsa_system_vgpr_workitem_id 1
		.amdhsa_next_free_vgpr 169
		.amdhsa_next_free_sgpr 48
		.amdhsa_reserve_vcc 1
		.amdhsa_float_round_mode_32 0
		.amdhsa_float_round_mode_16_64 0
		.amdhsa_float_denorm_mode_32 3
		.amdhsa_float_denorm_mode_16_64 3
		.amdhsa_fp16_overflow 0
		.amdhsa_workgroup_processor_mode 1
		.amdhsa_memory_ordered 1
		.amdhsa_forward_progress 1
		.amdhsa_inst_pref_size 179
		.amdhsa_round_robin_scheduling 0
		.amdhsa_exception_fp_ieee_invalid_op 0
		.amdhsa_exception_fp_denorm_src 0
		.amdhsa_exception_fp_ieee_div_zero 0
		.amdhsa_exception_fp_ieee_overflow 0
		.amdhsa_exception_fp_ieee_underflow 0
		.amdhsa_exception_fp_ieee_inexact 0
		.amdhsa_exception_int_div_zero 0
	.end_amdhsa_kernel
	.section	.text._ZL15flash_attn_tileILi576ELi512ELi4ELi4ELb0EEvPKcS1_S1_S1_S1_PKiPfP15HIP_vector_typeIfLj2EEffffjfiS5_IjLj3EEiiiiiiiiiiiliiliiiiil,"axG",@progbits,_ZL15flash_attn_tileILi576ELi512ELi4ELi4ELb0EEvPKcS1_S1_S1_S1_PKiPfP15HIP_vector_typeIfLj2EEffffjfiS5_IjLj3EEiiiiiiiiiiiliiliiiiil,comdat
.Lfunc_end13:
	.size	_ZL15flash_attn_tileILi576ELi512ELi4ELi4ELb0EEvPKcS1_S1_S1_S1_PKiPfP15HIP_vector_typeIfLj2EEffffjfiS5_IjLj3EEiiiiiiiiiiiliiliiiiil, .Lfunc_end13-_ZL15flash_attn_tileILi576ELi512ELi4ELi4ELb0EEvPKcS1_S1_S1_S1_PKiPfP15HIP_vector_typeIfLj2EEffffjfiS5_IjLj3EEiiiiiiiiiiiliiliiiiil
                                        ; -- End function
	.set _ZL15flash_attn_tileILi576ELi512ELi4ELi4ELb0EEvPKcS1_S1_S1_S1_PKiPfP15HIP_vector_typeIfLj2EEffffjfiS5_IjLj3EEiiiiiiiiiiiliiliiiiil.num_vgpr, 155
	.set _ZL15flash_attn_tileILi576ELi512ELi4ELi4ELb0EEvPKcS1_S1_S1_S1_PKiPfP15HIP_vector_typeIfLj2EEffffjfiS5_IjLj3EEiiiiiiiiiiiliiliiiiil.num_agpr, 0
	.set _ZL15flash_attn_tileILi576ELi512ELi4ELi4ELb0EEvPKcS1_S1_S1_S1_PKiPfP15HIP_vector_typeIfLj2EEffffjfiS5_IjLj3EEiiiiiiiiiiiliiliiiiil.numbered_sgpr, 48
	.set _ZL15flash_attn_tileILi576ELi512ELi4ELi4ELb0EEvPKcS1_S1_S1_S1_PKiPfP15HIP_vector_typeIfLj2EEffffjfiS5_IjLj3EEiiiiiiiiiiiliiliiiiil.num_named_barrier, 0
	.set _ZL15flash_attn_tileILi576ELi512ELi4ELi4ELb0EEvPKcS1_S1_S1_S1_PKiPfP15HIP_vector_typeIfLj2EEffffjfiS5_IjLj3EEiiiiiiiiiiiliiliiiiil.private_seg_size, 0
	.set _ZL15flash_attn_tileILi576ELi512ELi4ELi4ELb0EEvPKcS1_S1_S1_S1_PKiPfP15HIP_vector_typeIfLj2EEffffjfiS5_IjLj3EEiiiiiiiiiiiliiliiiiil.uses_vcc, 1
	.set _ZL15flash_attn_tileILi576ELi512ELi4ELi4ELb0EEvPKcS1_S1_S1_S1_PKiPfP15HIP_vector_typeIfLj2EEffffjfiS5_IjLj3EEiiiiiiiiiiiliiliiiiil.uses_flat_scratch, 0
	.set _ZL15flash_attn_tileILi576ELi512ELi4ELi4ELb0EEvPKcS1_S1_S1_S1_PKiPfP15HIP_vector_typeIfLj2EEffffjfiS5_IjLj3EEiiiiiiiiiiiliiliiiiil.has_dyn_sized_stack, 0
	.set _ZL15flash_attn_tileILi576ELi512ELi4ELi4ELb0EEvPKcS1_S1_S1_S1_PKiPfP15HIP_vector_typeIfLj2EEffffjfiS5_IjLj3EEiiiiiiiiiiiliiliiiiil.has_recursion, 0
	.set _ZL15flash_attn_tileILi576ELi512ELi4ELi4ELb0EEvPKcS1_S1_S1_S1_PKiPfP15HIP_vector_typeIfLj2EEffffjfiS5_IjLj3EEiiiiiiiiiiiliiliiiiil.has_indirect_call, 0
	.section	.AMDGPU.csdata,"",@progbits
; Kernel info:
; codeLenInByte = 22904
; TotalNumSgprs: 50
; NumVgprs: 155
; ScratchSize: 0
; MemoryBound: 0
; FloatMode: 240
; IeeeMode: 1
; LDSByteSize: 29696 bytes/workgroup (compile time only)
; SGPRBlocks: 0
; VGPRBlocks: 21
; NumSGPRsForWavesPerEU: 50
; NumVGPRsForWavesPerEU: 169
; Occupancy: 8
; WaveLimiterHint : 1
; COMPUTE_PGM_RSRC2:SCRATCH_EN: 0
; COMPUTE_PGM_RSRC2:USER_SGPR: 2
; COMPUTE_PGM_RSRC2:TRAP_HANDLER: 0
; COMPUTE_PGM_RSRC2:TGID_X_EN: 1
; COMPUTE_PGM_RSRC2:TGID_Y_EN: 1
; COMPUTE_PGM_RSRC2:TGID_Z_EN: 1
; COMPUTE_PGM_RSRC2:TIDIG_COMP_CNT: 1
	.section	.text._ZL25flash_attn_mask_to_KV_maxILi4EEvPK7__half2Piiii,"axG",@progbits,_ZL25flash_attn_mask_to_KV_maxILi4EEvPK7__half2Piiii,comdat
	.globl	_ZL25flash_attn_mask_to_KV_maxILi4EEvPK7__half2Piiii ; -- Begin function _ZL25flash_attn_mask_to_KV_maxILi4EEvPK7__half2Piiii
	.p2align	8
	.type	_ZL25flash_attn_mask_to_KV_maxILi4EEvPK7__half2Piiii,@function
_ZL25flash_attn_mask_to_KV_maxILi4EEvPK7__half2Piiii: ; @_ZL25flash_attn_mask_to_KV_maxILi4EEvPK7__half2Piiii
; %bb.0:
	s_load_b64 s[8:9], s[0:1], 0x0
	s_mov_b32 s2, exec_lo
	v_cmpx_gt_u32_e32 32, v0
; %bb.1:
	v_dual_mov_b32 v2, 1 :: v_dual_lshlrev_b32 v1, 2, v0
	ds_store_b32 v1, v2
; %bb.2:
	s_or_b32 exec_lo, exec_lo, s2
	s_clause 0x2
	s_load_b96 s[4:6], s[0:1], 0x10
	s_load_b64 s[2:3], s[0:1], 0x8
	s_load_b32 s1, s[0:1], 0x20
	v_dual_mov_b32 v2, 0 :: v_dual_and_b32 v1, 31, v0
	v_lshrrev_b32_e32 v5, 3, v0
	s_wait_dscnt 0x0
	s_barrier_signal -1
	s_delay_alu instid0(VALU_DEP_2)
	v_lshlrev_b32_e32 v6, 2, v1
	s_barrier_wait -1
	global_inv scope:SCOPE_SE
	s_wait_kmcnt 0x0
	s_mul_i32 s0, ttmp9, s5
	s_mul_i32 s6, s6, ttmp7
	s_lshl_b32 s0, s0, 2
	s_delay_alu instid0(SALU_CYCLE_1) | instskip(SKIP_2) | instid1(SALU_CYCLE_1)
	s_add_co_i32 s6, s6, s0
	v_cmp_eq_u32_e64 s0, 0, v1
	s_ashr_i32 s7, s6, 31
	s_lshl_b64 s[6:7], s[6:7], 2
	s_delay_alu instid0(SALU_CYCLE_1)
	s_add_nc_u64 s[6:7], s[8:9], s[6:7]
	s_lshl_b32 s8, s4, 8
	s_branch .LBB14_4
.LBB14_3:                               ;   in Loop: Header=BB14_4 Depth=1
	s_wait_alu 0xfffe
	s_or_b32 exec_lo, exec_lo, s9
	s_wait_dscnt 0x0
	s_barrier_signal -1
	s_barrier_wait -1
	global_inv scope:SCOPE_SE
	ds_load_b32 v1, v6
	s_wait_loadcnt_dscnt 0x0
	s_barrier_signal -1
	s_barrier_wait -1
	global_inv scope:SCOPE_SE
	v_cmp_ne_u32_e32 vcc_lo, 0, v1
	s_cmp_lg_u32 vcc_lo, exec_lo
	s_cselect_b32 s9, -1, 0
	s_wait_alu 0xfffe
	s_and_b32 vcc_lo, exec_lo, s9
	s_wait_alu 0xfffe
	s_cbranch_vccnz .LBB14_20
.LBB14_4:                               ; =>This Inner Loop Header: Depth=1
	s_mov_b32 s4, s8
	s_addk_co_i32 s8, 0xff00
	s_wait_alu 0xfffe
	s_cmp_lt_i32 s8, 0
	s_cbranch_scc1 .LBB14_19
; %bb.5:                                ;   in Loop: Header=BB14_4 Depth=1
	s_lshr_b32 s9, s8, 1
	s_wait_alu 0xfffe
	v_add_nc_u32_e32 v1, s9, v0
	s_delay_alu instid0(VALU_DEP_1) | instskip(NEXT) | instid1(VALU_DEP_1)
	v_lshlrev_b64_e32 v[3:4], 2, v[1:2]
	v_add_co_u32 v3, vcc_lo, s6, v3
	s_wait_alu 0xfffd
	s_delay_alu instid0(VALU_DEP_2) | instskip(SKIP_4) | instid1(VALU_DEP_2)
	v_add_co_ci_u32_e64 v4, null, s7, v4, vcc_lo
	global_load_b32 v3, v[3:4], off
	s_wait_loadcnt 0x0
	v_lshrrev_b32_e32 v4, 16, v3
	v_cmp_class_f16_e64 s9, v3, 0x204
	v_cmp_class_f16_e64 s10, v4, 0x204
	s_and_b32 s11, s9, s10
	s_mov_b32 s10, 0
	s_wait_alu 0xfffe
	s_and_saveexec_b32 s9, s11
	s_cbranch_execz .LBB14_17
; %bb.6:                                ;   in Loop: Header=BB14_4 Depth=1
	v_add_nc_u32_e32 v3, s5, v1
	s_mov_b32 s11, 0
	s_delay_alu instid0(VALU_DEP_1) | instskip(NEXT) | instid1(VALU_DEP_1)
	v_ashrrev_i32_e32 v4, 31, v3
	v_lshlrev_b64_e32 v[7:8], 2, v[3:4]
	s_delay_alu instid0(VALU_DEP_1) | instskip(SKIP_1) | instid1(VALU_DEP_2)
	v_add_co_u32 v7, vcc_lo, s6, v7
	s_wait_alu 0xfffd
	v_add_co_ci_u32_e64 v8, null, s7, v8, vcc_lo
	global_load_b32 v1, v[7:8], off
	s_wait_loadcnt 0x0
	v_cmp_class_f16_e64 s12, v1, 0x204
	s_and_saveexec_b32 s10, s12
	s_cbranch_execz .LBB14_16
; %bb.7:                                ;   in Loop: Header=BB14_4 Depth=1
	v_lshrrev_b32_e32 v1, 16, v1
	s_mov_b32 s12, 0
	s_delay_alu instid0(VALU_DEP_1)
	v_cmp_class_f16_e64 s13, v1, 0x204
	s_and_saveexec_b32 s11, s13
	s_cbranch_execz .LBB14_15
; %bb.8:                                ;   in Loop: Header=BB14_4 Depth=1
	v_add_nc_u32_e32 v3, s5, v3
	s_mov_b32 s13, 0
	s_delay_alu instid0(VALU_DEP_1) | instskip(NEXT) | instid1(VALU_DEP_1)
	v_ashrrev_i32_e32 v4, 31, v3
	v_lshlrev_b64_e32 v[7:8], 2, v[3:4]
	s_delay_alu instid0(VALU_DEP_1) | instskip(SKIP_1) | instid1(VALU_DEP_2)
	v_add_co_u32 v7, vcc_lo, s6, v7
	s_wait_alu 0xfffd
	v_add_co_ci_u32_e64 v8, null, s7, v8, vcc_lo
	global_load_b32 v1, v[7:8], off
	s_wait_loadcnt 0x0
	v_cmp_class_f16_e64 s14, v1, 0x204
	s_and_saveexec_b32 s12, s14
	s_cbranch_execz .LBB14_14
; %bb.9:                                ;   in Loop: Header=BB14_4 Depth=1
	v_lshrrev_b32_e32 v1, 16, v1
	s_mov_b32 s14, 0
	s_delay_alu instid0(VALU_DEP_1)
	v_cmp_class_f16_e64 s15, v1, 0x204
	s_and_saveexec_b32 s13, s15
	s_cbranch_execz .LBB14_13
; %bb.10:                               ;   in Loop: Header=BB14_4 Depth=1
	v_add_nc_u32_e32 v3, s5, v3
	s_delay_alu instid0(VALU_DEP_1) | instskip(NEXT) | instid1(VALU_DEP_1)
	v_ashrrev_i32_e32 v4, 31, v3
	v_lshlrev_b64_e32 v[3:4], 2, v[3:4]
	s_delay_alu instid0(VALU_DEP_1) | instskip(SKIP_1) | instid1(VALU_DEP_2)
	v_add_co_u32 v3, vcc_lo, s6, v3
	s_wait_alu 0xfffd
	v_add_co_ci_u32_e64 v4, null, s7, v4, vcc_lo
	global_load_b32 v1, v[3:4], off
	s_wait_loadcnt 0x0
	v_cmp_class_f16_e64 s16, v1, 0x204
	s_and_saveexec_b32 s15, s16
; %bb.11:                               ;   in Loop: Header=BB14_4 Depth=1
	v_lshrrev_b32_e32 v1, 16, v1
	s_delay_alu instid0(VALU_DEP_1)
	v_cmp_class_f16_e64 s14, v1, 0x204
	s_and_b32 s14, s14, exec_lo
; %bb.12:                               ;   in Loop: Header=BB14_4 Depth=1
	s_or_b32 exec_lo, exec_lo, s15
	s_delay_alu instid0(SALU_CYCLE_1)
	s_and_b32 s14, s14, exec_lo
.LBB14_13:                              ;   in Loop: Header=BB14_4 Depth=1
	s_or_b32 exec_lo, exec_lo, s13
	s_delay_alu instid0(SALU_CYCLE_1)
	s_and_b32 s13, s14, exec_lo
.LBB14_14:                              ;   in Loop: Header=BB14_4 Depth=1
	s_or_b32 exec_lo, exec_lo, s12
	s_delay_alu instid0(SALU_CYCLE_1)
	s_and_b32 s12, s13, exec_lo
.LBB14_15:                              ;   in Loop: Header=BB14_4 Depth=1
	s_wait_alu 0xfffe
	s_or_b32 exec_lo, exec_lo, s11
	s_delay_alu instid0(SALU_CYCLE_1)
	s_and_b32 s11, s12, exec_lo
.LBB14_16:                              ;   in Loop: Header=BB14_4 Depth=1
	s_wait_alu 0xfffe
	s_or_b32 exec_lo, exec_lo, s10
	s_delay_alu instid0(SALU_CYCLE_1)
	s_and_b32 s10, s11, exec_lo
.LBB14_17:                              ;   in Loop: Header=BB14_4 Depth=1
	s_wait_alu 0xfffe
	s_or_b32 exec_lo, exec_lo, s9
	v_cndmask_b32_e64 v1, 0, 1, s10
	s_mov_b32 s11, exec_lo
	s_delay_alu instid0(VALU_DEP_1)
	v_cmp_ne_u32_e32 vcc_lo, 0, v1
	s_and_saveexec_b32 s9, s0
	s_cbranch_execz .LBB14_3
; %bb.18:                               ;   in Loop: Header=BB14_4 Depth=1
	s_wait_alu 0xfffe
	s_cmp_eq_u32 vcc_lo, s11
	s_cselect_b32 s10, -1, 0
	s_wait_alu 0xfffe
	v_cndmask_b32_e64 v1, 0, 1, s10
	ds_store_b32 v5, v1
	s_branch .LBB14_3
.LBB14_19:                              ;   in Loop: Header=BB14_4 Depth=1
	s_cbranch_execz .LBB14_4
.LBB14_20:
	s_mov_b32 s0, exec_lo
	v_cmpx_eq_u32_e32 0, v0
	s_cbranch_execz .LBB14_22
; %bb.21:
	s_mul_i32 s0, s1, ttmp7
	v_dual_mov_b32 v0, 0 :: v_dual_mov_b32 v1, s4
	s_add_co_i32 s0, s0, ttmp9
	s_delay_alu instid0(SALU_CYCLE_1) | instskip(NEXT) | instid1(SALU_CYCLE_1)
	s_ashr_i32 s1, s0, 31
	s_lshl_b64 s[0:1], s[0:1], 2
	s_delay_alu instid0(SALU_CYCLE_1)
	s_add_nc_u64 s[0:1], s[2:3], s[0:1]
	global_store_b32 v0, v1, s[0:1]
.LBB14_22:
	s_endpgm
	.section	.rodata,"a",@progbits
	.p2align	6, 0x0
	.amdhsa_kernel _ZL25flash_attn_mask_to_KV_maxILi4EEvPK7__half2Piiii
		.amdhsa_group_segment_fixed_size 128
		.amdhsa_private_segment_fixed_size 0
		.amdhsa_kernarg_size 288
		.amdhsa_user_sgpr_count 2
		.amdhsa_user_sgpr_dispatch_ptr 0
		.amdhsa_user_sgpr_queue_ptr 0
		.amdhsa_user_sgpr_kernarg_segment_ptr 1
		.amdhsa_user_sgpr_dispatch_id 0
		.amdhsa_user_sgpr_private_segment_size 0
		.amdhsa_wavefront_size32 1
		.amdhsa_uses_dynamic_stack 0
		.amdhsa_enable_private_segment 0
		.amdhsa_system_sgpr_workgroup_id_x 1
		.amdhsa_system_sgpr_workgroup_id_y 1
		.amdhsa_system_sgpr_workgroup_id_z 0
		.amdhsa_system_sgpr_workgroup_info 0
		.amdhsa_system_vgpr_workitem_id 0
		.amdhsa_next_free_vgpr 9
		.amdhsa_next_free_sgpr 17
		.amdhsa_reserve_vcc 1
		.amdhsa_float_round_mode_32 0
		.amdhsa_float_round_mode_16_64 0
		.amdhsa_float_denorm_mode_32 3
		.amdhsa_float_denorm_mode_16_64 3
		.amdhsa_fp16_overflow 0
		.amdhsa_workgroup_processor_mode 1
		.amdhsa_memory_ordered 1
		.amdhsa_forward_progress 1
		.amdhsa_inst_pref_size 8
		.amdhsa_round_robin_scheduling 0
		.amdhsa_exception_fp_ieee_invalid_op 0
		.amdhsa_exception_fp_denorm_src 0
		.amdhsa_exception_fp_ieee_div_zero 0
		.amdhsa_exception_fp_ieee_overflow 0
		.amdhsa_exception_fp_ieee_underflow 0
		.amdhsa_exception_fp_ieee_inexact 0
		.amdhsa_exception_int_div_zero 0
	.end_amdhsa_kernel
	.section	.text._ZL25flash_attn_mask_to_KV_maxILi4EEvPK7__half2Piiii,"axG",@progbits,_ZL25flash_attn_mask_to_KV_maxILi4EEvPK7__half2Piiii,comdat
.Lfunc_end14:
	.size	_ZL25flash_attn_mask_to_KV_maxILi4EEvPK7__half2Piiii, .Lfunc_end14-_ZL25flash_attn_mask_to_KV_maxILi4EEvPK7__half2Piiii
                                        ; -- End function
	.set _ZL25flash_attn_mask_to_KV_maxILi4EEvPK7__half2Piiii.num_vgpr, 9
	.set _ZL25flash_attn_mask_to_KV_maxILi4EEvPK7__half2Piiii.num_agpr, 0
	.set _ZL25flash_attn_mask_to_KV_maxILi4EEvPK7__half2Piiii.numbered_sgpr, 17
	.set _ZL25flash_attn_mask_to_KV_maxILi4EEvPK7__half2Piiii.num_named_barrier, 0
	.set _ZL25flash_attn_mask_to_KV_maxILi4EEvPK7__half2Piiii.private_seg_size, 0
	.set _ZL25flash_attn_mask_to_KV_maxILi4EEvPK7__half2Piiii.uses_vcc, 1
	.set _ZL25flash_attn_mask_to_KV_maxILi4EEvPK7__half2Piiii.uses_flat_scratch, 0
	.set _ZL25flash_attn_mask_to_KV_maxILi4EEvPK7__half2Piiii.has_dyn_sized_stack, 0
	.set _ZL25flash_attn_mask_to_KV_maxILi4EEvPK7__half2Piiii.has_recursion, 0
	.set _ZL25flash_attn_mask_to_KV_maxILi4EEvPK7__half2Piiii.has_indirect_call, 0
	.section	.AMDGPU.csdata,"",@progbits
; Kernel info:
; codeLenInByte = 912
; TotalNumSgprs: 19
; NumVgprs: 9
; ScratchSize: 0
; MemoryBound: 0
; FloatMode: 240
; IeeeMode: 1
; LDSByteSize: 128 bytes/workgroup (compile time only)
; SGPRBlocks: 0
; VGPRBlocks: 1
; NumSGPRsForWavesPerEU: 19
; NumVGPRsForWavesPerEU: 9
; Occupancy: 16
; WaveLimiterHint : 0
; COMPUTE_PGM_RSRC2:SCRATCH_EN: 0
; COMPUTE_PGM_RSRC2:USER_SGPR: 2
; COMPUTE_PGM_RSRC2:TRAP_HANDLER: 0
; COMPUTE_PGM_RSRC2:TGID_X_EN: 1
; COMPUTE_PGM_RSRC2:TGID_Y_EN: 1
; COMPUTE_PGM_RSRC2:TGID_Z_EN: 0
; COMPUTE_PGM_RSRC2:TIDIG_COMP_CNT: 0
	.section	.text._ZL33flash_attn_stream_k_fixup_uniformILi512ELi4ELi4EEvPfPK15HIP_vector_typeIfLj2EEiiiiiiS1_IjLj3EES5_S5_,"axG",@progbits,_ZL33flash_attn_stream_k_fixup_uniformILi512ELi4ELi4EEvPfPK15HIP_vector_typeIfLj2EEiiiiiiS1_IjLj3EES5_S5_,comdat
	.globl	_ZL33flash_attn_stream_k_fixup_uniformILi512ELi4ELi4EEvPfPK15HIP_vector_typeIfLj2EEiiiiiiS1_IjLj3EES5_S5_ ; -- Begin function _ZL33flash_attn_stream_k_fixup_uniformILi512ELi4ELi4EEvPfPK15HIP_vector_typeIfLj2EEiiiiiiS1_IjLj3EES5_S5_
	.p2align	8
	.type	_ZL33flash_attn_stream_k_fixup_uniformILi512ELi4ELi4EEvPfPK15HIP_vector_typeIfLj2EEiiiiiiS1_IjLj3EES5_S5_,@function
_ZL33flash_attn_stream_k_fixup_uniformILi512ELi4ELi4EEvPfPK15HIP_vector_typeIfLj2EEiiiiiiS1_IjLj3EES5_S5_: ; @_ZL33flash_attn_stream_k_fixup_uniformILi512ELi4ELi4EEvPfPK15HIP_vector_typeIfLj2EEiiiiiiS1_IjLj3EES5_S5_
; %bb.0:
	s_clause 0x1
	s_load_b256 s[4:11], s[0:1], 0x1c
	s_load_b128 s[12:15], s[0:1], 0x3c
	s_wait_kmcnt 0x0
	s_mul_hi_u32 s2, s7, ttmp9
	s_delay_alu instid0(SALU_CYCLE_1) | instskip(NEXT) | instid1(SALU_CYCLE_1)
	s_add_co_i32 s2, ttmp9, s2
	s_lshr_b32 s2, s2, s8
	s_delay_alu instid0(SALU_CYCLE_1) | instskip(SKIP_2) | instid1(SALU_CYCLE_1)
	s_mul_i32 s3, s2, s9
	s_load_b64 s[8:9], s[0:1], 0x10
	s_sub_co_i32 s7, ttmp9, s3
	s_mul_hi_u32 s3, s7, s10
	s_delay_alu instid0(SALU_CYCLE_1) | instskip(NEXT) | instid1(SALU_CYCLE_1)
	s_add_co_i32 s3, s7, s3
	s_lshr_b32 s3, s3, s11
	s_delay_alu instid0(SALU_CYCLE_1) | instskip(NEXT) | instid1(SALU_CYCLE_1)
	s_mul_i32 s10, s3, s12
	s_sub_co_i32 s7, s7, s10
	s_delay_alu instid0(SALU_CYCLE_1) | instskip(NEXT) | instid1(SALU_CYCLE_1)
	s_mul_hi_u32 s10, s7, s13
	s_add_co_i32 s10, s7, s10
	s_delay_alu instid0(SALU_CYCLE_1) | instskip(NEXT) | instid1(SALU_CYCLE_1)
	s_lshr_b32 s12, s10, s14
	s_mul_i32 s10, s12, s15
	s_lshl_b32 s12, s12, 2
	s_sub_co_i32 s11, s7, s10
	s_and_b32 s7, ttmp7, 0xffff
	s_lshl_b32 s13, s11, 2
	s_lshr_b32 s10, ttmp7, 16
	s_add_co_i32 s13, s13, s7
	s_wait_kmcnt 0x0
	s_cmp_lt_i32 s13, s8
	s_cselect_b32 s13, -1, 0
	s_add_co_i32 s14, s12, s10
	s_delay_alu instid0(SALU_CYCLE_1) | instskip(SKIP_1) | instid1(SALU_CYCLE_1)
	s_cmp_lt_i32 s14, s5
	s_cselect_b32 s14, -1, 0
	s_and_b32 s13, s13, s14
	s_delay_alu instid0(SALU_CYCLE_1)
	s_and_not1_b32 vcc_lo, exec_lo, s13
	s_cbranch_vccnz .LBB15_6
; %bb.1:
	s_mul_i32 s2, s2, s8
	s_mul_i32 s5, s3, s5
	s_add_co_i32 s2, s2, s7
	s_delay_alu instid0(SALU_CYCLE_1) | instskip(NEXT) | instid1(SALU_CYCLE_1)
	s_mul_i32 s2, s2, s9
	s_add_co_i32 s8, s2, s10
	s_load_b128 s[0:3], s[0:1], 0x0
	s_add_co_i32 s5, s8, s5
	s_mul_i32 s8, s9, s11
	s_add_co_i32 s5, s5, s12
	s_lshl_b32 s8, s8, 11
	s_lshl_b32 s5, s5, 9
	s_delay_alu instid0(SALU_CYCLE_1)
	s_add_co_i32 s8, s8, s5
	s_lshl_b32 s5, s7, 2
	v_or_b32_e32 v1, s8, v0
	s_mul_i32 s8, s6, ttmp9
	s_wait_alu 0xfffe
	s_add_co_i32 s9, s8, s6
	s_wait_alu 0xfffe
	s_add_co_i32 s12, s9, -2
	v_ashrrev_i32_e32 v2, 31, v1
	s_delay_alu instid0(VALU_DEP_1) | instskip(SKIP_1) | instid1(VALU_DEP_1)
	v_lshlrev_b64_e32 v[1:2], 2, v[1:2]
	s_wait_kmcnt 0x0
	v_add_co_u32 v1, vcc_lo, s0, v1
	s_delay_alu instid0(VALU_DEP_1)
	v_add_co_ci_u32_e64 v2, null, s1, v2, vcc_lo
	s_add_co_i32 s0, s5, s10
	s_lshl_b32 s1, s9, 4
	global_load_b32 v5, v[1:2], off
	s_wait_alu 0xfffe
	s_add_co_i32 s0, s0, s1
	s_wait_alu 0xfffe
	s_add_co_i32 s0, s0, -16
	s_wait_alu 0xfffe
	s_ashr_i32 s1, s0, 31
	s_wait_alu 0xfffe
	s_lshl_b64 s[0:1], s[0:1], 3
	s_cmp_lt_i32 s12, s8
	s_wait_alu 0xfffe
	s_add_nc_u64 s[0:1], s[2:3], s[0:1]
	s_load_b32 s11, s[0:1], 0x4
	s_cbranch_scc1 .LBB15_4
; %bb.2:
	s_load_b32 s0, s[0:1], 0x0
	s_add_co_i32 s13, ttmp9, 1
	s_lshl_b32 s12, s4, 6
	s_mul_i32 s1, s6, s13
	s_lshl_b32 s6, s7, 11
	s_lshl_b32 s7, s10, 9
	s_wait_alu 0xfffe
	s_lshl_b32 s14, s1, 13
	s_add_co_i32 s6, s7, s6
	s_lshl_b32 s1, s1, 4
	s_add_co_i32 s14, s6, s14
	s_wait_alu 0xfffe
	s_add_co_i32 s1, s10, s1
	v_or_b32_e32 v0, s14, v0
	s_lshl_b32 s4, s4, 4
	s_ashr_i32 s13, s12, 31
	s_wait_alu 0xfffe
	s_add_co_i32 s1, s1, s4
	s_wait_kmcnt 0x0
	v_dual_mov_b32 v6, s11 :: v_dual_add_nc_u32 v3, 0xffffc000, v0
	s_lshl_b64 s[6:7], s[12:13], 2
	s_wait_alu 0xfffe
	s_add_co_i32 s4, s1, s5
	s_add_nc_u64 s[6:7], s[2:3], s[6:7]
	s_add_co_i32 s1, s9, -1
	s_sub_co_i32 s4, s4, 32
.LBB15_3:                               ; =>This Inner Loop Header: Depth=1
	v_ashrrev_i32_e32 v4, 31, v3
	s_ashr_i32 s5, s4, 31
	v_mov_b32_e32 v10, v6
	s_lshl_b64 s[10:11], s[4:5], 3
	s_wait_loadcnt 0x0
	v_mov_b32_e32 v9, v5
	v_lshlrev_b64_e32 v[7:8], 2, v[3:4]
	s_wait_alu 0xfffe
	s_add_nc_u64 s[10:11], s[2:3], s[10:11]
	v_max_num_f32_e64 v4, s0, s0
	s_load_b64 s[10:11], s[10:11], 0x0
	v_add_nc_u32_e32 v3, 0xffffe000, v3
	v_add_co_u32 v7, vcc_lo, s6, v7
	s_wait_alu 0xfffd
	v_add_co_ci_u32_e64 v8, null, s7, v8, vcc_lo
	v_readfirstlane_b32 s5, v4
	global_load_b32 v0, v[7:8], off
	s_wait_kmcnt 0x0
	v_max_num_f32_e64 v4, s10, s10
	s_delay_alu instid0(VALU_DEP_1) | instskip(SKIP_1) | instid1(SALU_CYCLE_3)
	v_readfirstlane_b32 s9, v4
	s_max_num_f32 s5, s5, s9
	s_sub_f32 s0, s0, s5
	s_sub_f32 s9, s10, s5
	s_wait_alu 0xfffe
	s_delay_alu instid0(SALU_CYCLE_1) | instskip(NEXT) | instid1(SALU_CYCLE_1)
	s_mul_f32 s10, s0, 0x3fb8aa3b
	s_mul_f32 s12, s9, 0x3fb8aa3b
	s_wait_alu 0xfffe
	s_delay_alu instid0(SALU_CYCLE_1)
	s_xor_b32 s13, s10, 0x80000000
	s_rndne_f32 s14, s10
	s_fmamk_f32 s13, s0, 0x3fb8aa3b, s13
	s_cmp_nlt_f32 s0, 0xc2ce8ed0
	s_rndne_f32 s15, s12
	s_wait_alu 0xfffe
	s_sub_f32 s10, s10, s14
	s_fmamk_f32 s13, s0, 0x32a5705f, s13
	s_cvt_i32_f32 s14, s14
	s_cselect_b32 vcc_lo, -1, 0
	s_cmp_ngt_f32 s0, 0x42b17218
	s_wait_alu 0xfffe
	s_add_f32 s10, s10, s13
	s_sub_f32 s13, s12, s15
	s_wait_alu 0xfffe
	s_delay_alu instid0(SALU_CYCLE_1) | instskip(SKIP_1) | instid1(TRANS32_DEP_1)
	v_s_exp_f32 s10, s10
	s_wait_alu 0xf1ff
	v_ldexp_f32 v4, s10, s14
	s_cvt_i32_f32 s10, s15
	s_delay_alu instid0(VALU_DEP_1) | instskip(SKIP_3) | instid1(VALU_DEP_1)
	v_cndmask_b32_e32 v4, 0, v4, vcc_lo
	s_cselect_b32 vcc_lo, -1, 0
	s_cmp_ge_f32 s0, 0xc1a00000
	s_wait_alu 0xfffe
	v_cndmask_b32_e32 v4, 0x7f800000, v4, vcc_lo
	s_cselect_b32 vcc_lo, -1, 0
	s_xor_b32 s0, s12, 0x80000000
	s_cmp_nlt_f32 s9, 0xc2ce8ed0
	s_wait_alu 0xfffe
	s_fmamk_f32 s0, s9, 0x3fb8aa3b, s0
	s_wait_alu 0xfffe
	s_delay_alu instid0(SALU_CYCLE_2) | instskip(SKIP_1) | instid1(SALU_CYCLE_2)
	s_fmamk_f32 s0, s9, 0x32a5705f, s0
	s_wait_alu 0xfffe
	s_add_f32 s0, s13, s0
	s_wait_alu 0xfffe
	s_delay_alu instid0(SALU_CYCLE_2) | instskip(SKIP_1) | instid1(TRANS32_DEP_1)
	v_s_exp_f32 s0, s0
	s_wait_alu 0xf1ff
	v_ldexp_f32 v7, s0, s10
	s_cselect_b32 s0, -1, 0
	s_cmp_ngt_f32 s9, 0x42b17218
	s_wait_alu 0xfffe
	s_delay_alu instid0(VALU_DEP_1) | instskip(SKIP_3) | instid1(VALU_DEP_1)
	v_cndmask_b32_e64 v7, 0, v7, s0
	s_cselect_b32 s0, -1, 0
	s_cmp_ge_f32 s9, 0xc1a00000
	s_wait_alu 0xfffe
	v_cndmask_b32_e64 v7, 0x7f800000, v7, s0
	s_cselect_b32 s0, -1, 0
	s_add_co_i32 s1, s1, -1
	s_add_co_i32 s4, s4, -16
	s_wait_alu 0xfffe
	s_cmp_le_i32 s1, s8
	v_cndmask_b32_e64 v7, 0, v7, s0
	s_mov_b32 s0, s5
	s_wait_loadcnt 0x0
	s_delay_alu instid0(VALU_DEP_1) | instskip(NEXT) | instid1(VALU_DEP_1)
	v_dual_mul_f32 v5, v0, v7 :: v_dual_cndmask_b32 v4, 0, v4
	v_dual_mul_f32 v8, s11, v7 :: v_dual_fmac_f32 v5, v9, v4
	s_delay_alu instid0(VALU_DEP_1) | instskip(NEXT) | instid1(VALU_DEP_1)
	v_mov_b32_e32 v6, v8
	v_fmac_f32_e32 v6, v10, v4
	s_cbranch_scc0 .LBB15_3
	s_branch .LBB15_5
.LBB15_4:
	s_wait_kmcnt 0x0
	v_mov_b32_e32 v6, s11
.LBB15_5:
	s_wait_loadcnt 0x0
	s_delay_alu instid0(VALU_DEP_1) | instskip(NEXT) | instid1(VALU_DEP_1)
	v_div_scale_f32 v0, null, v6, v6, v5
	v_rcp_f32_e32 v3, v0
	s_delay_alu instid0(TRANS32_DEP_1) | instskip(NEXT) | instid1(VALU_DEP_1)
	v_fma_f32 v4, -v0, v3, 1.0
	v_fmac_f32_e32 v3, v4, v3
	v_div_scale_f32 v4, vcc_lo, v5, v6, v5
	s_delay_alu instid0(VALU_DEP_1) | instskip(NEXT) | instid1(VALU_DEP_1)
	v_mul_f32_e32 v7, v4, v3
	v_fma_f32 v8, -v0, v7, v4
	s_delay_alu instid0(VALU_DEP_1) | instskip(NEXT) | instid1(VALU_DEP_1)
	v_fmac_f32_e32 v7, v8, v3
	v_fma_f32 v0, -v0, v7, v4
	s_wait_alu 0xfffd
	s_delay_alu instid0(VALU_DEP_1) | instskip(NEXT) | instid1(VALU_DEP_1)
	v_div_fmas_f32 v0, v0, v3, v7
	v_div_fixup_f32 v0, v0, v6, v5
	global_store_b32 v[1:2], v0, off
.LBB15_6:
	s_endpgm
	.section	.rodata,"a",@progbits
	.p2align	6, 0x0
	.amdhsa_kernel _ZL33flash_attn_stream_k_fixup_uniformILi512ELi4ELi4EEvPfPK15HIP_vector_typeIfLj2EEiiiiiiS1_IjLj3EES5_S5_
		.amdhsa_group_segment_fixed_size 0
		.amdhsa_private_segment_fixed_size 0
		.amdhsa_kernarg_size 76
		.amdhsa_user_sgpr_count 2
		.amdhsa_user_sgpr_dispatch_ptr 0
		.amdhsa_user_sgpr_queue_ptr 0
		.amdhsa_user_sgpr_kernarg_segment_ptr 1
		.amdhsa_user_sgpr_dispatch_id 0
		.amdhsa_user_sgpr_private_segment_size 0
		.amdhsa_wavefront_size32 1
		.amdhsa_uses_dynamic_stack 0
		.amdhsa_enable_private_segment 0
		.amdhsa_system_sgpr_workgroup_id_x 1
		.amdhsa_system_sgpr_workgroup_id_y 1
		.amdhsa_system_sgpr_workgroup_id_z 1
		.amdhsa_system_sgpr_workgroup_info 0
		.amdhsa_system_vgpr_workitem_id 0
		.amdhsa_next_free_vgpr 11
		.amdhsa_next_free_sgpr 16
		.amdhsa_reserve_vcc 1
		.amdhsa_float_round_mode_32 0
		.amdhsa_float_round_mode_16_64 0
		.amdhsa_float_denorm_mode_32 3
		.amdhsa_float_denorm_mode_16_64 3
		.amdhsa_fp16_overflow 0
		.amdhsa_workgroup_processor_mode 1
		.amdhsa_memory_ordered 1
		.amdhsa_forward_progress 1
		.amdhsa_inst_pref_size 9
		.amdhsa_round_robin_scheduling 0
		.amdhsa_exception_fp_ieee_invalid_op 0
		.amdhsa_exception_fp_denorm_src 0
		.amdhsa_exception_fp_ieee_div_zero 0
		.amdhsa_exception_fp_ieee_overflow 0
		.amdhsa_exception_fp_ieee_underflow 0
		.amdhsa_exception_fp_ieee_inexact 0
		.amdhsa_exception_int_div_zero 0
	.end_amdhsa_kernel
	.section	.text._ZL33flash_attn_stream_k_fixup_uniformILi512ELi4ELi4EEvPfPK15HIP_vector_typeIfLj2EEiiiiiiS1_IjLj3EES5_S5_,"axG",@progbits,_ZL33flash_attn_stream_k_fixup_uniformILi512ELi4ELi4EEvPfPK15HIP_vector_typeIfLj2EEiiiiiiS1_IjLj3EES5_S5_,comdat
.Lfunc_end15:
	.size	_ZL33flash_attn_stream_k_fixup_uniformILi512ELi4ELi4EEvPfPK15HIP_vector_typeIfLj2EEiiiiiiS1_IjLj3EES5_S5_, .Lfunc_end15-_ZL33flash_attn_stream_k_fixup_uniformILi512ELi4ELi4EEvPfPK15HIP_vector_typeIfLj2EEiiiiiiS1_IjLj3EES5_S5_
                                        ; -- End function
	.set _ZL33flash_attn_stream_k_fixup_uniformILi512ELi4ELi4EEvPfPK15HIP_vector_typeIfLj2EEiiiiiiS1_IjLj3EES5_S5_.num_vgpr, 11
	.set _ZL33flash_attn_stream_k_fixup_uniformILi512ELi4ELi4EEvPfPK15HIP_vector_typeIfLj2EEiiiiiiS1_IjLj3EES5_S5_.num_agpr, 0
	.set _ZL33flash_attn_stream_k_fixup_uniformILi512ELi4ELi4EEvPfPK15HIP_vector_typeIfLj2EEiiiiiiS1_IjLj3EES5_S5_.numbered_sgpr, 16
	.set _ZL33flash_attn_stream_k_fixup_uniformILi512ELi4ELi4EEvPfPK15HIP_vector_typeIfLj2EEiiiiiiS1_IjLj3EES5_S5_.num_named_barrier, 0
	.set _ZL33flash_attn_stream_k_fixup_uniformILi512ELi4ELi4EEvPfPK15HIP_vector_typeIfLj2EEiiiiiiS1_IjLj3EES5_S5_.private_seg_size, 0
	.set _ZL33flash_attn_stream_k_fixup_uniformILi512ELi4ELi4EEvPfPK15HIP_vector_typeIfLj2EEiiiiiiS1_IjLj3EES5_S5_.uses_vcc, 1
	.set _ZL33flash_attn_stream_k_fixup_uniformILi512ELi4ELi4EEvPfPK15HIP_vector_typeIfLj2EEiiiiiiS1_IjLj3EES5_S5_.uses_flat_scratch, 0
	.set _ZL33flash_attn_stream_k_fixup_uniformILi512ELi4ELi4EEvPfPK15HIP_vector_typeIfLj2EEiiiiiiS1_IjLj3EES5_S5_.has_dyn_sized_stack, 0
	.set _ZL33flash_attn_stream_k_fixup_uniformILi512ELi4ELi4EEvPfPK15HIP_vector_typeIfLj2EEiiiiiiS1_IjLj3EES5_S5_.has_recursion, 0
	.set _ZL33flash_attn_stream_k_fixup_uniformILi512ELi4ELi4EEvPfPK15HIP_vector_typeIfLj2EEiiiiiiS1_IjLj3EES5_S5_.has_indirect_call, 0
	.section	.AMDGPU.csdata,"",@progbits
; Kernel info:
; codeLenInByte = 1140
; TotalNumSgprs: 18
; NumVgprs: 11
; ScratchSize: 0
; MemoryBound: 0
; FloatMode: 240
; IeeeMode: 1
; LDSByteSize: 0 bytes/workgroup (compile time only)
; SGPRBlocks: 0
; VGPRBlocks: 1
; NumSGPRsForWavesPerEU: 18
; NumVGPRsForWavesPerEU: 11
; Occupancy: 16
; WaveLimiterHint : 0
; COMPUTE_PGM_RSRC2:SCRATCH_EN: 0
; COMPUTE_PGM_RSRC2:USER_SGPR: 2
; COMPUTE_PGM_RSRC2:TRAP_HANDLER: 0
; COMPUTE_PGM_RSRC2:TGID_X_EN: 1
; COMPUTE_PGM_RSRC2:TGID_Y_EN: 1
; COMPUTE_PGM_RSRC2:TGID_Z_EN: 1
; COMPUTE_PGM_RSRC2:TIDIG_COMP_CNT: 0
	.section	.text._ZL33flash_attn_stream_k_fixup_generalILi512ELi4ELi4EEvPfPK15HIP_vector_typeIfLj2EEiiiiS1_IjLj3EES5_S5_S5_,"axG",@progbits,_ZL33flash_attn_stream_k_fixup_generalILi512ELi4ELi4EEvPfPK15HIP_vector_typeIfLj2EEiiiiS1_IjLj3EES5_S5_S5_,comdat
	.globl	_ZL33flash_attn_stream_k_fixup_generalILi512ELi4ELi4EEvPfPK15HIP_vector_typeIfLj2EEiiiiS1_IjLj3EES5_S5_S5_ ; -- Begin function _ZL33flash_attn_stream_k_fixup_generalILi512ELi4ELi4EEvPfPK15HIP_vector_typeIfLj2EEiiiiS1_IjLj3EES5_S5_S5_
	.p2align	8
	.type	_ZL33flash_attn_stream_k_fixup_generalILi512ELi4ELi4EEvPfPK15HIP_vector_typeIfLj2EEiiiiS1_IjLj3EES5_S5_S5_,@function
_ZL33flash_attn_stream_k_fixup_generalILi512ELi4ELi4EEvPfPK15HIP_vector_typeIfLj2EEiiiiS1_IjLj3EES5_S5_S5_: ; @_ZL33flash_attn_stream_k_fixup_generalILi512ELi4ELi4EEvPfPK15HIP_vector_typeIfLj2EEiiiiS1_IjLj3EES5_S5_S5_
; %bb.0:
	s_clause 0x1
	s_load_b128 s[4:7], s[0:1], 0x10
	s_load_b32 s16, s[0:1], 0x50
	s_mov_b32 s2, ttmp9
	s_ashr_i32 s3, ttmp9, 31
	s_mov_b32 s17, 0
	s_delay_alu instid0(SALU_CYCLE_1) | instskip(SKIP_3) | instid1(SALU_CYCLE_1)
	s_mov_b32 s8, s17
	s_wait_kmcnt 0x0
	s_ashr_i32 s19, s7, 31
	s_mov_b32 s18, s7
	s_mul_u64 s[2:3], s[18:19], s[2:3]
	s_delay_alu instid0(SALU_CYCLE_1) | instskip(NEXT) | instid1(SALU_CYCLE_1)
	s_mov_b32 s9, s3
	s_cmp_lg_u64 s[8:9], 0
	s_cbranch_scc0 .LBB16_21
; %bb.1:
	s_add_nc_u64 s[8:9], s[16:17], 0
	s_mov_b32 s15, s17
	s_xor_b64 s[8:9], s[8:9], 0
	s_mov_b32 s23, s17
	s_cvt_f32_u32 s7, s8
	s_cvt_f32_u32 s10, s9
	s_sub_nc_u64 s[12:13], 0, s[8:9]
	s_delay_alu instid0(SALU_CYCLE_2) | instskip(NEXT) | instid1(SALU_CYCLE_3)
	s_fmamk_f32 s7, s10, 0x4f800000, s7
	v_s_rcp_f32 s7, s7
	s_delay_alu instid0(TRANS32_DEP_1) | instskip(SKIP_1) | instid1(SALU_CYCLE_2)
	s_mul_f32 s7, s7, 0x5f7ffffc
	s_wait_alu 0xfffe
	s_mul_f32 s10, s7, 0x2f800000
	s_delay_alu instid0(SALU_CYCLE_3) | instskip(NEXT) | instid1(SALU_CYCLE_3)
	s_trunc_f32 s10, s10
	s_fmamk_f32 s7, s10, 0xcf800000, s7
	s_cvt_u32_f32 s11, s10
	s_wait_alu 0xfffe
	s_delay_alu instid0(SALU_CYCLE_1) | instskip(NEXT) | instid1(SALU_CYCLE_3)
	s_cvt_u32_f32 s10, s7
	s_mul_u64 s[20:21], s[12:13], s[10:11]
	s_delay_alu instid0(SALU_CYCLE_1)
	s_mul_hi_u32 s25, s10, s21
	s_mul_i32 s24, s10, s21
	s_mul_hi_u32 s14, s10, s20
	s_mul_i32 s22, s11, s20
	s_add_nc_u64 s[14:15], s[14:15], s[24:25]
	s_mul_hi_u32 s7, s11, s20
	s_mul_hi_u32 s26, s11, s21
	s_add_co_u32 s14, s14, s22
	s_wait_alu 0xfffe
	s_add_co_ci_u32 s22, s15, s7
	s_mul_i32 s20, s11, s21
	s_add_co_ci_u32 s21, s26, 0
	s_delay_alu instid0(SALU_CYCLE_1)
	s_add_nc_u64 s[14:15], s[22:23], s[20:21]
	s_mov_b32 s21, s17
	s_add_co_u32 s10, s10, s14
	s_cselect_b32 s7, -1, 0
	s_wait_alu 0xfffe
	s_cmp_lg_u32 s7, 0
	s_add_co_ci_u32 s11, s11, s15
	s_mov_b32 s15, s17
	s_mul_u64 s[12:13], s[12:13], s[10:11]
	s_delay_alu instid0(SALU_CYCLE_1)
	s_mul_hi_u32 s23, s10, s13
	s_mul_i32 s22, s10, s13
	s_mul_hi_u32 s14, s10, s12
	s_mul_i32 s20, s11, s12
	s_add_nc_u64 s[14:15], s[14:15], s[22:23]
	s_mul_hi_u32 s7, s11, s12
	s_mul_hi_u32 s24, s11, s13
	s_mul_i32 s12, s11, s13
	s_add_co_u32 s13, s14, s20
	s_wait_alu 0xfffe
	s_add_co_ci_u32 s20, s15, s7
	s_add_co_ci_u32 s13, s24, 0
	s_mov_b32 s15, s17
	s_add_nc_u64 s[12:13], s[20:21], s[12:13]
	s_delay_alu instid0(SALU_CYCLE_1) | instskip(SKIP_1) | instid1(SALU_CYCLE_1)
	s_add_co_u32 s7, s10, s12
	s_cselect_b32 s10, -1, 0
	s_cmp_lg_u32 s10, 0
	s_add_co_ci_u32 s20, s11, s13
	s_ashr_i32 s10, s3, 31
	s_delay_alu instid0(SALU_CYCLE_1) | instskip(NEXT) | instid1(SALU_CYCLE_1)
	s_mov_b32 s11, s10
	s_add_nc_u64 s[12:13], s[2:3], s[10:11]
	s_delay_alu instid0(SALU_CYCLE_1) | instskip(NEXT) | instid1(SALU_CYCLE_1)
	s_xor_b64 s[12:13], s[12:13], s[10:11]
	s_mul_hi_u32 s23, s12, s20
	s_mul_i32 s22, s12, s20
	s_wait_alu 0xfffe
	s_mul_hi_u32 s14, s12, s7
	s_mul_hi_u32 s24, s13, s7
	s_mul_i32 s7, s13, s7
	s_add_nc_u64 s[14:15], s[14:15], s[22:23]
	s_mul_hi_u32 s3, s13, s20
	s_wait_alu 0xfffe
	s_add_co_u32 s7, s14, s7
	s_mul_i32 s22, s13, s20
	s_add_co_ci_u32 s20, s15, s24
	s_add_co_ci_u32 s23, s3, 0
	s_delay_alu instid0(SALU_CYCLE_1) | instskip(NEXT) | instid1(SALU_CYCLE_1)
	s_add_nc_u64 s[14:15], s[20:21], s[22:23]
	s_mul_u64 s[20:21], s[8:9], s[14:15]
	s_delay_alu instid0(SALU_CYCLE_1)
	s_sub_co_u32 s3, s12, s20
	s_cselect_b32 s7, -1, 0
	s_sub_co_i32 s12, s13, s21
	s_wait_alu 0xfffe
	s_cmp_lg_u32 s7, 0
	s_sub_co_ci_u32 s12, s12, s9
	s_sub_co_u32 s20, s3, s8
	s_cselect_b32 s22, -1, 0
	s_delay_alu instid0(SALU_CYCLE_1) | instskip(SKIP_2) | instid1(SALU_CYCLE_1)
	s_cmp_lg_u32 s22, 0
	s_add_nc_u64 s[22:23], s[14:15], 1
	s_sub_co_ci_u32 s12, s12, 0
	s_cmp_ge_u32 s12, s9
	s_cselect_b32 s24, -1, 0
	s_cmp_ge_u32 s20, s8
	s_cselect_b32 s20, -1, 0
	s_cmp_eq_u32 s12, s9
	s_cselect_b32 s12, s20, s24
	s_add_nc_u64 s[24:25], s[14:15], 2
	s_cmp_lg_u32 s12, 0
	s_cselect_b32 s12, s24, s22
	s_cselect_b32 s20, s25, s23
	s_cmp_lg_u32 s7, 0
	s_sub_co_ci_u32 s7, s13, s21
	s_wait_alu 0xfffe
	s_cmp_ge_u32 s7, s9
	s_cselect_b32 s13, -1, 0
	s_cmp_ge_u32 s3, s8
	s_cselect_b32 s3, -1, 0
	s_cmp_eq_u32 s7, s9
	s_cselect_b32 s3, s3, s13
	s_delay_alu instid0(SALU_CYCLE_1) | instskip(SKIP_4) | instid1(SALU_CYCLE_1)
	s_cmp_lg_u32 s3, 0
	s_mov_b32 s3, s17
	s_cselect_b32 s9, s20, s15
	s_cselect_b32 s8, s12, s14
	s_xor_b64 s[10:11], s[10:11], 0
	s_xor_b64 s[8:9], s[8:9], s[10:11]
	s_delay_alu instid0(SALU_CYCLE_1)
	s_sub_nc_u64 s[20:21], s[8:9], s[10:11]
	s_and_not1_b32 vcc_lo, exec_lo, s3
	s_cbranch_vccnz .LBB16_3
.LBB16_2:
	v_cvt_f32_u32_e32 v1, s16
	s_sub_co_i32 s7, 0, s16
	s_delay_alu instid0(VALU_DEP_1) | instskip(NEXT) | instid1(TRANS32_DEP_1)
	v_rcp_iflag_f32_e32 v1, v1
	v_mul_f32_e32 v1, 0x4f7ffffe, v1
	s_delay_alu instid0(VALU_DEP_1) | instskip(NEXT) | instid1(VALU_DEP_1)
	v_cvt_u32_f32_e32 v1, v1
	v_readfirstlane_b32 s3, v1
	s_wait_alu 0xfffe
	s_mul_i32 s7, s7, s3
	s_wait_alu 0xfffe
	s_mul_hi_u32 s7, s3, s7
	s_wait_alu 0xfffe
	s_add_co_i32 s3, s3, s7
	s_delay_alu instid0(SALU_CYCLE_1) | instskip(NEXT) | instid1(SALU_CYCLE_1)
	s_mul_hi_u32 s3, s2, s3
	s_mul_i32 s7, s3, s16
	s_wait_alu 0xfffe
	s_sub_co_i32 s2, s2, s7
	s_add_co_i32 s7, s3, 1
	s_sub_co_i32 s8, s2, s16
	s_cmp_ge_u32 s2, s16
	s_wait_alu 0xfffe
	s_cselect_b32 s3, s7, s3
	s_cselect_b32 s2, s8, s2
	s_add_co_i32 s7, s3, 1
	s_cmp_ge_u32 s2, s16
	s_wait_alu 0xfffe
	s_cselect_b32 s20, s7, s3
.LBB16_3:
	s_add_co_i32 s2, ttmp9, 1
	s_mov_b32 s8, 0
	s_ashr_i32 s3, s2, 31
	s_delay_alu instid0(SALU_CYCLE_1) | instskip(NEXT) | instid1(SALU_CYCLE_1)
	s_mul_u64 s[2:3], s[18:19], s[2:3]
	s_mov_b32 s9, s3
	s_delay_alu instid0(SALU_CYCLE_1)
	s_cmp_lg_u64 s[8:9], 0
	s_cbranch_scc0 .LBB16_22
; %bb.4:
	s_add_nc_u64 s[10:11], s[16:17], 0
	s_mov_b32 s23, s8
	s_xor_b64 s[10:11], s[10:11], 0
	s_mov_b32 s27, s8
	s_cvt_f32_u32 s7, s10
	s_cvt_f32_u32 s9, s11
	s_sub_nc_u64 s[14:15], 0, s[10:11]
	s_wait_alu 0xfffe
	s_delay_alu instid0(SALU_CYCLE_1) | instskip(SKIP_1) | instid1(SALU_CYCLE_2)
	s_fmamk_f32 s7, s9, 0x4f800000, s7
	s_wait_alu 0xfffe
	v_s_rcp_f32 s7, s7
	s_delay_alu instid0(TRANS32_DEP_1) | instskip(SKIP_1) | instid1(SALU_CYCLE_2)
	s_mul_f32 s7, s7, 0x5f7ffffc
	s_wait_alu 0xfffe
	s_mul_f32 s9, s7, 0x2f800000
	s_delay_alu instid0(SALU_CYCLE_3) | instskip(NEXT) | instid1(SALU_CYCLE_3)
	s_trunc_f32 s9, s9
	s_fmamk_f32 s7, s9, 0xcf800000, s7
	s_cvt_u32_f32 s13, s9
	s_wait_alu 0xfffe
	s_delay_alu instid0(SALU_CYCLE_1) | instskip(NEXT) | instid1(SALU_CYCLE_3)
	s_cvt_u32_f32 s12, s7
	s_mul_u64 s[24:25], s[14:15], s[12:13]
	s_delay_alu instid0(SALU_CYCLE_1)
	s_mul_hi_u32 s29, s12, s25
	s_mul_i32 s28, s12, s25
	s_mul_hi_u32 s22, s12, s24
	s_mul_i32 s9, s13, s24
	s_add_nc_u64 s[22:23], s[22:23], s[28:29]
	s_mul_hi_u32 s7, s13, s24
	s_mul_hi_u32 s21, s13, s25
	s_add_co_u32 s9, s22, s9
	s_wait_alu 0xfffe
	s_add_co_ci_u32 s26, s23, s7
	s_mul_i32 s24, s13, s25
	s_add_co_ci_u32 s25, s21, 0
	s_delay_alu instid0(SALU_CYCLE_1)
	s_add_nc_u64 s[22:23], s[26:27], s[24:25]
	s_mov_b32 s25, s8
	s_add_co_u32 s12, s12, s22
	s_cselect_b32 s7, -1, 0
	s_wait_alu 0xfffe
	s_cmp_lg_u32 s7, 0
	s_add_co_ci_u32 s13, s13, s23
	s_mov_b32 s23, s8
	s_mul_u64 s[14:15], s[14:15], s[12:13]
	s_delay_alu instid0(SALU_CYCLE_1)
	s_mul_hi_u32 s27, s12, s15
	s_mul_i32 s26, s12, s15
	s_mul_hi_u32 s22, s12, s14
	s_mul_i32 s9, s13, s14
	s_add_nc_u64 s[22:23], s[22:23], s[26:27]
	s_mul_hi_u32 s7, s13, s14
	s_mul_hi_u32 s21, s13, s15
	s_add_co_u32 s9, s22, s9
	s_wait_alu 0xfffe
	s_add_co_ci_u32 s24, s23, s7
	s_mul_i32 s14, s13, s15
	s_add_co_ci_u32 s15, s21, 0
	s_mov_b32 s23, s8
	s_add_nc_u64 s[14:15], s[24:25], s[14:15]
	s_delay_alu instid0(SALU_CYCLE_1) | instskip(SKIP_1) | instid1(SALU_CYCLE_1)
	s_add_co_u32 s7, s12, s14
	s_cselect_b32 s9, -1, 0
	s_cmp_lg_u32 s9, 0
	s_add_co_ci_u32 s9, s13, s15
	s_ashr_i32 s12, s3, 31
	s_delay_alu instid0(SALU_CYCLE_1) | instskip(NEXT) | instid1(SALU_CYCLE_1)
	s_mov_b32 s13, s12
	s_add_nc_u64 s[14:15], s[2:3], s[12:13]
	s_delay_alu instid0(SALU_CYCLE_1) | instskip(NEXT) | instid1(SALU_CYCLE_1)
	s_xor_b64 s[14:15], s[14:15], s[12:13]
	s_mul_hi_u32 s27, s14, s9
	s_mul_i32 s26, s14, s9
	s_wait_alu 0xfffe
	s_mul_hi_u32 s22, s14, s7
	s_mul_hi_u32 s21, s15, s7
	s_mul_i32 s7, s15, s7
	s_add_nc_u64 s[22:23], s[22:23], s[26:27]
	s_mul_hi_u32 s3, s15, s9
	s_wait_alu 0xfffe
	s_add_co_u32 s7, s22, s7
	s_add_co_ci_u32 s24, s23, s21
	s_mul_i32 s26, s15, s9
	s_add_co_ci_u32 s27, s3, 0
	s_delay_alu instid0(SALU_CYCLE_1) | instskip(NEXT) | instid1(SALU_CYCLE_1)
	s_add_nc_u64 s[22:23], s[24:25], s[26:27]
	s_mul_u64 s[24:25], s[10:11], s[22:23]
	s_add_nc_u64 s[26:27], s[22:23], 1
	s_sub_co_u32 s3, s14, s24
	s_cselect_b32 s7, -1, 0
	s_sub_co_i32 s9, s15, s25
	s_wait_alu 0xfffe
	s_cmp_lg_u32 s7, 0
	s_add_nc_u64 s[28:29], s[22:23], 2
	s_sub_co_ci_u32 s9, s9, s11
	s_sub_co_u32 s14, s3, s10
	s_cselect_b32 s21, -1, 0
	s_delay_alu instid0(SALU_CYCLE_1) | instskip(SKIP_1) | instid1(SALU_CYCLE_1)
	s_cmp_lg_u32 s21, 0
	s_sub_co_ci_u32 s9, s9, 0
	s_cmp_ge_u32 s9, s11
	s_cselect_b32 s21, -1, 0
	s_cmp_ge_u32 s14, s10
	s_cselect_b32 s14, -1, 0
	s_cmp_eq_u32 s9, s11
	s_cselect_b32 s9, s14, s21
	s_delay_alu instid0(SALU_CYCLE_1)
	s_cmp_lg_u32 s9, 0
	s_cselect_b32 s9, s28, s26
	s_cselect_b32 s14, s29, s27
	s_cmp_lg_u32 s7, 0
	s_sub_co_ci_u32 s7, s15, s25
	s_wait_alu 0xfffe
	s_cmp_ge_u32 s7, s11
	s_cselect_b32 s15, -1, 0
	s_cmp_ge_u32 s3, s10
	s_cselect_b32 s3, -1, 0
	s_cmp_eq_u32 s7, s11
	s_cselect_b32 s3, s3, s15
	s_delay_alu instid0(SALU_CYCLE_1) | instskip(SKIP_3) | instid1(SALU_CYCLE_1)
	s_cmp_lg_u32 s3, 0
	s_cselect_b32 s11, s14, s23
	s_cselect_b32 s10, s9, s22
	s_xor_b64 s[12:13], s[12:13], 0
	s_xor_b64 s[10:11], s[10:11], s[12:13]
	s_delay_alu instid0(SALU_CYCLE_1)
	s_sub_nc_u64 s[10:11], s[10:11], s[12:13]
	s_load_b96 s[12:14], s[0:1], 0x44
	s_and_not1_b32 vcc_lo, exec_lo, s8
	s_cbranch_vccnz .LBB16_6
.LBB16_5:
	v_cvt_f32_u32_e32 v1, s16
	s_sub_co_i32 s7, 0, s16
	s_delay_alu instid0(VALU_DEP_1) | instskip(NEXT) | instid1(TRANS32_DEP_1)
	v_rcp_iflag_f32_e32 v1, v1
	v_mul_f32_e32 v1, 0x4f7ffffe, v1
	s_delay_alu instid0(VALU_DEP_1) | instskip(NEXT) | instid1(VALU_DEP_1)
	v_cvt_u32_f32_e32 v1, v1
	v_readfirstlane_b32 s3, v1
	s_wait_alu 0xfffe
	s_mul_i32 s7, s7, s3
	s_wait_alu 0xfffe
	s_mul_hi_u32 s7, s3, s7
	s_wait_alu 0xfffe
	s_add_co_i32 s3, s3, s7
	s_delay_alu instid0(SALU_CYCLE_1) | instskip(NEXT) | instid1(SALU_CYCLE_1)
	s_mul_hi_u32 s3, s2, s3
	s_mul_i32 s7, s3, s16
	s_wait_alu 0xfffe
	s_sub_co_i32 s2, s2, s7
	s_add_co_i32 s7, s3, 1
	s_sub_co_i32 s8, s2, s16
	s_cmp_ge_u32 s2, s16
	s_wait_alu 0xfffe
	s_cselect_b32 s3, s7, s3
	s_cselect_b32 s2, s8, s2
	s_add_co_i32 s7, s3, 1
	s_cmp_ge_u32 s2, s16
	s_wait_alu 0xfffe
	s_cselect_b32 s10, s7, s3
.LBB16_6:
	s_mov_b32 s21, 0
	s_wait_kmcnt 0x0
	s_mov_b32 s22, s12
	s_mov_b32 s23, s21
	s_cmp_eq_u32 s20, s10
	s_mul_u64 s[2:3], s[20:21], s[22:23]
	s_cselect_b32 s7, -1, 0
	s_add_co_i32 s2, s3, s20
	s_mov_b32 s11, s21
	s_lshr_b32 s12, s2, s13
	s_mul_u64 s[2:3], s[10:11], s[22:23]
	s_mul_i32 s2, s12, s14
	s_delay_alu instid0(SALU_CYCLE_1) | instskip(SKIP_2) | instid1(SALU_CYCLE_1)
	s_cmp_eq_u32 s2, s20
	s_cselect_b32 s2, -1, 0
	s_add_co_i32 s3, s3, s10
	s_lshr_b32 s3, s3, s13
	s_delay_alu instid0(SALU_CYCLE_1)
	s_cmp_eq_u32 s12, s3
	s_mul_i32 s3, s3, s14
	s_cselect_b32 s8, -1, 0
	s_cmp_lg_u32 s3, s10
	s_cselect_b32 s3, -1, 0
	s_wait_alu 0xfffe
	s_or_b32 s2, s7, s2
	s_and_b32 s3, s8, s3
	s_delay_alu instid0(SALU_CYCLE_1) | instskip(NEXT) | instid1(SALU_CYCLE_1)
	s_or_b32 s2, s2, s3
	s_and_b32 vcc_lo, exec_lo, s2
	s_cbranch_vccnz .LBB16_24
; %bb.7:
	s_load_b256 s[24:31], s[0:1], 0x20
	s_mov_b32 s3, s21
	s_wait_kmcnt 0x0
	s_mov_b32 s2, s24
	s_delay_alu instid0(SALU_CYCLE_1) | instskip(NEXT) | instid1(SALU_CYCLE_1)
	s_mul_u64 s[2:3], s[20:21], s[2:3]
	s_add_co_i32 s2, s3, s20
	s_delay_alu instid0(SALU_CYCLE_1) | instskip(SKIP_2) | instid1(SALU_CYCLE_1)
	s_lshr_b32 s7, s2, s25
	s_load_b32 s2, s[0:1], 0x40
	s_mul_i32 s3, s7, s26
	s_sub_co_i32 s3, s20, s3
	s_delay_alu instid0(SALU_CYCLE_1) | instskip(NEXT) | instid1(SALU_CYCLE_1)
	s_mul_hi_u32 s8, s3, s27
	s_add_co_i32 s8, s3, s8
	s_delay_alu instid0(SALU_CYCLE_1) | instskip(NEXT) | instid1(SALU_CYCLE_1)
	s_lshr_b32 s8, s8, s28
	s_mul_i32 s9, s8, s29
	s_delay_alu instid0(SALU_CYCLE_1) | instskip(NEXT) | instid1(SALU_CYCLE_1)
	s_sub_co_i32 s9, s3, s9
	s_mul_hi_u32 s3, s9, s30
	s_delay_alu instid0(SALU_CYCLE_1) | instskip(NEXT) | instid1(SALU_CYCLE_1)
	s_add_co_i32 s3, s9, s3
	s_lshr_b32 s24, s3, s31
	s_mov_b32 s3, s21
	s_wait_kmcnt 0x0
	s_mul_i32 s2, s24, s2
	s_lshl_b32 s21, s24, 2
	s_sub_co_i32 s2, s9, s2
	s_delay_alu instid0(SALU_CYCLE_1) | instskip(SKIP_2) | instid1(SALU_CYCLE_1)
	s_mul_u64 s[10:11], s[2:3], s[22:23]
	s_lshr_b32 s3, ttmp7, 16
	s_add_co_i32 s2, s2, s11
	s_lshr_b32 s15, s2, s13
	s_and_b32 s2, ttmp7, 0xffff
	s_lshl_b32 s9, s15, 2
	s_delay_alu instid0(SALU_CYCLE_1) | instskip(NEXT) | instid1(SALU_CYCLE_1)
	s_add_co_i32 s9, s9, s2
	s_cmp_lt_i32 s9, s4
	s_cselect_b32 s9, -1, 0
	s_add_co_i32 s10, s21, s3
	s_delay_alu instid0(SALU_CYCLE_1) | instskip(SKIP_1) | instid1(SALU_CYCLE_1)
	s_cmp_lt_i32 s10, s6
	s_cselect_b32 s10, -1, 0
	s_and_b32 s9, s9, s10
	s_delay_alu instid0(SALU_CYCLE_1)
	s_and_not1_b32 vcc_lo, exec_lo, s9
	s_cbranch_vccnz .LBB16_24
; %bb.8:
	s_mul_i32 s4, s7, s4
	s_mul_i32 s6, s8, s6
	s_add_co_i32 s4, s4, s2
	s_load_b128 s[8:11], s[0:1], 0x0
	s_mul_i32 s4, s4, s5
	s_mul_i32 s1, s5, s15
	s_add_co_i32 s4, s4, s3
	s_lshl_b32 s1, s1, 11
	s_add_co_i32 s0, s4, s6
	s_lshl_b32 s15, s2, 2
	s_add_co_i32 s0, s0, s21
	s_add_co_i32 s15, s15, s3
	s_lshl_b32 s0, s0, 9
	v_cvt_f32_u32_e32 v4, s16
	s_add_co_i32 s1, s1, s0
	s_add_co_i32 s34, ttmp9, -1
	v_or_b32_e32 v1, s1, v0
	s_add_nc_u64 s[0:1], s[16:17], 0
	v_rcp_iflag_f32_e32 v4, v4
	s_wait_alu 0xfffe
	s_xor_b64 s[6:7], s[0:1], 0
	s_lshl_b32 s0, ttmp9, 4
	v_ashrrev_i32_e32 v2, 31, v1
	s_wait_alu 0xfffe
	s_cvt_f32_u32 s1, s6
	s_cvt_f32_u32 s2, s7
	s_add_co_i32 s0, s15, s0
	v_lshl_or_b32 v0, s15, 9, v0
	v_lshlrev_b64_e32 v[1:2], 2, v[1:2]
	s_wait_alu 0xfffe
	s_fmamk_f32 s2, s2, 0x4f800000, s1
	s_ashr_i32 s1, s0, 31
	s_sub_nc_u64 s[30:31], 0, s[6:7]
	s_wait_alu 0xfffe
	s_lshl_b64 s[0:1], s[0:1], 3
	v_s_rcp_f32 s2, s2
	s_wait_kmcnt 0x0
	v_add_co_u32 v1, vcc_lo, s8, v1
	s_delay_alu instid0(VALU_DEP_1)
	v_add_co_ci_u32_e64 v2, null, s9, v2, vcc_lo
	s_wait_alu 0xfffe
	s_add_nc_u64 s[0:1], s[10:11], s[0:1]
	s_mov_b32 s8, 0
	s_load_b64 s[26:27], s[0:1], 0x0
	global_load_b32 v3, v[1:2], off
	s_mul_f32 s2, s2, 0x5f7ffffc
	v_mul_f32_e32 v4, 0x4f7ffffe, v4
	s_lshl_b32 s0, s16, 6
	s_wait_alu 0xfffe
	s_mul_f32 s1, s2, 0x2f800000
	s_wait_alu 0xfffe
	s_delay_alu instid0(SALU_CYCLE_2)
	s_trunc_f32 s3, s1
	s_mov_b32 s1, s8
	s_wait_alu 0xfffe
	s_lshl_b64 s[0:1], s[0:1], 2
	s_fmamk_f32 s2, s3, 0xcf800000, s2
	s_cvt_u32_f32 s29, s3
	s_wait_alu 0xfffe
	s_add_nc_u64 s[24:25], s[10:11], s[0:1]
	s_cvt_u32_f32 s28, s2
	s_wait_kmcnt 0x0
	v_mov_b32_e32 v5, s27
	v_cvt_u32_f32_e32 v4, v4
.LBB16_9:                               ; =>This Inner Loop Header: Depth=1
	s_wait_alu 0xfffe
	s_ashr_i32 s35, s34, 31
	s_mov_b32 s2, -1
	s_wait_alu 0xfffe
	s_mul_u64 s[0:1], s[34:35], s[18:19]
                                        ; implicit-def: $sgpr38_sgpr39
	s_wait_alu 0xfffe
	s_mov_b32 s9, s1
	s_wait_alu 0xfffe
	s_cmp_lg_u64 s[8:9], 0
	s_cbranch_scc0 .LBB16_11
; %bb.10:                               ;   in Loop: Header=BB16_9 Depth=1
	s_mul_u64 s[2:3], s[30:31], s[28:29]
	s_mov_b32 s37, s8
	s_wait_alu 0xfffe
	s_mul_hi_u32 s5, s28, s3
	s_mul_i32 s4, s28, s3
	s_mul_hi_u32 s36, s28, s2
	s_mul_hi_u32 s9, s29, s2
	s_wait_alu 0xfffe
	s_add_nc_u64 s[4:5], s[36:37], s[4:5]
	s_mul_i32 s2, s29, s2
	s_mul_hi_u32 s17, s29, s3
	s_wait_alu 0xfffe
	s_add_co_u32 s2, s4, s2
	s_add_co_ci_u32 s2, s5, s9
	s_add_co_ci_u32 s5, s17, 0
	s_mul_i32 s4, s29, s3
	s_mov_b32 s3, s8
	s_mov_b32 s39, s8
	s_wait_alu 0xfffe
	s_add_nc_u64 s[2:3], s[2:3], s[4:5]
	s_wait_alu 0xfffe
	s_add_co_u32 s2, s28, s2
	s_cselect_b32 s4, -1, 0
	s_wait_alu 0xfffe
	s_cmp_lg_u32 s4, 0
	s_add_co_ci_u32 s3, s29, s3
	s_wait_alu 0xfffe
	s_mul_u64 s[4:5], s[30:31], s[2:3]
	s_wait_alu 0xfffe
	s_mul_hi_u32 s37, s2, s5
	s_mul_i32 s36, s2, s5
	s_mul_hi_u32 s38, s2, s4
	s_mul_hi_u32 s9, s3, s4
	s_mul_i32 s4, s3, s4
	s_wait_alu 0xfffe
	s_add_nc_u64 s[36:37], s[38:39], s[36:37]
	s_mul_hi_u32 s17, s3, s5
	s_wait_alu 0xfffe
	s_add_co_u32 s4, s36, s4
	s_add_co_ci_u32 s4, s37, s9
	s_add_co_ci_u32 s37, s17, 0
	s_mul_i32 s36, s3, s5
	s_mov_b32 s5, s8
	s_wait_alu 0xfffe
	s_add_nc_u64 s[4:5], s[4:5], s[36:37]
	s_mov_b32 s37, s8
	s_wait_alu 0xfffe
	s_add_co_u32 s9, s2, s4
	s_cselect_b32 s2, -1, 0
	s_wait_alu 0xfffe
	s_cmp_lg_u32 s2, 0
	s_add_co_ci_u32 s17, s3, s5
	s_ashr_i32 s2, s1, 31
	s_wait_alu 0xfffe
	s_mov_b32 s3, s2
	s_wait_alu 0xfffe
	s_add_nc_u64 s[4:5], s[0:1], s[2:3]
	s_wait_alu 0xfffe
	s_xor_b64 s[4:5], s[4:5], s[2:3]
	s_wait_alu 0xfffe
	s_mul_hi_u32 s39, s4, s17
	s_mul_i32 s38, s4, s17
	s_mul_hi_u32 s36, s4, s9
	s_mul_i32 s21, s5, s9
	s_wait_alu 0xfffe
	s_add_nc_u64 s[36:37], s[36:37], s[38:39]
	s_mul_hi_u32 s9, s5, s9
	s_mul_hi_u32 s1, s5, s17
	s_wait_alu 0xfffe
	s_add_co_u32 s21, s36, s21
	s_add_co_ci_u32 s36, s37, s9
	s_add_co_ci_u32 s39, s1, 0
	s_mul_i32 s38, s5, s17
	s_mov_b32 s37, s8
	s_wait_alu 0xfffe
	s_add_nc_u64 s[36:37], s[36:37], s[38:39]
	s_wait_alu 0xfffe
	s_mul_u64 s[38:39], s[6:7], s[36:37]
	s_add_nc_u64 s[40:41], s[36:37], 1
	s_sub_co_u32 s1, s4, s38
	s_cselect_b32 s4, -1, 0
	s_sub_co_i32 s9, s5, s39
	s_wait_alu 0xfffe
	s_cmp_lg_u32 s4, 0
	s_add_nc_u64 s[42:43], s[36:37], 2
	s_sub_co_ci_u32 s9, s9, s7
	s_sub_co_u32 s17, s1, s6
	s_cselect_b32 s21, -1, 0
	s_delay_alu instid0(SALU_CYCLE_1)
	s_cmp_lg_u32 s21, 0
	s_wait_alu 0xfffe
	s_sub_co_ci_u32 s9, s9, 0
	s_wait_alu 0xfffe
	s_cmp_ge_u32 s9, s7
	s_cselect_b32 s21, -1, 0
	s_cmp_ge_u32 s17, s6
	s_cselect_b32 s17, -1, 0
	s_cmp_eq_u32 s9, s7
	s_wait_alu 0xfffe
	s_cselect_b32 s9, s17, s21
	s_wait_alu 0xfffe
	s_cmp_lg_u32 s9, 0
	s_cselect_b32 s9, s42, s40
	s_cselect_b32 s17, s43, s41
	s_cmp_lg_u32 s4, 0
	s_sub_co_ci_u32 s4, s5, s39
	s_wait_alu 0xfffe
	s_cmp_ge_u32 s4, s7
	s_cselect_b32 s5, -1, 0
	s_cmp_ge_u32 s1, s6
	s_cselect_b32 s1, -1, 0
	s_cmp_eq_u32 s4, s7
	s_wait_alu 0xfffe
	s_cselect_b32 s1, s1, s5
	s_wait_alu 0xfffe
	s_cmp_lg_u32 s1, 0
	s_cselect_b32 s5, s17, s37
	s_cselect_b32 s4, s9, s36
	s_xor_b64 s[2:3], s[2:3], 0
	s_wait_alu 0xfffe
	s_xor_b64 s[4:5], s[4:5], s[2:3]
	s_wait_alu 0xfffe
	s_sub_nc_u64 s[38:39], s[4:5], s[2:3]
	s_mov_b32 s2, 0
.LBB16_11:                              ;   in Loop: Header=BB16_9 Depth=1
	s_wait_alu 0xfffe
	s_and_not1_b32 vcc_lo, exec_lo, s2
	s_wait_alu 0xfffe
	s_cbranch_vccnz .LBB16_13
; %bb.12:                               ;   in Loop: Header=BB16_9 Depth=1
	v_readfirstlane_b32 s1, v4
	s_sub_co_i32 s2, 0, s16
	s_wait_alu 0xfffe
	s_mul_i32 s2, s2, s1
	s_wait_alu 0xfffe
	s_mul_hi_u32 s2, s1, s2
	s_wait_alu 0xfffe
	s_add_co_i32 s1, s1, s2
	s_wait_alu 0xfffe
	s_mul_hi_u32 s1, s0, s1
	s_wait_alu 0xfffe
	s_mul_i32 s2, s1, s16
	s_wait_alu 0xfffe
	s_sub_co_i32 s0, s0, s2
	s_add_co_i32 s2, s1, 1
	s_wait_alu 0xfffe
	s_sub_co_i32 s3, s0, s16
	s_cmp_ge_u32 s0, s16
	s_cselect_b32 s1, s2, s1
	s_wait_alu 0xfffe
	s_cselect_b32 s0, s3, s0
	s_add_co_i32 s2, s1, 1
	s_wait_alu 0xfffe
	s_cmp_ge_u32 s0, s16
	s_cselect_b32 s38, s2, s1
.LBB16_13:                              ;   in Loop: Header=BB16_9 Depth=1
	v_readfirstlane_b32 s9, v0
	s_cmp_lg_u32 s20, s38
	s_mov_b32 s0, -1
                                        ; implicit-def: $sgpr21
                                        ; implicit-def: $vgpr6
                                        ; implicit-def: $vgpr7
                                        ; implicit-def: $sgpr17
                                        ; implicit-def: $sgpr27
	s_cbranch_scc1 .LBB16_16
; %bb.14:                               ;   in Loop: Header=BB16_9 Depth=1
	s_wait_alu 0xfffe
	s_and_not1_b32 vcc_lo, exec_lo, s0
	s_wait_alu 0xfffe
	s_cbranch_vccz .LBB16_19
.LBB16_15:                              ;   in Loop: Header=BB16_9 Depth=1
	s_and_not1_b32 vcc_lo, exec_lo, s21
	s_wait_alu 0xfffe
	s_cbranch_vccnz .LBB16_20
	s_branch .LBB16_23
.LBB16_16:                              ;   in Loop: Header=BB16_9 Depth=1
	s_add_co_i32 s0, s34, s16
	s_mov_b32 s1, s8
	s_wait_alu 0xfffe
	s_lshl_b32 s0, s0, 4
	v_max_num_f32_e64 v6, s26, s26
	s_wait_alu 0xfffe
	s_add_co_i32 s0, s0, s15
	s_mov_b32 s39, s8
	s_wait_alu 0xfffe
	s_lshl_b64 s[0:1], s[0:1], 3
	s_mul_u64 s[40:41], s[38:39], s[22:23]
	s_wait_alu 0xfffe
	s_add_nc_u64 s[0:1], s[10:11], s[0:1]
	s_mov_b32 s27, s20
	s_load_b64 s[36:37], s[0:1], 0x0
	v_readfirstlane_b32 s0, v6
	s_wait_kmcnt 0x0
	v_max_num_f32_e64 v7, s36, s36
	s_delay_alu instid0(VALU_DEP_1) | instskip(SKIP_2) | instid1(SALU_CYCLE_2)
	v_readfirstlane_b32 s1, v7
	s_max_num_f32 s9, s0, s1
	s_wait_alu 0xfffe
	s_sub_f32 s33, s26, s9
	s_sub_f32 s35, s36, s9
	s_wait_alu 0xfffe
	s_delay_alu instid0(SALU_CYCLE_1)
	s_cmp_nlt_f32 s33, 0xc2ce8ed0
	s_cselect_b32 s0, -1, 0
	s_cmp_ngt_f32 s33, 0x42b17218
	s_cselect_b32 s1, -1, 0
	s_cmp_ge_f32 s33, 0xc1a00000
	s_cselect_b32 s2, -1, 0
	s_cmp_nlt_f32 s35, 0xc2ce8ed0
	s_cselect_b32 s3, -1, 0
	s_cmp_ngt_f32 s35, 0x42b17218
	s_cselect_b32 s4, -1, 0
	s_cmp_ge_f32 s35, 0xc1a00000
	s_cselect_b32 s5, -1, 0
	s_add_co_i32 s17, s41, s38
	s_wait_alu 0xfffe
	s_lshr_b32 s17, s17, s13
	s_wait_alu 0xfffe
	s_mul_i32 s21, s17, s14
	s_delay_alu instid0(SALU_CYCLE_1)
	s_cmp_eq_u32 s21, s38
	s_cselect_b32 s21, -1, 0
	s_cmp_lt_u32 s17, s12
	s_cselect_b32 s17, -1, 0
	s_wait_alu 0xfffe
	s_or_b32 s17, s17, s21
	s_mov_b32 s21, -1
	s_wait_alu 0xfffe
	s_and_b32 vcc_lo, exec_lo, s17
	s_mov_b32 s17, s34
	s_wait_alu 0xfffe
	s_cbranch_vccnz .LBB16_18
; %bb.17:                               ;   in Loop: Header=BB16_9 Depth=1
	s_add_co_i32 s17, s34, -1
	s_mov_b32 s21, 0
	s_mov_b32 s27, s38
.LBB16_18:                              ;   in Loop: Header=BB16_9 Depth=1
	v_lshl_add_u32 v6, s34, 13, v0
	s_mul_f32 s36, s35, 0x3fb8aa3b
	s_mul_f32 s38, s33, 0x3fb8aa3b
	s_wait_alu 0xfffe
	s_delay_alu instid0(SALU_CYCLE_1)
	s_xor_b32 s39, s36, 0x80000000
	v_ashrrev_i32_e32 v7, 31, v6
	s_rndne_f32 s40, s36
	s_fmamk_f32 s39, s35, 0x3fb8aa3b, s39
	s_xor_b32 s41, s38, 0x80000000
	s_rndne_f32 s42, s38
	v_lshlrev_b64_e32 v[6:7], 2, v[6:7]
	s_sub_f32 s36, s36, s40
	s_fmamk_f32 s35, s35, 0x32a5705f, s39
	s_fmamk_f32 s39, s33, 0x3fb8aa3b, s41
	s_sub_f32 s38, s38, s42
	s_delay_alu instid0(VALU_DEP_1)
	v_add_co_u32 v6, vcc_lo, s24, v6
	s_wait_alu 0xfffd
	v_add_co_ci_u32_e64 v7, null, s25, v7, vcc_lo
	s_wait_alu 0xfffe
	s_add_f32 s35, s36, s35
	s_fmamk_f32 s33, s33, 0x32a5705f, s39
	s_cvt_i32_f32 s36, s40
	global_load_b32 v6, v[6:7], off
	s_wait_alu 0xfffe
	v_s_exp_f32 s35, s35
	s_add_f32 s33, s38, s33
	s_wait_alu 0xfffe
	s_delay_alu instid0(SALU_CYCLE_2) | instskip(NEXT) | instid1(TRANS32_DEP_2)
	v_s_exp_f32 s33, s33
	v_ldexp_f32 v7, s35, s36
	s_cvt_i32_f32 s35, s42
	s_wait_alu 0xf1fe
	s_delay_alu instid0(TRANS32_DEP_1) | instid1(SALU_CYCLE_2)
	v_ldexp_f32 v8, s33, s35
	s_delay_alu instid0(VALU_DEP_2) | instskip(NEXT) | instid1(VALU_DEP_2)
	v_cndmask_b32_e64 v7, 0, v7, s3
	v_cndmask_b32_e64 v8, 0, v8, s0
	s_delay_alu instid0(VALU_DEP_2) | instskip(NEXT) | instid1(VALU_DEP_2)
	v_cndmask_b32_e64 v7, 0x7f800000, v7, s4
	v_cndmask_b32_e64 v8, 0x7f800000, v8, s1
	;; [unrolled: 3-line block ×3, first 2 shown]
	s_wait_loadcnt 0x0
	s_delay_alu instid0(VALU_DEP_2) | instskip(SKIP_1) | instid1(VALU_DEP_1)
	v_mul_f32_e32 v6, v6, v7
	v_mul_f32_e32 v7, s37, v7
	v_fmac_f32_e32 v7, v5, v8
	s_delay_alu instid0(VALU_DEP_3)
	v_fmac_f32_e32 v6, v3, v8
	s_cbranch_execnz .LBB16_15
.LBB16_19:                              ;   in Loop: Header=BB16_9 Depth=1
	s_wait_loadcnt 0x0
	v_dual_mov_b32 v7, v5 :: v_dual_mov_b32 v6, v3
	s_add_co_i32 s17, s34, -1
	s_mov_b32 s27, s20
	s_mov_b32 s9, s26
	s_cbranch_execz .LBB16_23
.LBB16_20:                              ;   in Loop: Header=BB16_9 Depth=1
	v_mov_b32_e32 v5, v7
	s_wait_loadcnt 0x0
	v_mov_b32_e32 v3, v6
	s_wait_alu 0xfffe
	s_mov_b32 s20, s27
	s_mov_b32 s34, s17
	;; [unrolled: 1-line block ×3, first 2 shown]
	s_branch .LBB16_9
.LBB16_21:
                                        ; implicit-def: $sgpr20_sgpr21
	s_branch .LBB16_2
.LBB16_22:
                                        ; implicit-def: $sgpr10_sgpr11
	s_load_b96 s[12:14], s[0:1], 0x44
	s_branch .LBB16_5
.LBB16_23:
	v_div_scale_f32 v0, null, v7, v7, v6
	s_wait_loadcnt 0x0
	s_delay_alu instid0(VALU_DEP_1) | instskip(NEXT) | instid1(TRANS32_DEP_1)
	v_rcp_f32_e32 v3, v0
	v_fma_f32 v4, -v0, v3, 1.0
	s_delay_alu instid0(VALU_DEP_1) | instskip(SKIP_1) | instid1(VALU_DEP_1)
	v_fmac_f32_e32 v3, v4, v3
	v_div_scale_f32 v4, vcc_lo, v6, v7, v6
	v_mul_f32_e32 v5, v4, v3
	s_delay_alu instid0(VALU_DEP_1) | instskip(NEXT) | instid1(VALU_DEP_1)
	v_fma_f32 v8, -v0, v5, v4
	v_fmac_f32_e32 v5, v8, v3
	s_delay_alu instid0(VALU_DEP_1) | instskip(SKIP_1) | instid1(VALU_DEP_1)
	v_fma_f32 v0, -v0, v5, v4
	s_wait_alu 0xfffd
	v_div_fmas_f32 v0, v0, v3, v5
	s_delay_alu instid0(VALU_DEP_1)
	v_div_fixup_f32 v0, v0, v7, v6
	global_store_b32 v[1:2], v0, off
.LBB16_24:
	s_endpgm
	.section	.rodata,"a",@progbits
	.p2align	6, 0x0
	.amdhsa_kernel _ZL33flash_attn_stream_k_fixup_generalILi512ELi4ELi4EEvPfPK15HIP_vector_typeIfLj2EEiiiiS1_IjLj3EES5_S5_S5_
		.amdhsa_group_segment_fixed_size 0
		.amdhsa_private_segment_fixed_size 0
		.amdhsa_kernarg_size 336
		.amdhsa_user_sgpr_count 2
		.amdhsa_user_sgpr_dispatch_ptr 0
		.amdhsa_user_sgpr_queue_ptr 0
		.amdhsa_user_sgpr_kernarg_segment_ptr 1
		.amdhsa_user_sgpr_dispatch_id 0
		.amdhsa_user_sgpr_private_segment_size 0
		.amdhsa_wavefront_size32 1
		.amdhsa_uses_dynamic_stack 0
		.amdhsa_enable_private_segment 0
		.amdhsa_system_sgpr_workgroup_id_x 1
		.amdhsa_system_sgpr_workgroup_id_y 1
		.amdhsa_system_sgpr_workgroup_id_z 1
		.amdhsa_system_sgpr_workgroup_info 0
		.amdhsa_system_vgpr_workitem_id 0
		.amdhsa_next_free_vgpr 9
		.amdhsa_next_free_sgpr 44
		.amdhsa_reserve_vcc 1
		.amdhsa_float_round_mode_32 0
		.amdhsa_float_round_mode_16_64 0
		.amdhsa_float_denorm_mode_32 3
		.amdhsa_float_denorm_mode_16_64 3
		.amdhsa_fp16_overflow 0
		.amdhsa_workgroup_processor_mode 1
		.amdhsa_memory_ordered 1
		.amdhsa_forward_progress 1
		.amdhsa_inst_pref_size 28
		.amdhsa_round_robin_scheduling 0
		.amdhsa_exception_fp_ieee_invalid_op 0
		.amdhsa_exception_fp_denorm_src 0
		.amdhsa_exception_fp_ieee_div_zero 0
		.amdhsa_exception_fp_ieee_overflow 0
		.amdhsa_exception_fp_ieee_underflow 0
		.amdhsa_exception_fp_ieee_inexact 0
		.amdhsa_exception_int_div_zero 0
	.end_amdhsa_kernel
	.section	.text._ZL33flash_attn_stream_k_fixup_generalILi512ELi4ELi4EEvPfPK15HIP_vector_typeIfLj2EEiiiiS1_IjLj3EES5_S5_S5_,"axG",@progbits,_ZL33flash_attn_stream_k_fixup_generalILi512ELi4ELi4EEvPfPK15HIP_vector_typeIfLj2EEiiiiS1_IjLj3EES5_S5_S5_,comdat
.Lfunc_end16:
	.size	_ZL33flash_attn_stream_k_fixup_generalILi512ELi4ELi4EEvPfPK15HIP_vector_typeIfLj2EEiiiiS1_IjLj3EES5_S5_S5_, .Lfunc_end16-_ZL33flash_attn_stream_k_fixup_generalILi512ELi4ELi4EEvPfPK15HIP_vector_typeIfLj2EEiiiiS1_IjLj3EES5_S5_S5_
                                        ; -- End function
	.set _ZL33flash_attn_stream_k_fixup_generalILi512ELi4ELi4EEvPfPK15HIP_vector_typeIfLj2EEiiiiS1_IjLj3EES5_S5_S5_.num_vgpr, 9
	.set _ZL33flash_attn_stream_k_fixup_generalILi512ELi4ELi4EEvPfPK15HIP_vector_typeIfLj2EEiiiiS1_IjLj3EES5_S5_S5_.num_agpr, 0
	.set _ZL33flash_attn_stream_k_fixup_generalILi512ELi4ELi4EEvPfPK15HIP_vector_typeIfLj2EEiiiiS1_IjLj3EES5_S5_S5_.numbered_sgpr, 44
	.set _ZL33flash_attn_stream_k_fixup_generalILi512ELi4ELi4EEvPfPK15HIP_vector_typeIfLj2EEiiiiS1_IjLj3EES5_S5_S5_.num_named_barrier, 0
	.set _ZL33flash_attn_stream_k_fixup_generalILi512ELi4ELi4EEvPfPK15HIP_vector_typeIfLj2EEiiiiS1_IjLj3EES5_S5_S5_.private_seg_size, 0
	.set _ZL33flash_attn_stream_k_fixup_generalILi512ELi4ELi4EEvPfPK15HIP_vector_typeIfLj2EEiiiiS1_IjLj3EES5_S5_S5_.uses_vcc, 1
	.set _ZL33flash_attn_stream_k_fixup_generalILi512ELi4ELi4EEvPfPK15HIP_vector_typeIfLj2EEiiiiS1_IjLj3EES5_S5_S5_.uses_flat_scratch, 0
	.set _ZL33flash_attn_stream_k_fixup_generalILi512ELi4ELi4EEvPfPK15HIP_vector_typeIfLj2EEiiiiS1_IjLj3EES5_S5_S5_.has_dyn_sized_stack, 0
	.set _ZL33flash_attn_stream_k_fixup_generalILi512ELi4ELi4EEvPfPK15HIP_vector_typeIfLj2EEiiiiS1_IjLj3EES5_S5_S5_.has_recursion, 0
	.set _ZL33flash_attn_stream_k_fixup_generalILi512ELi4ELi4EEvPfPK15HIP_vector_typeIfLj2EEiiiiS1_IjLj3EES5_S5_S5_.has_indirect_call, 0
	.section	.AMDGPU.csdata,"",@progbits
; Kernel info:
; codeLenInByte = 3548
; TotalNumSgprs: 46
; NumVgprs: 9
; ScratchSize: 0
; MemoryBound: 0
; FloatMode: 240
; IeeeMode: 1
; LDSByteSize: 0 bytes/workgroup (compile time only)
; SGPRBlocks: 0
; VGPRBlocks: 1
; NumSGPRsForWavesPerEU: 46
; NumVGPRsForWavesPerEU: 9
; Occupancy: 16
; WaveLimiterHint : 0
; COMPUTE_PGM_RSRC2:SCRATCH_EN: 0
; COMPUTE_PGM_RSRC2:USER_SGPR: 2
; COMPUTE_PGM_RSRC2:TRAP_HANDLER: 0
; COMPUTE_PGM_RSRC2:TGID_X_EN: 1
; COMPUTE_PGM_RSRC2:TGID_Y_EN: 1
; COMPUTE_PGM_RSRC2:TGID_Z_EN: 1
; COMPUTE_PGM_RSRC2:TIDIG_COMP_CNT: 0
	.section	.text._ZL15flash_attn_tileILi576ELi512ELi2ELi4ELb0EEvPKcS1_S1_S1_S1_PKiPfP15HIP_vector_typeIfLj2EEffffjfiS5_IjLj3EEiiiiiiiiiiiliiliiiiil,"axG",@progbits,_ZL15flash_attn_tileILi576ELi512ELi2ELi4ELb0EEvPKcS1_S1_S1_S1_PKiPfP15HIP_vector_typeIfLj2EEffffjfiS5_IjLj3EEiiiiiiiiiiiliiliiiiil,comdat
	.globl	_ZL15flash_attn_tileILi576ELi512ELi2ELi4ELb0EEvPKcS1_S1_S1_S1_PKiPfP15HIP_vector_typeIfLj2EEffffjfiS5_IjLj3EEiiiiiiiiiiiliiliiiiil ; -- Begin function _ZL15flash_attn_tileILi576ELi512ELi2ELi4ELb0EEvPKcS1_S1_S1_S1_PKiPfP15HIP_vector_typeIfLj2EEffffjfiS5_IjLj3EEiiiiiiiiiiiliiliiiiil
	.p2align	8
	.type	_ZL15flash_attn_tileILi576ELi512ELi2ELi4ELb0EEvPKcS1_S1_S1_S1_PKiPfP15HIP_vector_typeIfLj2EEffffjfiS5_IjLj3EEiiiiiiiiiiiliiliiiiil,@function
_ZL15flash_attn_tileILi576ELi512ELi2ELi4ELb0EEvPKcS1_S1_S1_S1_PKiPfP15HIP_vector_typeIfLj2EEffffjfiS5_IjLj3EEiiiiiiiiiiiliiliiiiil: ; @_ZL15flash_attn_tileILi576ELi512ELi2ELi4ELb0EEvPKcS1_S1_S1_S1_PKiPfP15HIP_vector_typeIfLj2EEffffjfiS5_IjLj3EEiiiiiiiiiiiliiliiiiil
; %bb.0:
	s_clause 0x1
	s_load_b128 s[20:23], s[0:1], 0x5c
	s_load_b64 s[30:31], s[0:1], 0x80
	s_lshr_b32 s5, ttmp7, 16
	s_load_b64 s[36:37], s[0:1], 0xb8
	s_mov_b64 s[34:35], 0
	s_wait_kmcnt 0x0
	s_ashr_i32 s2, s23, 31
	s_delay_alu instid0(SALU_CYCLE_1) | instskip(NEXT) | instid1(SALU_CYCLE_1)
	s_lshr_b32 s2, s2, 30
	s_add_co_i32 s2, s23, s2
	s_delay_alu instid0(SALU_CYCLE_1) | instskip(NEXT) | instid1(SALU_CYCLE_1)
	s_ashr_i32 s2, s2, 2
	s_cvt_f32_u32 s3, s2
	s_sub_co_i32 s4, 0, s2
	s_delay_alu instid0(SALU_CYCLE_2) | instskip(NEXT) | instid1(TRANS32_DEP_1)
	v_rcp_iflag_f32_e32 v1, s3
	v_readfirstlane_b32 s3, v1
	s_mul_f32 s3, s3, 0x4f7ffffe
	s_wait_alu 0xfffe
	s_delay_alu instid0(SALU_CYCLE_2) | instskip(SKIP_1) | instid1(SALU_CYCLE_2)
	s_cvt_u32_f32 s3, s3
	s_wait_alu 0xfffe
	s_mul_i32 s4, s4, s3
	s_delay_alu instid0(SALU_CYCLE_1) | instskip(NEXT) | instid1(SALU_CYCLE_1)
	s_mul_hi_u32 s4, s3, s4
	s_add_co_i32 s3, s3, s4
	s_wait_alu 0xfffe
	s_mul_hi_u32 s3, s5, s3
	s_wait_alu 0xfffe
	s_mul_i32 s4, s3, s2
	s_add_co_i32 s6, s3, 1
	s_sub_co_i32 s4, s5, s4
	s_delay_alu instid0(SALU_CYCLE_1)
	s_sub_co_i32 s7, s4, s2
	s_cmp_ge_u32 s4, s2
	s_cselect_b32 s3, s6, s3
	s_cselect_b32 s4, s7, s4
	s_wait_alu 0xfffe
	s_add_co_i32 s6, s3, 1
	s_cmp_ge_u32 s4, s2
	s_cselect_b32 s28, s6, s3
	s_abs_i32 s2, s31
	s_abs_i32 s7, s23
	s_wait_alu 0xfffe
	s_cvt_f32_u32 s3, s2
	s_sub_co_i32 s4, 0, s2
	s_lshl_b32 s5, s5, 2
	s_mul_i32 s6, s28, s23
	s_wait_alu 0xfffe
	v_rcp_iflag_f32_e32 v1, s3
	s_sub_co_i32 s33, s5, s6
	s_delay_alu instid0(TRANS32_DEP_1) | instskip(SKIP_2) | instid1(SALU_CYCLE_2)
	v_readfirstlane_b32 s3, v1
	s_mul_f32 s3, s3, 0x4f7ffffe
	s_wait_alu 0xfffe
	s_cvt_u32_f32 s3, s3
	s_wait_alu 0xfffe
	s_delay_alu instid0(SALU_CYCLE_2) | instskip(NEXT) | instid1(SALU_CYCLE_1)
	s_mul_i32 s4, s4, s3
	s_mul_hi_u32 s4, s3, s4
	s_delay_alu instid0(SALU_CYCLE_1)
	s_add_co_i32 s3, s3, s4
	s_xor_b32 s4, s23, s31
	s_wait_alu 0xfffe
	s_mul_hi_u32 s3, s7, s3
	s_ashr_i32 s24, s4, 31
	s_wait_alu 0xfffe
	s_mul_i32 s5, s3, s2
	s_delay_alu instid0(SALU_CYCLE_1)
	s_sub_co_i32 s4, s7, s5
	s_add_co_i32 s5, s3, 1
	s_sub_co_i32 s6, s4, s2
	s_cmp_ge_u32 s4, s2
	s_cselect_b32 s3, s5, s3
	s_cselect_b32 s4, s6, s4
	s_wait_alu 0xfffe
	s_add_co_i32 s5, s3, 1
	s_cmp_ge_u32 s4, s2
	s_cselect_b32 s2, s5, s3
	s_load_b512 s[4:19], s[0:1], 0x0
	s_xor_b32 s2, s2, s24
	s_mov_b32 s3, 0
	s_wait_alu 0xfffe
	s_sub_co_i32 s38, s2, s24
	s_delay_alu instid0(SALU_CYCLE_1) | instskip(NEXT) | instid1(SALU_CYCLE_1)
	s_abs_i32 s31, s38
	s_cvt_f32_u32 s2, s31
	s_wait_alu 0xfffe
	s_delay_alu instid0(SALU_CYCLE_2) | instskip(SKIP_2) | instid1(TRANS32_DEP_1)
	v_rcp_iflag_f32_e32 v1, s2
	s_wait_kmcnt 0x0
	s_cmp_eq_u64 s[10:11], 0
	v_readfirstlane_b32 s2, v1
	s_cbranch_scc1 .LBB17_2
; %bb.1:
	s_abs_i32 s26, s36
	s_delay_alu instid0(SALU_CYCLE_1) | instskip(NEXT) | instid1(SALU_CYCLE_3)
	s_cvt_f32_u32 s24, s26
	v_rcp_iflag_f32_e32 v1, s24
	s_delay_alu instid0(TRANS32_DEP_1) | instskip(SKIP_2) | instid1(SALU_CYCLE_2)
	v_readfirstlane_b32 s24, v1
	s_mul_f32 s24, s24, 0x4f7ffffe
	s_wait_alu 0xfffe
	s_cvt_u32_f32 s27, s24
	s_sub_co_i32 s24, 0, s26
	s_wait_alu 0xfffe
	s_delay_alu instid0(SALU_CYCLE_1) | instskip(SKIP_4) | instid1(SALU_CYCLE_1)
	s_mul_i32 s24, s24, s27
	s_wait_alu 0xfffe
	s_mul_hi_u32 s29, s27, s24
	s_load_b64 s[24:25], s[0:1], 0xc8
	s_add_co_i32 s27, s27, s29
	s_mul_hi_u32 s27, s28, s27
	s_delay_alu instid0(SALU_CYCLE_1) | instskip(NEXT) | instid1(SALU_CYCLE_1)
	s_mul_i32 s27, s27, s26
	s_sub_co_i32 s27, s28, s27
	s_delay_alu instid0(SALU_CYCLE_1) | instskip(SKIP_2) | instid1(SALU_CYCLE_1)
	s_sub_co_i32 s29, s27, s26
	s_cmp_ge_u32 s27, s26
	s_cselect_b32 s27, s29, s27
	s_sub_co_i32 s29, s27, s26
	s_cmp_ge_u32 s27, s26
	s_cselect_b32 s26, s29, s27
	s_delay_alu instid0(SALU_CYCLE_1)
	s_ashr_i32 s27, s26, 31
	s_wait_kmcnt 0x0
	s_mul_u64 s[24:25], s[24:25], s[26:27]
	s_wait_alu 0xfffe
	s_add_nc_u64 s[34:35], s[10:11], s[24:25]
.LBB17_2:
	v_lshrrev_b32_e32 v1, 10, v0
	s_load_b96 s[24:26], s[0:1], 0x70
	v_bfe_u32 v23, v0, 10, 2
	s_delay_alu instid0(VALU_DEP_2) | instskip(NEXT) | instid1(VALU_DEP_1)
	v_bfe_u32 v1, v1, 2, 8
	v_lshl_add_u32 v1, ttmp9, 1, v1
	s_delay_alu instid0(VALU_DEP_1) | instskip(SKIP_3) | instid1(VALU_DEP_1)
	v_mul_hi_u32 v2, s20, v1
	s_wait_kmcnt 0x0
	s_mov_b32 s20, s25
	s_mul_i32 s10, s33, s25
	v_add_nc_u32_e32 v2, v1, v2
	s_delay_alu instid0(VALU_DEP_1)
	v_lshrrev_b32_e32 v2, s21, v2
	s_ashr_i32 s21, s25, 31
	s_ashr_i32 s25, s24, 31
	s_wait_alu 0xfffe
	s_lshr_b64 s[40:41], s[20:21], 2
	s_lshr_b32 s11, s21, 2
	v_mul_lo_u32 v2, v2, s22
	s_mul_i32 s20, s28, s26
	s_wait_alu 0xfffe
	s_ashr_i32 s21, s20, 31
	s_wait_alu 0xfffe
	s_add_nc_u64 s[4:5], s[4:5], s[20:21]
	s_delay_alu instid0(VALU_DEP_1) | instskip(SKIP_4) | instid1(VALU_DEP_1)
	v_sub_nc_u32_e32 v5, v1, v2
	v_mad_co_u64_u32 v[2:3], null, s40, v23, 0
	s_lshr_b64 s[40:41], s[24:25], 2
	s_wait_alu 0xfffe
	v_mad_co_u64_u32 v[6:7], null, s40, v5, 0
	v_mov_b32_e32 v4, v7
	s_delay_alu instid0(VALU_DEP_1)
	v_mad_co_u64_u32 v[7:8], null, s11, v23, v[3:4]
	s_lshr_b32 s11, s25, 2
	s_wait_alu 0xfffe
	v_mad_co_u64_u32 v[8:9], null, s11, v5, v[4:5]
	s_ashr_i32 s11, s10, 31
	s_wait_alu 0xfffe
	s_add_nc_u64 s[4:5], s[4:5], s[10:11]
	v_mov_b32_e32 v3, v7
	v_mov_b32_e32 v7, v8
	s_delay_alu instid0(VALU_DEP_2) | instskip(SKIP_1) | instid1(VALU_DEP_3)
	v_lshlrev_b64_e32 v[3:4], 2, v[2:3]
	v_and_b32_e32 v2, 0x3ff, v0
	v_lshlrev_b64_e32 v[6:7], 2, v[6:7]
	s_delay_alu instid0(VALU_DEP_2) | instskip(NEXT) | instid1(VALU_DEP_4)
	v_lshlrev_b32_e32 v8, 4, v2
	v_add_co_u32 v3, vcc_lo, s4, v3
	s_delay_alu instid0(VALU_DEP_1)
	v_add_co_ci_u32_e64 v4, null, s5, v4, vcc_lo
	s_load_b32 s4, s[0:1], 0x40
	v_add_co_u32 v3, vcc_lo, v3, v6
	s_wait_alu 0xfffd
	v_add_co_ci_u32_e64 v4, null, v4, v7, vcc_lo
	v_bfe_u32 v7, v0, 10, 10
	s_delay_alu instid0(VALU_DEP_3) | instskip(SKIP_1) | instid1(VALU_DEP_3)
	v_add_co_u32 v3, vcc_lo, v3, v8
	s_wait_alu 0xfffd
	v_add_co_ci_u32_e64 v4, null, 0, v4, vcc_lo
	v_lshlrev_b32_e32 v6, 3, v2
	s_clause 0x3
	global_load_b128 v[8:11], v[3:4], off
	global_load_b128 v[12:15], v[3:4], off offset:512
	global_load_b128 v[16:19], v[3:4], off offset:1024
	;; [unrolled: 1-line block ×3, first 2 shown]
	v_mul_u32_u24_e32 v0, 0x480, v7
	v_mad_u32_u24 v20, 0x480, v7, v6
	s_mov_b32 s5, exec_lo
	s_wait_loadcnt 0x3
	s_wait_kmcnt 0x0
	v_fma_mixlo_f16 v8, s4, v8, 0
	v_fma_mixlo_f16 v9, s4, v9, 0
	v_fma_mixlo_f16 v10, s4, v10, 0
	v_fma_mixlo_f16 v11, s4, v11, 0
	s_wait_loadcnt 0x2
	v_fma_mixlo_f16 v12, s4, v12, 0
	v_fma_mixlo_f16 v13, s4, v13, 0
	v_fma_mixlo_f16 v14, s4, v14, 0
	v_fma_mixlo_f16 v15, s4, v15, 0
	s_wait_loadcnt 0x1
	v_fma_mixlo_f16 v16, s4, v16, 0
	v_fma_mixlo_f16 v17, s4, v17, 0
	s_wait_loadcnt 0x0
	v_fma_mixlo_f16 v21, s4, v24, 0
	v_fma_mixlo_f16 v22, s4, v25, 0
	v_lshlrev_b32_e32 v9, 16, v9
	v_and_b32_e32 v8, 0xffff, v8
	v_lshlrev_b32_e32 v11, 16, v11
	v_and_b32_e32 v10, 0xffff, v10
	;; [unrolled: 2-line block ×3, first 2 shown]
	v_fma_mixlo_f16 v18, s4, v18, 0
	v_fma_mixlo_f16 v19, s4, v19, 0
	;; [unrolled: 1-line block ×4, first 2 shown]
	v_lshlrev_b32_e32 v15, 16, v15
	v_and_b32_e32 v14, 0xffff, v14
	v_lshlrev_b32_e32 v17, 16, v17
	v_and_b32_e32 v16, 0xffff, v16
	;; [unrolled: 2-line block ×3, first 2 shown]
	v_or_b32_e32 v8, v9, v8
	v_or3_b32 v9, v11, v10, 0
	v_or_b32_e32 v10, v13, v12
	v_lshlrev_b32_e32 v19, 16, v19
	v_and_b32_e32 v18, 0xffff, v18
	v_lshlrev_b32_e32 v25, 16, v25
	v_and_b32_e32 v24, 0xffff, v24
	v_or3_b32 v11, v15, v14, 0
	v_or_b32_e32 v12, v17, v16
	v_or_b32_e32 v14, v22, v21
	v_or3_b32 v8, 0, 0, v8
	v_or3_b32 v10, 0, 0, v10
	;; [unrolled: 1-line block ×6, first 2 shown]
	ds_store_2addr_b64 v20, v[8:9], v[10:11] offset1:32
	ds_store_2addr_b64 v20, v[12:13], v[14:15] offset0:64 offset1:96
	v_cmpx_gt_u32_e32 16, v2
	s_cbranch_execz .LBB17_4
; %bb.3:
	global_load_b128 v[8:11], v[3:4], off offset:2048
	s_wait_loadcnt 0x0
	v_fma_mixlo_f16 v3, s4, v9, 0
	v_fma_mixlo_f16 v4, s4, v8, 0
	;; [unrolled: 1-line block ×4, first 2 shown]
	s_delay_alu instid0(VALU_DEP_4) | instskip(NEXT) | instid1(VALU_DEP_4)
	v_lshlrev_b32_e32 v3, 16, v3
	v_and_b32_e32 v4, 0xffff, v4
	s_delay_alu instid0(VALU_DEP_4) | instskip(NEXT) | instid1(VALU_DEP_4)
	v_and_b32_e32 v8, 0xffff, v8
	v_lshlrev_b32_e32 v9, 16, v9
	s_delay_alu instid0(VALU_DEP_3) | instskip(NEXT) | instid1(VALU_DEP_2)
	v_or_b32_e32 v3, v3, v4
	v_or3_b32 v4, v9, v8, 0
	v_add_nc_u32_e32 v8, v0, v6
	s_delay_alu instid0(VALU_DEP_3)
	v_or3_b32 v3, 0, 0, v3
	ds_store_b64 v8, v[3:4] offset:1024
.LBB17_4:
	s_wait_alu 0xfffe
	s_or_b32 exec_lo, exec_lo, s5
	s_cmp_eq_u64 s[14:15], 0
	s_wait_dscnt 0x0
	s_barrier_signal -1
	s_barrier_wait -1
	global_inv scope:SCOPE_SE
	s_cbranch_scc1 .LBB17_6
; %bb.5:
	s_load_b32 s4, s[0:1], 0xd0
	s_mov_b32 s5, 0
	s_wait_kmcnt 0x0
	s_mul_i32 s4, s4, s28
	s_wait_alu 0xfffe
	s_add_co_i32 s4, s4, ttmp9
	s_wait_alu 0xfffe
	s_lshl_b64 s[4:5], s[4:5], 2
	s_wait_alu 0xfffe
	s_add_nc_u64 s[4:5], s[14:15], s[4:5]
	s_load_b32 s30, s[4:5], 0x0
.LBB17_6:
	s_and_b32 s4, ttmp7, 0xffff
	v_lshlrev_b32_e32 v24, 2, v2
	v_mbcnt_lo_u32_b32 v25, -1, 0
	s_wait_alu 0xfffe
	s_lshl_b32 s10, s4, 6
	s_wait_kmcnt 0x0
	s_wait_alu 0xfffe
	s_cmp_lt_i32 s10, s30
	s_cbranch_scc1 .LBB17_9
; %bb.7:
	v_mbcnt_lo_u32_b32 v4, -1, 0
	v_mov_b32_e32 v3, 32
	s_delay_alu instid0(VALU_DEP_2)
	v_xor_b32_e32 v30, 16, v4
	v_xor_b32_e32 v29, 8, v4
	;; [unrolled: 1-line block ×5, first 2 shown]
	s_mov_b32 s29, 0
	s_cbranch_execz .LBB17_10
; %bb.8:
	v_dual_mov_b32 v51, 0 :: v_dual_mov_b32 v8, 0xfeffffff
	v_dual_mov_b32 v31, 0 :: v_dual_mov_b32 v50, 0
	;; [unrolled: 1-line block ×5, first 2 shown]
	s_branch .LBB17_13
.LBB17_9:
                                        ; implicit-def: $vgpr4
                                        ; implicit-def: $vgpr3
                                        ; implicit-def: $vgpr30
                                        ; implicit-def: $vgpr29
                                        ; implicit-def: $vgpr28
                                        ; implicit-def: $vgpr27
                                        ; implicit-def: $vgpr26
	s_mov_b32 s29, 0
.LBB17_10:
	s_clause 0x1
	s_load_b128 s[24:27], s[0:1], 0x98
	s_load_b64 s[20:21], s[0:1], 0x8c
	s_mul_f32 s2, s2, 0x4f7ffffe
	s_sub_co_i32 s11, 0, s31
	v_lshrrev_b32_e32 v3, 3, v2
	v_dual_mov_b32 v46, 0 :: v_dual_and_b32 v13, 28, v24
	s_wait_alu 0xfffe
	s_cvt_u32_f32 s5, s2
	s_abs_i32 s2, s33
	s_mov_b32 s15, s3
	s_ashr_i32 s40, s38, 31
	s_wait_alu 0xfffe
	s_mul_i32 s11, s11, s5
	s_load_b64 s[38:39], s[0:1], 0xa8
	s_mul_hi_u32 s11, s5, s11
	v_lshl_add_u32 v3, v7, 2, v3
	s_wait_alu 0xfffe
	s_add_co_i32 s14, s5, s11
	v_dual_mov_b32 v47, 0 :: v_dual_lshlrev_b32 v4, 2, v13
	s_mul_u64 s[14:15], s[2:3], s[14:15]
	s_ashr_i32 s36, s33, 31
	s_mul_i32 s3, s15, s31
	s_wait_kmcnt 0x0
	s_ashr_i32 s14, s26, 2
	s_wait_alu 0xfffe
	s_sub_co_i32 s2, s2, s3
	s_ashr_i32 s20, s20, 2
	s_ashr_i32 s5, s37, 1
	s_xor_b32 s11, s36, s40
	s_add_co_i32 s36, s15, 1
	s_wait_alu 0xfffe
	s_sub_co_i32 s3, s2, s31
	s_cmp_ge_u32 s2, s31
	v_mul_lo_u32 v9, s20, v3
	v_mad_u32_u24 v4, 0x90, v3, v4
	v_mul_lo_u32 v3, s14, v7
	s_cselect_b32 s15, s36, s15
	s_wait_alu 0xfffe
	s_cselect_b32 s2, s3, s2
	s_add_co_i32 s3, s15, 1
	s_wait_alu 0xfffe
	s_cmp_ge_u32 s2, s31
	v_dual_mov_b32 v49, 0 :: v_dual_add_nc_u32 v32, 0x2400, v4
	s_cselect_b32 s15, s3, s15
	v_dual_mov_b32 v48, 0 :: v_dual_add_nc_u32 v33, 0x3600, v4
	v_dual_mov_b32 v53, 0 :: v_dual_lshlrev_b32 v14, 2, v24
	v_ashrrev_i32_e32 v4, 31, v3
	s_wait_alu 0xfffe
	s_xor_b32 s15, s15, s11
	s_mul_u64 s[2:3], s[24:25], s[28:29]
	s_mul_u64 s[24:25], s[38:39], s[28:29]
	s_wait_alu 0xfffe
	s_sub_co_i32 s11, s15, s11
	s_add_nc_u64 s[2:3], s[6:7], s[2:3]
	s_wait_alu 0xfffe
	s_mul_i32 s6, s11, s21
	s_add_nc_u64 s[8:9], s[8:9], s[24:25]
	s_mul_i32 s24, s11, s27
	v_lshl_add_u32 v35, v7, 7, 0x4800
	v_lshl_add_u32 v15, v7, 10, v14
	v_lshlrev_b64_e32 v[7:8], 2, v[3:4]
	s_ashr_i32 s7, s6, 31
	s_wait_alu 0xfffe
	s_ashr_i32 s25, s24, 31
	v_lshl_add_u32 v11, s20, 5, v9
	s_add_nc_u64 s[6:7], s[2:3], s[6:7]
	s_wait_alu 0xfffe
	s_add_nc_u64 s[2:3], s[8:9], s[24:25]
	v_mad_co_u64_u32 v[3:4], null, v5, s5, v[2:3]
	s_wait_alu 0xfffe
	v_add_co_u32 v4, vcc_lo, s2, v7
	v_ashrrev_i32_e32 v10, 31, v9
	v_ashrrev_i32_e32 v12, 31, v11
	s_wait_alu 0xfffd
	v_add_co_ci_u32_e64 v5, null, s3, v8, vcc_lo
	v_dual_mov_b32 v50, 0 :: v_dual_add_nc_u32 v39, 0x2400, v6
	v_add_co_u32 v40, vcc_lo, v4, v14
	s_movk_i32 s8, 0x2400
	s_wait_alu 0xfffd
	v_add_co_ci_u32_e64 v41, null, 0, v5, vcc_lo
	v_lshlrev_b64_e32 v[4:5], 2, v[9:10]
	v_lshlrev_b64_e32 v[6:7], 2, v[11:12]
	v_mad_u32_u24 v34, 0x90, v2, s8
	v_lshl_add_u32 v36, v2, 1, v35
	v_dual_mov_b32 v52, 0 :: v_dual_add_nc_u32 v37, 0x2400, v15
	v_dual_mov_b32 v51, 0 :: v_dual_add_nc_u32 v38, 0x2600, v15
	v_dual_mov_b32 v8, 0xfeffffff :: v_dual_mov_b32 v31, 0
	v_lshlrev_b32_e32 v42, 2, v13
	v_xor_b32_e32 v30, 16, v25
	v_xor_b32_e32 v29, 8, v25
	;; [unrolled: 1-line block ×5, first 2 shown]
	v_add_nc_u32_e32 v43, 0x800, v39
	v_add_nc_u32_e32 v44, 0x1000, v39
	;; [unrolled: 1-line block ×3, first 2 shown]
	s_ashr_i32 s21, s20, 31
	s_ashr_i32 s15, s14, 31
	s_add_nc_u64 s[8:9], s[0:1], 0xd0
.LBB17_11:                              ; =>This Inner Loop Header: Depth=1
	v_cmp_gt_i32_e32 vcc_lo, 32, v30
	v_dual_mov_b32 v54, v8 :: v_dual_mov_b32 v55, 0
	v_add_nc_u32_e32 v8, s10, v3
	s_ashr_i32 s11, s10, 31
	s_wait_alu 0xfffd
	v_cndmask_b32_e32 v10, v25, v30, vcc_lo
	v_cmp_gt_i32_e32 vcc_lo, 32, v29
	v_mov_b32_e32 v56, 0
	s_wait_alu 0xfffe
	s_mul_u64 s[36:37], s[10:11], s[20:21]
	s_mul_u64 s[38:39], s[10:11], s[14:15]
	v_ashrrev_i32_e32 v9, 31, v8
	s_wait_alu 0xfffd
	v_cndmask_b32_e32 v11, v25, v29, vcc_lo
	v_cmp_gt_i32_e32 vcc_lo, 32, v28
	s_or_b32 s2, s10, 8
	s_wait_alu 0xfffe
	s_lshl_b64 s[36:37], s[36:37], 2
	s_lshl_b64 s[38:39], s[38:39], 2
	s_or_b32 s24, s10, 16
	s_wait_alu 0xfffd
	v_cndmask_b32_e32 v12, v25, v28, vcc_lo
	v_cmp_gt_i32_e32 vcc_lo, 32, v27
	s_ashr_i32 s3, s2, 31
	s_wait_alu 0xfffe
	s_add_nc_u64 s[36:37], s[6:7], s[36:37]
	s_or_b32 s26, s10, 24
	s_ashr_i32 s25, s24, 31
	s_wait_alu 0xfffd
	v_cndmask_b32_e32 v13, v25, v27, vcc_lo
	v_cmp_gt_i32_e32 vcc_lo, 32, v26
	s_mul_u64 s[2:3], s[2:3], s[14:15]
	v_lshlrev_b64_e32 v[17:18], 1, v[8:9]
	s_wait_alu 0xfffe
	s_ashr_i32 s27, s26, 31
	s_mul_u64 s[24:25], s[24:25], s[14:15]
	s_wait_alu 0xfffd
	v_cndmask_b32_e32 v14, v25, v26, vcc_lo
	v_add_co_u32 v15, vcc_lo, v40, s38
	s_wait_alu 0xfffd
	v_add_co_ci_u32_e64 v16, null, s39, v41, vcc_lo
	v_add_co_u32 v8, vcc_lo, s36, v4
	s_lshl_b64 s[2:3], s[2:3], 2
	s_wait_alu 0xfffd
	v_add_co_ci_u32_e64 v20, null, s37, v5, vcc_lo
	v_add_co_u32 v21, vcc_lo, s36, v6
	s_wait_alu 0xfffe
	s_mul_u64 s[26:27], s[26:27], s[14:15]
	v_lshlrev_b32_e32 v58, 2, v13
	s_lshl_b64 s[24:25], s[24:25], 2
	s_wait_alu 0xfffd
	v_add_co_ci_u32_e64 v22, null, s37, v7, vcc_lo
	v_add_co_u32 v13, vcc_lo, v40, s2
	v_lshlrev_b32_e32 v60, 2, v11
	v_lshlrev_b32_e32 v57, 2, v14
	s_wait_alu 0xfffe
	s_lshl_b64 s[26:27], s[26:27], 2
	s_wait_alu 0xfffd
	v_add_co_ci_u32_e64 v14, null, s3, v41, vcc_lo
	v_add_co_u32 v11, vcc_lo, v40, s24
	v_lshlrev_b32_e32 v59, 2, v12
	s_wait_alu 0xfffd
	v_add_co_ci_u32_e64 v12, null, s25, v41, vcc_lo
	s_wait_alu 0xfffe
	v_add_co_u32 v9, vcc_lo, v40, s26
	v_lshlrev_b32_e32 v61, 2, v10
	s_wait_alu 0xfffd
	v_add_co_ci_u32_e64 v10, null, s27, v41, vcc_lo
	v_add_co_u32 v19, vcc_lo, v8, v42
	s_wait_alu 0xfffd
	v_add_co_ci_u32_e64 v20, null, 0, v20, vcc_lo
	v_add_co_u32 v21, vcc_lo, v21, v42
	s_wait_alu 0xfffd
	v_add_co_ci_u32_e64 v22, null, 0, v22, vcc_lo
	s_clause 0x1
	global_load_b128 v[62:65], v[19:20], off
	global_load_b128 v[66:69], v[21:22], off
	v_add_co_u32 v17, vcc_lo, s34, v17
	s_wait_alu 0xfffd
	v_add_co_ci_u32_e64 v18, null, s35, v18, vcc_lo
	s_wait_loadcnt 0x1
	ds_store_b128 v32, v[62:65]
	s_wait_loadcnt 0x0
	ds_store_b128 v33, v[66:69]
	s_wait_dscnt 0x0
	s_barrier_signal -1
	s_barrier_wait -1
	global_inv scope:SCOPE_SE
	ds_load_b128 v[62:65], v34
	ds_load_b128 v[66:69], v0
	ds_load_b128 v[70:73], v34 offset:4608
	s_wait_dscnt 0x1
	;;#ASMSTART
	v_dot2_f32_f16 v55, v62, v66, v55
	;;#ASMEND
	;;#ASMSTART
	v_dot2_f32_f16 v55, v63, v67, v55
	;;#ASMEND
	;;#ASMSTART
	v_dot2_f32_f16 v55, v64, v68, v55
	;;#ASMEND
	;;#ASMSTART
	v_dot2_f32_f16 v55, v65, v69, v55
	;;#ASMEND
	s_wait_dscnt 0x0
	;;#ASMSTART
	v_dot2_f32_f16 v56, v70, v66, v56
	;;#ASMEND
	;;#ASMSTART
	v_dot2_f32_f16 v56, v71, v67, v56
	;;#ASMEND
	;;#ASMSTART
	v_dot2_f32_f16 v56, v72, v68, v56
	;;#ASMEND
	;;#ASMSTART
	v_dot2_f32_f16 v56, v73, v69, v56
	;;#ASMEND
	ds_load_b128 v[62:65], v34 offset:16
	ds_load_b128 v[66:69], v0 offset:16
	ds_load_b128 v[70:73], v34 offset:4624
	s_wait_dscnt 0x1
	;;#ASMSTART
	v_dot2_f32_f16 v55, v62, v66, v55
	;;#ASMEND
	;;#ASMSTART
	v_dot2_f32_f16 v55, v63, v67, v55
	;;#ASMEND
	;;#ASMSTART
	v_dot2_f32_f16 v55, v64, v68, v55
	;;#ASMEND
	;;#ASMSTART
	v_dot2_f32_f16 v55, v65, v69, v55
	;;#ASMEND
	s_wait_dscnt 0x0
	;;#ASMSTART
	v_dot2_f32_f16 v56, v70, v66, v56
	;;#ASMEND
	;;#ASMSTART
	v_dot2_f32_f16 v56, v71, v67, v56
	;;#ASMEND
	;;#ASMSTART
	v_dot2_f32_f16 v56, v72, v68, v56
	;;#ASMEND
	;;#ASMSTART
	v_dot2_f32_f16 v56, v73, v69, v56
	;;#ASMEND
	ds_load_b128 v[62:65], v34 offset:32
	ds_load_b128 v[66:69], v0 offset:32
	;; [unrolled: 29-line block ×7, first 2 shown]
	ds_load_b128 v[70:73], v34 offset:4720
	s_wait_dscnt 0x1
	;;#ASMSTART
	v_dot2_f32_f16 v55, v62, v66, v55
	;;#ASMEND
	;;#ASMSTART
	v_dot2_f32_f16 v55, v63, v67, v55
	;;#ASMEND
	;; [unrolled: 3-line block ×4, first 2 shown]
	s_wait_dscnt 0x0
	;;#ASMSTART
	v_dot2_f32_f16 v56, v70, v66, v56
	;;#ASMEND
	;;#ASMSTART
	v_dot2_f32_f16 v56, v71, v67, v56
	;;#ASMEND
	;; [unrolled: 3-line block ×4, first 2 shown]
	s_wait_loadcnt 0x0
	s_barrier_signal -1
	s_barrier_wait -1
	global_inv scope:SCOPE_SE
	s_clause 0x1
	global_load_b128 v[62:65], v[19:20], off offset:128
	global_load_b128 v[66:69], v[21:22], off offset:128
	s_wait_loadcnt 0x1
	ds_store_b128 v32, v[62:65]
	s_wait_loadcnt 0x0
	ds_store_b128 v33, v[66:69]
	s_wait_dscnt 0x0
	s_barrier_signal -1
	s_barrier_wait -1
	global_inv scope:SCOPE_SE
	ds_load_b128 v[62:65], v34
	ds_load_b128 v[66:69], v0 offset:128
	ds_load_b128 v[70:73], v34 offset:4608
	s_wait_dscnt 0x1
	;;#ASMSTART
	v_dot2_f32_f16 v55, v62, v66, v55
	;;#ASMEND
	;;#ASMSTART
	v_dot2_f32_f16 v55, v63, v67, v55
	;;#ASMEND
	;;#ASMSTART
	v_dot2_f32_f16 v55, v64, v68, v55
	;;#ASMEND
	;;#ASMSTART
	v_dot2_f32_f16 v55, v65, v69, v55
	;;#ASMEND
	s_wait_dscnt 0x0
	;;#ASMSTART
	v_dot2_f32_f16 v56, v70, v66, v56
	;;#ASMEND
	;;#ASMSTART
	v_dot2_f32_f16 v56, v71, v67, v56
	;;#ASMEND
	;;#ASMSTART
	v_dot2_f32_f16 v56, v72, v68, v56
	;;#ASMEND
	;;#ASMSTART
	v_dot2_f32_f16 v56, v73, v69, v56
	;;#ASMEND
	ds_load_b128 v[62:65], v34 offset:16
	ds_load_b128 v[66:69], v0 offset:144
	ds_load_b128 v[70:73], v34 offset:4624
	s_wait_dscnt 0x1
	;;#ASMSTART
	v_dot2_f32_f16 v55, v62, v66, v55
	;;#ASMEND
	;;#ASMSTART
	v_dot2_f32_f16 v55, v63, v67, v55
	;;#ASMEND
	;;#ASMSTART
	v_dot2_f32_f16 v55, v64, v68, v55
	;;#ASMEND
	;;#ASMSTART
	v_dot2_f32_f16 v55, v65, v69, v55
	;;#ASMEND
	s_wait_dscnt 0x0
	;;#ASMSTART
	v_dot2_f32_f16 v56, v70, v66, v56
	;;#ASMEND
	;;#ASMSTART
	v_dot2_f32_f16 v56, v71, v67, v56
	;;#ASMEND
	;;#ASMSTART
	v_dot2_f32_f16 v56, v72, v68, v56
	;;#ASMEND
	;;#ASMSTART
	v_dot2_f32_f16 v56, v73, v69, v56
	;;#ASMEND
	ds_load_b128 v[62:65], v34 offset:32
	;; [unrolled: 29-line block ×7, first 2 shown]
	ds_load_b128 v[66:69], v0 offset:240
	ds_load_b128 v[70:73], v34 offset:4720
	s_wait_dscnt 0x1
	;;#ASMSTART
	v_dot2_f32_f16 v55, v62, v66, v55
	;;#ASMEND
	;;#ASMSTART
	v_dot2_f32_f16 v55, v63, v67, v55
	;;#ASMEND
	;; [unrolled: 3-line block ×4, first 2 shown]
	s_wait_dscnt 0x0
	;;#ASMSTART
	v_dot2_f32_f16 v56, v70, v66, v56
	;;#ASMEND
	;;#ASMSTART
	v_dot2_f32_f16 v56, v71, v67, v56
	;;#ASMEND
	;; [unrolled: 3-line block ×4, first 2 shown]
	s_wait_loadcnt 0x0
	s_barrier_signal -1
	s_barrier_wait -1
	global_inv scope:SCOPE_SE
	s_clause 0x1
	global_load_b128 v[62:65], v[19:20], off offset:256
	global_load_b128 v[66:69], v[21:22], off offset:256
	s_wait_loadcnt 0x1
	ds_store_b128 v32, v[62:65]
	s_wait_loadcnt 0x0
	ds_store_b128 v33, v[66:69]
	s_wait_dscnt 0x0
	s_barrier_signal -1
	s_barrier_wait -1
	global_inv scope:SCOPE_SE
	ds_load_b128 v[62:65], v34
	ds_load_b128 v[66:69], v0 offset:256
	ds_load_b128 v[70:73], v34 offset:4608
	s_wait_dscnt 0x1
	;;#ASMSTART
	v_dot2_f32_f16 v55, v62, v66, v55
	;;#ASMEND
	;;#ASMSTART
	v_dot2_f32_f16 v55, v63, v67, v55
	;;#ASMEND
	;;#ASMSTART
	v_dot2_f32_f16 v55, v64, v68, v55
	;;#ASMEND
	;;#ASMSTART
	v_dot2_f32_f16 v55, v65, v69, v55
	;;#ASMEND
	s_wait_dscnt 0x0
	;;#ASMSTART
	v_dot2_f32_f16 v56, v70, v66, v56
	;;#ASMEND
	;;#ASMSTART
	v_dot2_f32_f16 v56, v71, v67, v56
	;;#ASMEND
	;;#ASMSTART
	v_dot2_f32_f16 v56, v72, v68, v56
	;;#ASMEND
	;;#ASMSTART
	v_dot2_f32_f16 v56, v73, v69, v56
	;;#ASMEND
	ds_load_b128 v[62:65], v34 offset:16
	ds_load_b128 v[66:69], v0 offset:272
	ds_load_b128 v[70:73], v34 offset:4624
	s_wait_dscnt 0x1
	;;#ASMSTART
	v_dot2_f32_f16 v55, v62, v66, v55
	;;#ASMEND
	;;#ASMSTART
	v_dot2_f32_f16 v55, v63, v67, v55
	;;#ASMEND
	;;#ASMSTART
	v_dot2_f32_f16 v55, v64, v68, v55
	;;#ASMEND
	;;#ASMSTART
	v_dot2_f32_f16 v55, v65, v69, v55
	;;#ASMEND
	s_wait_dscnt 0x0
	;;#ASMSTART
	v_dot2_f32_f16 v56, v70, v66, v56
	;;#ASMEND
	;;#ASMSTART
	v_dot2_f32_f16 v56, v71, v67, v56
	;;#ASMEND
	;;#ASMSTART
	v_dot2_f32_f16 v56, v72, v68, v56
	;;#ASMEND
	;;#ASMSTART
	v_dot2_f32_f16 v56, v73, v69, v56
	;;#ASMEND
	ds_load_b128 v[62:65], v34 offset:32
	;; [unrolled: 29-line block ×7, first 2 shown]
	ds_load_b128 v[66:69], v0 offset:368
	ds_load_b128 v[70:73], v34 offset:4720
	s_wait_dscnt 0x1
	;;#ASMSTART
	v_dot2_f32_f16 v55, v62, v66, v55
	;;#ASMEND
	;;#ASMSTART
	v_dot2_f32_f16 v55, v63, v67, v55
	;;#ASMEND
	;; [unrolled: 3-line block ×4, first 2 shown]
	s_wait_dscnt 0x0
	;;#ASMSTART
	v_dot2_f32_f16 v56, v70, v66, v56
	;;#ASMEND
	;;#ASMSTART
	v_dot2_f32_f16 v56, v71, v67, v56
	;;#ASMEND
	;; [unrolled: 3-line block ×4, first 2 shown]
	s_wait_loadcnt 0x0
	s_barrier_signal -1
	s_barrier_wait -1
	global_inv scope:SCOPE_SE
	s_clause 0x1
	global_load_b128 v[62:65], v[19:20], off offset:384
	global_load_b128 v[66:69], v[21:22], off offset:384
	s_wait_loadcnt 0x1
	ds_store_b128 v32, v[62:65]
	s_wait_loadcnt 0x0
	ds_store_b128 v33, v[66:69]
	s_wait_dscnt 0x0
	s_barrier_signal -1
	s_barrier_wait -1
	global_inv scope:SCOPE_SE
	ds_load_b128 v[62:65], v34
	ds_load_b128 v[66:69], v0 offset:384
	ds_load_b128 v[70:73], v34 offset:4608
	s_wait_dscnt 0x1
	;;#ASMSTART
	v_dot2_f32_f16 v55, v62, v66, v55
	;;#ASMEND
	;;#ASMSTART
	v_dot2_f32_f16 v55, v63, v67, v55
	;;#ASMEND
	;;#ASMSTART
	v_dot2_f32_f16 v55, v64, v68, v55
	;;#ASMEND
	;;#ASMSTART
	v_dot2_f32_f16 v55, v65, v69, v55
	;;#ASMEND
	s_wait_dscnt 0x0
	;;#ASMSTART
	v_dot2_f32_f16 v56, v70, v66, v56
	;;#ASMEND
	;;#ASMSTART
	v_dot2_f32_f16 v56, v71, v67, v56
	;;#ASMEND
	;;#ASMSTART
	v_dot2_f32_f16 v56, v72, v68, v56
	;;#ASMEND
	;;#ASMSTART
	v_dot2_f32_f16 v56, v73, v69, v56
	;;#ASMEND
	ds_load_b128 v[62:65], v34 offset:16
	ds_load_b128 v[66:69], v0 offset:400
	ds_load_b128 v[70:73], v34 offset:4624
	s_wait_dscnt 0x1
	;;#ASMSTART
	v_dot2_f32_f16 v55, v62, v66, v55
	;;#ASMEND
	;;#ASMSTART
	v_dot2_f32_f16 v55, v63, v67, v55
	;;#ASMEND
	;;#ASMSTART
	v_dot2_f32_f16 v55, v64, v68, v55
	;;#ASMEND
	;;#ASMSTART
	v_dot2_f32_f16 v55, v65, v69, v55
	;;#ASMEND
	s_wait_dscnt 0x0
	;;#ASMSTART
	v_dot2_f32_f16 v56, v70, v66, v56
	;;#ASMEND
	;;#ASMSTART
	v_dot2_f32_f16 v56, v71, v67, v56
	;;#ASMEND
	;;#ASMSTART
	v_dot2_f32_f16 v56, v72, v68, v56
	;;#ASMEND
	;;#ASMSTART
	v_dot2_f32_f16 v56, v73, v69, v56
	;;#ASMEND
	ds_load_b128 v[62:65], v34 offset:32
	;; [unrolled: 29-line block ×7, first 2 shown]
	ds_load_b128 v[66:69], v0 offset:496
	ds_load_b128 v[70:73], v34 offset:4720
	s_wait_dscnt 0x1
	;;#ASMSTART
	v_dot2_f32_f16 v55, v62, v66, v55
	;;#ASMEND
	;;#ASMSTART
	v_dot2_f32_f16 v55, v63, v67, v55
	;;#ASMEND
	;; [unrolled: 3-line block ×4, first 2 shown]
	s_wait_dscnt 0x0
	;;#ASMSTART
	v_dot2_f32_f16 v56, v70, v66, v56
	;;#ASMEND
	;;#ASMSTART
	v_dot2_f32_f16 v56, v71, v67, v56
	;;#ASMEND
	;; [unrolled: 3-line block ×4, first 2 shown]
	s_wait_loadcnt 0x0
	s_barrier_signal -1
	s_barrier_wait -1
	global_inv scope:SCOPE_SE
	s_clause 0x1
	global_load_b128 v[62:65], v[19:20], off offset:512
	global_load_b128 v[66:69], v[21:22], off offset:512
	s_wait_loadcnt 0x1
	ds_store_b128 v32, v[62:65]
	s_wait_loadcnt 0x0
	ds_store_b128 v33, v[66:69]
	s_wait_dscnt 0x0
	s_barrier_signal -1
	s_barrier_wait -1
	global_inv scope:SCOPE_SE
	ds_load_b128 v[62:65], v34
	ds_load_b128 v[66:69], v0 offset:512
	ds_load_b128 v[70:73], v34 offset:4608
	s_wait_dscnt 0x1
	;;#ASMSTART
	v_dot2_f32_f16 v55, v62, v66, v55
	;;#ASMEND
	;;#ASMSTART
	v_dot2_f32_f16 v55, v63, v67, v55
	;;#ASMEND
	;;#ASMSTART
	v_dot2_f32_f16 v55, v64, v68, v55
	;;#ASMEND
	;;#ASMSTART
	v_dot2_f32_f16 v55, v65, v69, v55
	;;#ASMEND
	s_wait_dscnt 0x0
	;;#ASMSTART
	v_dot2_f32_f16 v56, v70, v66, v56
	;;#ASMEND
	;;#ASMSTART
	v_dot2_f32_f16 v56, v71, v67, v56
	;;#ASMEND
	;;#ASMSTART
	v_dot2_f32_f16 v56, v72, v68, v56
	;;#ASMEND
	;;#ASMSTART
	v_dot2_f32_f16 v56, v73, v69, v56
	;;#ASMEND
	ds_load_b128 v[62:65], v34 offset:16
	ds_load_b128 v[66:69], v0 offset:528
	ds_load_b128 v[70:73], v34 offset:4624
	s_wait_dscnt 0x1
	;;#ASMSTART
	v_dot2_f32_f16 v55, v62, v66, v55
	;;#ASMEND
	;;#ASMSTART
	v_dot2_f32_f16 v55, v63, v67, v55
	;;#ASMEND
	;;#ASMSTART
	v_dot2_f32_f16 v55, v64, v68, v55
	;;#ASMEND
	;;#ASMSTART
	v_dot2_f32_f16 v55, v65, v69, v55
	;;#ASMEND
	s_wait_dscnt 0x0
	;;#ASMSTART
	v_dot2_f32_f16 v56, v70, v66, v56
	;;#ASMEND
	;;#ASMSTART
	v_dot2_f32_f16 v56, v71, v67, v56
	;;#ASMEND
	;;#ASMSTART
	v_dot2_f32_f16 v56, v72, v68, v56
	;;#ASMEND
	;;#ASMSTART
	v_dot2_f32_f16 v56, v73, v69, v56
	;;#ASMEND
	ds_load_b128 v[62:65], v34 offset:32
	;; [unrolled: 29-line block ×7, first 2 shown]
	ds_load_b128 v[66:69], v0 offset:624
	ds_load_b128 v[70:73], v34 offset:4720
	s_wait_dscnt 0x1
	;;#ASMSTART
	v_dot2_f32_f16 v55, v62, v66, v55
	;;#ASMEND
	;;#ASMSTART
	v_dot2_f32_f16 v55, v63, v67, v55
	;;#ASMEND
	;;#ASMSTART
	v_dot2_f32_f16 v55, v64, v68, v55
	;;#ASMEND
	;;#ASMSTART
	v_dot2_f32_f16 v55, v65, v69, v55
	;;#ASMEND
	s_wait_dscnt 0x0
	;;#ASMSTART
	v_dot2_f32_f16 v56, v70, v66, v56
	;;#ASMEND
	;;#ASMSTART
	v_dot2_f32_f16 v56, v71, v67, v56
	;;#ASMEND
	;; [unrolled: 3-line block ×4, first 2 shown]
	s_wait_loadcnt 0x0
	s_barrier_signal -1
	s_barrier_wait -1
	global_inv scope:SCOPE_SE
	s_clause 0x1
	global_load_b128 v[62:65], v[19:20], off offset:640
	global_load_b128 v[66:69], v[21:22], off offset:640
	s_wait_loadcnt 0x1
	ds_store_b128 v32, v[62:65]
	s_wait_loadcnt 0x0
	ds_store_b128 v33, v[66:69]
	s_wait_dscnt 0x0
	s_barrier_signal -1
	s_barrier_wait -1
	global_inv scope:SCOPE_SE
	ds_load_b128 v[62:65], v34
	ds_load_b128 v[66:69], v0 offset:640
	ds_load_b128 v[70:73], v34 offset:4608
	s_wait_dscnt 0x1
	;;#ASMSTART
	v_dot2_f32_f16 v55, v62, v66, v55
	;;#ASMEND
	;;#ASMSTART
	v_dot2_f32_f16 v55, v63, v67, v55
	;;#ASMEND
	;;#ASMSTART
	v_dot2_f32_f16 v55, v64, v68, v55
	;;#ASMEND
	;;#ASMSTART
	v_dot2_f32_f16 v55, v65, v69, v55
	;;#ASMEND
	s_wait_dscnt 0x0
	;;#ASMSTART
	v_dot2_f32_f16 v56, v70, v66, v56
	;;#ASMEND
	;;#ASMSTART
	v_dot2_f32_f16 v56, v71, v67, v56
	;;#ASMEND
	;;#ASMSTART
	v_dot2_f32_f16 v56, v72, v68, v56
	;;#ASMEND
	;;#ASMSTART
	v_dot2_f32_f16 v56, v73, v69, v56
	;;#ASMEND
	ds_load_b128 v[62:65], v34 offset:16
	ds_load_b128 v[66:69], v0 offset:656
	ds_load_b128 v[70:73], v34 offset:4624
	s_wait_dscnt 0x1
	;;#ASMSTART
	v_dot2_f32_f16 v55, v62, v66, v55
	;;#ASMEND
	;;#ASMSTART
	v_dot2_f32_f16 v55, v63, v67, v55
	;;#ASMEND
	;;#ASMSTART
	v_dot2_f32_f16 v55, v64, v68, v55
	;;#ASMEND
	;;#ASMSTART
	v_dot2_f32_f16 v55, v65, v69, v55
	;;#ASMEND
	s_wait_dscnt 0x0
	;;#ASMSTART
	v_dot2_f32_f16 v56, v70, v66, v56
	;;#ASMEND
	;;#ASMSTART
	v_dot2_f32_f16 v56, v71, v67, v56
	;;#ASMEND
	;;#ASMSTART
	v_dot2_f32_f16 v56, v72, v68, v56
	;;#ASMEND
	;;#ASMSTART
	v_dot2_f32_f16 v56, v73, v69, v56
	;;#ASMEND
	ds_load_b128 v[62:65], v34 offset:32
	;; [unrolled: 29-line block ×7, first 2 shown]
	ds_load_b128 v[66:69], v0 offset:752
	ds_load_b128 v[70:73], v34 offset:4720
	s_wait_dscnt 0x1
	;;#ASMSTART
	v_dot2_f32_f16 v55, v62, v66, v55
	;;#ASMEND
	;;#ASMSTART
	v_dot2_f32_f16 v55, v63, v67, v55
	;;#ASMEND
	;; [unrolled: 3-line block ×4, first 2 shown]
	s_wait_dscnt 0x0
	;;#ASMSTART
	v_dot2_f32_f16 v56, v70, v66, v56
	;;#ASMEND
	;;#ASMSTART
	v_dot2_f32_f16 v56, v71, v67, v56
	;;#ASMEND
	;; [unrolled: 3-line block ×4, first 2 shown]
	s_wait_loadcnt 0x0
	s_barrier_signal -1
	s_barrier_wait -1
	global_inv scope:SCOPE_SE
	s_clause 0x1
	global_load_b128 v[62:65], v[19:20], off offset:768
	global_load_b128 v[66:69], v[21:22], off offset:768
	s_wait_loadcnt 0x1
	ds_store_b128 v32, v[62:65]
	s_wait_loadcnt 0x0
	ds_store_b128 v33, v[66:69]
	s_wait_dscnt 0x0
	s_barrier_signal -1
	s_barrier_wait -1
	global_inv scope:SCOPE_SE
	ds_load_b128 v[62:65], v34
	ds_load_b128 v[66:69], v0 offset:768
	ds_load_b128 v[70:73], v34 offset:4608
	s_wait_dscnt 0x1
	;;#ASMSTART
	v_dot2_f32_f16 v55, v62, v66, v55
	;;#ASMEND
	;;#ASMSTART
	v_dot2_f32_f16 v55, v63, v67, v55
	;;#ASMEND
	;;#ASMSTART
	v_dot2_f32_f16 v55, v64, v68, v55
	;;#ASMEND
	;;#ASMSTART
	v_dot2_f32_f16 v55, v65, v69, v55
	;;#ASMEND
	s_wait_dscnt 0x0
	;;#ASMSTART
	v_dot2_f32_f16 v56, v70, v66, v56
	;;#ASMEND
	;;#ASMSTART
	v_dot2_f32_f16 v56, v71, v67, v56
	;;#ASMEND
	;;#ASMSTART
	v_dot2_f32_f16 v56, v72, v68, v56
	;;#ASMEND
	;;#ASMSTART
	v_dot2_f32_f16 v56, v73, v69, v56
	;;#ASMEND
	ds_load_b128 v[62:65], v34 offset:16
	ds_load_b128 v[66:69], v0 offset:784
	ds_load_b128 v[70:73], v34 offset:4624
	s_wait_dscnt 0x1
	;;#ASMSTART
	v_dot2_f32_f16 v55, v62, v66, v55
	;;#ASMEND
	;;#ASMSTART
	v_dot2_f32_f16 v55, v63, v67, v55
	;;#ASMEND
	;;#ASMSTART
	v_dot2_f32_f16 v55, v64, v68, v55
	;;#ASMEND
	;;#ASMSTART
	v_dot2_f32_f16 v55, v65, v69, v55
	;;#ASMEND
	s_wait_dscnt 0x0
	;;#ASMSTART
	v_dot2_f32_f16 v56, v70, v66, v56
	;;#ASMEND
	;;#ASMSTART
	v_dot2_f32_f16 v56, v71, v67, v56
	;;#ASMEND
	;;#ASMSTART
	v_dot2_f32_f16 v56, v72, v68, v56
	;;#ASMEND
	;;#ASMSTART
	v_dot2_f32_f16 v56, v73, v69, v56
	;;#ASMEND
	ds_load_b128 v[62:65], v34 offset:32
	;; [unrolled: 29-line block ×7, first 2 shown]
	ds_load_b128 v[66:69], v0 offset:880
	ds_load_b128 v[70:73], v34 offset:4720
	s_wait_dscnt 0x1
	;;#ASMSTART
	v_dot2_f32_f16 v55, v62, v66, v55
	;;#ASMEND
	;;#ASMSTART
	v_dot2_f32_f16 v55, v63, v67, v55
	;;#ASMEND
	;; [unrolled: 3-line block ×4, first 2 shown]
	s_wait_dscnt 0x0
	;;#ASMSTART
	v_dot2_f32_f16 v56, v70, v66, v56
	;;#ASMEND
	;;#ASMSTART
	v_dot2_f32_f16 v56, v71, v67, v56
	;;#ASMEND
	;; [unrolled: 3-line block ×4, first 2 shown]
	s_wait_loadcnt 0x0
	s_barrier_signal -1
	s_barrier_wait -1
	global_inv scope:SCOPE_SE
	s_clause 0x1
	global_load_b128 v[62:65], v[19:20], off offset:896
	global_load_b128 v[66:69], v[21:22], off offset:896
	s_wait_loadcnt 0x1
	ds_store_b128 v32, v[62:65]
	s_wait_loadcnt 0x0
	ds_store_b128 v33, v[66:69]
	s_wait_dscnt 0x0
	s_barrier_signal -1
	s_barrier_wait -1
	global_inv scope:SCOPE_SE
	ds_load_b128 v[62:65], v34
	ds_load_b128 v[66:69], v0 offset:896
	ds_load_b128 v[70:73], v34 offset:4608
	s_wait_dscnt 0x1
	;;#ASMSTART
	v_dot2_f32_f16 v55, v62, v66, v55
	;;#ASMEND
	;;#ASMSTART
	v_dot2_f32_f16 v55, v63, v67, v55
	;;#ASMEND
	;;#ASMSTART
	v_dot2_f32_f16 v55, v64, v68, v55
	;;#ASMEND
	;;#ASMSTART
	v_dot2_f32_f16 v55, v65, v69, v55
	;;#ASMEND
	s_wait_dscnt 0x0
	;;#ASMSTART
	v_dot2_f32_f16 v56, v70, v66, v56
	;;#ASMEND
	;;#ASMSTART
	v_dot2_f32_f16 v56, v71, v67, v56
	;;#ASMEND
	;;#ASMSTART
	v_dot2_f32_f16 v56, v72, v68, v56
	;;#ASMEND
	;;#ASMSTART
	v_dot2_f32_f16 v56, v73, v69, v56
	;;#ASMEND
	ds_load_b128 v[62:65], v34 offset:16
	ds_load_b128 v[66:69], v0 offset:912
	ds_load_b128 v[70:73], v34 offset:4624
	s_wait_dscnt 0x1
	;;#ASMSTART
	v_dot2_f32_f16 v55, v62, v66, v55
	;;#ASMEND
	;;#ASMSTART
	v_dot2_f32_f16 v55, v63, v67, v55
	;;#ASMEND
	;;#ASMSTART
	v_dot2_f32_f16 v55, v64, v68, v55
	;;#ASMEND
	;;#ASMSTART
	v_dot2_f32_f16 v55, v65, v69, v55
	;;#ASMEND
	s_wait_dscnt 0x0
	;;#ASMSTART
	v_dot2_f32_f16 v56, v70, v66, v56
	;;#ASMEND
	;;#ASMSTART
	v_dot2_f32_f16 v56, v71, v67, v56
	;;#ASMEND
	;;#ASMSTART
	v_dot2_f32_f16 v56, v72, v68, v56
	;;#ASMEND
	;;#ASMSTART
	v_dot2_f32_f16 v56, v73, v69, v56
	;;#ASMEND
	ds_load_b128 v[62:65], v34 offset:32
	;; [unrolled: 29-line block ×7, first 2 shown]
	ds_load_b128 v[66:69], v0 offset:1008
	ds_load_b128 v[70:73], v34 offset:4720
	s_wait_dscnt 0x1
	;;#ASMSTART
	v_dot2_f32_f16 v55, v62, v66, v55
	;;#ASMEND
	;;#ASMSTART
	v_dot2_f32_f16 v55, v63, v67, v55
	;;#ASMEND
	;; [unrolled: 3-line block ×4, first 2 shown]
	s_wait_dscnt 0x0
	;;#ASMSTART
	v_dot2_f32_f16 v56, v70, v66, v56
	;;#ASMEND
	;;#ASMSTART
	v_dot2_f32_f16 v56, v71, v67, v56
	;;#ASMEND
	;; [unrolled: 3-line block ×4, first 2 shown]
	s_wait_loadcnt 0x0
	s_barrier_signal -1
	s_barrier_wait -1
	global_inv scope:SCOPE_SE
	s_clause 0x1
	global_load_b128 v[62:65], v[19:20], off offset:1024
	global_load_b128 v[19:22], v[21:22], off offset:1024
	s_wait_loadcnt 0x1
	ds_store_b128 v32, v[62:65]
	s_wait_loadcnt 0x0
	ds_store_b128 v33, v[19:22]
	s_wait_dscnt 0x0
	s_barrier_signal -1
	s_barrier_wait -1
	global_inv scope:SCOPE_SE
	ds_load_b128 v[19:22], v34
	ds_load_b128 v[62:65], v0 offset:1024
	ds_load_b128 v[66:69], v34 offset:4608
	s_wait_dscnt 0x1
	;;#ASMSTART
	v_dot2_f32_f16 v55, v19, v62, v55
	;;#ASMEND
	;;#ASMSTART
	v_dot2_f32_f16 v55, v20, v63, v55
	;;#ASMEND
	;;#ASMSTART
	v_dot2_f32_f16 v55, v21, v64, v55
	;;#ASMEND
	;;#ASMSTART
	v_dot2_f32_f16 v55, v22, v65, v55
	;;#ASMEND
	s_wait_dscnt 0x0
	;;#ASMSTART
	v_dot2_f32_f16 v56, v66, v62, v56
	;;#ASMEND
	;;#ASMSTART
	v_dot2_f32_f16 v56, v67, v63, v56
	;;#ASMEND
	;;#ASMSTART
	v_dot2_f32_f16 v56, v68, v64, v56
	;;#ASMEND
	;;#ASMSTART
	v_dot2_f32_f16 v56, v69, v65, v56
	;;#ASMEND
	ds_load_b128 v[19:22], v34 offset:16
	ds_load_b128 v[62:65], v0 offset:1040
	ds_load_b128 v[66:69], v34 offset:4624
	s_wait_dscnt 0x1
	;;#ASMSTART
	v_dot2_f32_f16 v55, v19, v62, v55
	;;#ASMEND
	;;#ASMSTART
	v_dot2_f32_f16 v55, v20, v63, v55
	;;#ASMEND
	;;#ASMSTART
	v_dot2_f32_f16 v55, v21, v64, v55
	;;#ASMEND
	;;#ASMSTART
	v_dot2_f32_f16 v55, v22, v65, v55
	;;#ASMEND
	s_wait_dscnt 0x0
	;;#ASMSTART
	v_dot2_f32_f16 v56, v66, v62, v56
	;;#ASMEND
	;;#ASMSTART
	v_dot2_f32_f16 v56, v67, v63, v56
	;;#ASMEND
	;;#ASMSTART
	v_dot2_f32_f16 v56, v68, v64, v56
	;;#ASMEND
	;;#ASMSTART
	v_dot2_f32_f16 v56, v69, v65, v56
	;;#ASMEND
	ds_load_b128 v[19:22], v34 offset:32
	ds_load_b128 v[62:65], v0 offset:1056
	ds_load_b128 v[66:69], v34 offset:4640
	s_wait_dscnt 0x1
	;;#ASMSTART
	v_dot2_f32_f16 v55, v19, v62, v55
	;;#ASMEND
	;;#ASMSTART
	v_dot2_f32_f16 v55, v20, v63, v55
	;;#ASMEND
	;;#ASMSTART
	v_dot2_f32_f16 v55, v21, v64, v55
	;;#ASMEND
	;;#ASMSTART
	v_dot2_f32_f16 v55, v22, v65, v55
	;;#ASMEND
	s_wait_dscnt 0x0
	;;#ASMSTART
	v_dot2_f32_f16 v56, v66, v62, v56
	;;#ASMEND
	;;#ASMSTART
	v_dot2_f32_f16 v56, v67, v63, v56
	;;#ASMEND
	;;#ASMSTART
	v_dot2_f32_f16 v56, v68, v64, v56
	;;#ASMEND
	;;#ASMSTART
	v_dot2_f32_f16 v56, v69, v65, v56
	;;#ASMEND
	ds_load_b128 v[19:22], v34 offset:48
	ds_load_b128 v[62:65], v0 offset:1072
	ds_load_b128 v[66:69], v34 offset:4656
	s_wait_dscnt 0x1
	;;#ASMSTART
	v_dot2_f32_f16 v55, v19, v62, v55
	;;#ASMEND
	;;#ASMSTART
	v_dot2_f32_f16 v55, v20, v63, v55
	;;#ASMEND
	;;#ASMSTART
	v_dot2_f32_f16 v55, v21, v64, v55
	;;#ASMEND
	;;#ASMSTART
	v_dot2_f32_f16 v55, v22, v65, v55
	;;#ASMEND
	s_wait_dscnt 0x0
	;;#ASMSTART
	v_dot2_f32_f16 v56, v66, v62, v56
	;;#ASMEND
	;;#ASMSTART
	v_dot2_f32_f16 v56, v67, v63, v56
	;;#ASMEND
	;;#ASMSTART
	v_dot2_f32_f16 v56, v68, v64, v56
	;;#ASMEND
	;;#ASMSTART
	v_dot2_f32_f16 v56, v69, v65, v56
	;;#ASMEND
	ds_load_b128 v[19:22], v34 offset:64
	ds_load_b128 v[62:65], v0 offset:1088
	ds_load_b128 v[66:69], v34 offset:4672
	s_wait_dscnt 0x1
	;;#ASMSTART
	v_dot2_f32_f16 v55, v19, v62, v55
	;;#ASMEND
	;;#ASMSTART
	v_dot2_f32_f16 v55, v20, v63, v55
	;;#ASMEND
	;;#ASMSTART
	v_dot2_f32_f16 v55, v21, v64, v55
	;;#ASMEND
	;;#ASMSTART
	v_dot2_f32_f16 v55, v22, v65, v55
	;;#ASMEND
	s_wait_dscnt 0x0
	;;#ASMSTART
	v_dot2_f32_f16 v56, v66, v62, v56
	;;#ASMEND
	;;#ASMSTART
	v_dot2_f32_f16 v56, v67, v63, v56
	;;#ASMEND
	;;#ASMSTART
	v_dot2_f32_f16 v56, v68, v64, v56
	;;#ASMEND
	;;#ASMSTART
	v_dot2_f32_f16 v56, v69, v65, v56
	;;#ASMEND
	ds_load_b128 v[19:22], v34 offset:80
	ds_load_b128 v[62:65], v0 offset:1104
	ds_load_b128 v[66:69], v34 offset:4688
	s_wait_dscnt 0x1
	;;#ASMSTART
	v_dot2_f32_f16 v55, v19, v62, v55
	;;#ASMEND
	;;#ASMSTART
	v_dot2_f32_f16 v55, v20, v63, v55
	;;#ASMEND
	;;#ASMSTART
	v_dot2_f32_f16 v55, v21, v64, v55
	;;#ASMEND
	;;#ASMSTART
	v_dot2_f32_f16 v55, v22, v65, v55
	;;#ASMEND
	s_wait_dscnt 0x0
	;;#ASMSTART
	v_dot2_f32_f16 v56, v66, v62, v56
	;;#ASMEND
	;;#ASMSTART
	v_dot2_f32_f16 v56, v67, v63, v56
	;;#ASMEND
	;;#ASMSTART
	v_dot2_f32_f16 v56, v68, v64, v56
	;;#ASMEND
	;;#ASMSTART
	v_dot2_f32_f16 v56, v69, v65, v56
	;;#ASMEND
	ds_load_b128 v[19:22], v34 offset:96
	ds_load_b128 v[62:65], v0 offset:1120
	ds_load_b128 v[66:69], v34 offset:4704
	s_wait_dscnt 0x1
	;;#ASMSTART
	v_dot2_f32_f16 v55, v19, v62, v55
	;;#ASMEND
	;;#ASMSTART
	v_dot2_f32_f16 v55, v20, v63, v55
	;;#ASMEND
	;;#ASMSTART
	v_dot2_f32_f16 v55, v21, v64, v55
	;;#ASMEND
	;;#ASMSTART
	v_dot2_f32_f16 v55, v22, v65, v55
	;;#ASMEND
	s_wait_dscnt 0x0
	;;#ASMSTART
	v_dot2_f32_f16 v56, v66, v62, v56
	;;#ASMEND
	;;#ASMSTART
	v_dot2_f32_f16 v56, v67, v63, v56
	;;#ASMEND
	;;#ASMSTART
	v_dot2_f32_f16 v56, v68, v64, v56
	;;#ASMEND
	;;#ASMSTART
	v_dot2_f32_f16 v56, v69, v65, v56
	;;#ASMEND
	ds_load_b128 v[19:22], v34 offset:112
	ds_load_b128 v[62:65], v0 offset:1136
	ds_load_b128 v[66:69], v34 offset:4720
	s_wait_dscnt 0x1
	;;#ASMSTART
	v_dot2_f32_f16 v55, v19, v62, v55
	;;#ASMEND
	;;#ASMSTART
	v_dot2_f32_f16 v55, v20, v63, v55
	;;#ASMEND
	;; [unrolled: 3-line block ×4, first 2 shown]
	s_wait_dscnt 0x0
	;;#ASMSTART
	v_dot2_f32_f16 v56, v66, v62, v56
	;;#ASMEND
	;;#ASMSTART
	v_dot2_f32_f16 v56, v67, v63, v56
	;;#ASMEND
	;; [unrolled: 3-line block ×4, first 2 shown]
	s_clause 0x1
	global_load_u16 v8, v[17:18], off
	global_load_u16 v17, v[17:18], off offset:64
	s_wait_loadcnt 0x0
	s_barrier_signal -1
	s_barrier_wait -1
	global_inv scope:SCOPE_SE
	s_clause 0x1
	global_load_b128 v[18:21], v[15:16], off
	global_load_b128 v[62:65], v[15:16], off offset:512
	v_cvt_f32_f16_e32 v8, v8
	v_cvt_f32_f16_e32 v15, v17
	s_delay_alu instid0(VALU_DEP_1) | instskip(NEXT) | instid1(VALU_DEP_1)
	v_dual_add_f32 v16, v55, v8 :: v_dual_add_f32 v15, v56, v15
	v_dual_add_f32 v8, 0x40051340, v16 :: v_dual_add_f32 v17, 0x40051340, v15
	s_delay_alu instid0(VALU_DEP_1) | instskip(SKIP_3) | instid1(VALU_DEP_1)
	v_max3_num_f32 v8, v54, v8, v17
	ds_bpermute_b32 v17, v61, v8
	s_wait_dscnt 0x0
	v_max_num_f32_e32 v17, v17, v17
	v_max_num_f32_e32 v8, v8, v17
	ds_bpermute_b32 v17, v60, v8
	s_wait_dscnt 0x0
	v_max_num_f32_e32 v17, v17, v17
	s_delay_alu instid0(VALU_DEP_1) | instskip(SKIP_3) | instid1(VALU_DEP_1)
	v_max_num_f32_e32 v8, v8, v17
	ds_bpermute_b32 v17, v59, v8
	s_wait_dscnt 0x0
	v_max_num_f32_e32 v17, v17, v17
	v_max_num_f32_e32 v8, v8, v17
	ds_bpermute_b32 v17, v58, v8
	s_wait_dscnt 0x0
	v_max_num_f32_e32 v17, v17, v17
	s_delay_alu instid0(VALU_DEP_1) | instskip(SKIP_3) | instid1(VALU_DEP_1)
	v_max_num_f32_e32 v8, v8, v17
	ds_bpermute_b32 v17, v57, v8
	s_wait_dscnt 0x0
	v_max_num_f32_e32 v17, v17, v17
	v_max_num_f32_e32 v8, v8, v17
	s_delay_alu instid0(VALU_DEP_1) | instskip(NEXT) | instid1(VALU_DEP_1)
	v_sub_f32_e32 v16, v16, v8
	v_mul_f32_e32 v22, 0x3fb8aa3b, v16
	v_cmp_ngt_f32_e64 s3, 0xc2ce8ed0, v16
	s_delay_alu instid0(VALU_DEP_2) | instskip(SKIP_2) | instid1(VALU_DEP_3)
	v_rndne_f32_e32 v57, v22
	v_sub_f32_e32 v15, v15, v8
	v_fma_f32 v56, 0x3fb8aa3b, v16, -v22
	v_sub_f32_e32 v22, v22, v57
	s_delay_alu instid0(VALU_DEP_3) | instskip(SKIP_2) | instid1(VALU_DEP_3)
	v_dual_sub_f32 v17, v54, v8 :: v_dual_mul_f32 v54, 0x3fb8aa3b, v15
	v_cvt_i32_f32_e32 v57, v57
	v_cmp_ngt_f32_e32 vcc_lo, 0xc2ce8ed0, v15
	v_fma_f32 v58, 0x3fb8aa3b, v15, -v54
	v_rndne_f32_e32 v59, v54
	s_delay_alu instid0(VALU_DEP_2) | instskip(NEXT) | instid1(VALU_DEP_2)
	v_fmac_f32_e32 v58, 0x32a5705f, v15
	v_dual_mul_f32 v55, 0x3fb8aa3b, v17 :: v_dual_sub_f32 v54, v54, v59
	v_cvt_i32_f32_e32 v59, v59
	v_cmp_ngt_f32_e64 s2, 0xc2ce8ed0, v17
	s_delay_alu instid0(VALU_DEP_3) | instskip(SKIP_3) | instid1(VALU_DEP_4)
	v_fma_f32 v60, 0x3fb8aa3b, v17, -v55
	v_rndne_f32_e32 v61, v55
	v_fmac_f32_e32 v56, 0x32a5705f, v16
	v_add_f32_e32 v54, v54, v58
	v_fmac_f32_e32 v60, 0x32a5705f, v17
	s_delay_alu instid0(VALU_DEP_3) | instskip(NEXT) | instid1(VALU_DEP_3)
	v_dual_sub_f32 v55, v55, v61 :: v_dual_add_f32 v22, v22, v56
	v_exp_f32_e32 v54, v54
	v_cvt_i32_f32_e32 v61, v61
	s_delay_alu instid0(VALU_DEP_2) | instskip(NEXT) | instid1(VALU_DEP_3)
	v_add_f32_e32 v55, v55, v60
	v_exp_f32_e32 v22, v22
	s_delay_alu instid0(VALU_DEP_1) | instskip(NEXT) | instid1(TRANS32_DEP_3)
	v_exp_f32_e32 v55, v55
	v_ldexp_f32 v54, v54, v59
	s_delay_alu instid0(TRANS32_DEP_2) | instskip(SKIP_1) | instid1(VALU_DEP_2)
	v_ldexp_f32 v22, v22, v57
	s_wait_alu 0xfffd
	v_cndmask_b32_e32 v54, 0, v54, vcc_lo
	v_cmp_nlt_f32_e32 vcc_lo, 0x42b17218, v15
	s_delay_alu instid0(TRANS32_DEP_1)
	v_ldexp_f32 v55, v55, v61
	s_wait_alu 0xf1ff
	v_cndmask_b32_e64 v22, 0, v22, s3
	v_cmp_nlt_f32_e64 s3, 0x42b17218, v17
	s_wait_alu 0xfffd
	v_cndmask_b32_e32 v17, 0x7f800000, v54, vcc_lo
	v_cndmask_b32_e64 v55, 0, v55, s2
	v_cmp_nlt_f32_e64 s2, 0x42b17218, v16
	s_wait_alu 0xf1ff
	s_delay_alu instid0(VALU_DEP_2) | instskip(NEXT) | instid1(VALU_DEP_2)
	v_cndmask_b32_e64 v15, 0x7f800000, v55, s3
	v_cndmask_b32_e64 v16, 0x7f800000, v22, s2
	v_cvt_f16_f32_e32 v55, v17
	s_or_b32 s2, s10, 32
	s_delay_alu instid0(VALU_DEP_3) | instskip(NEXT) | instid1(VALU_DEP_3)
	v_cvt_f16_f32_e32 v22, v15
	v_cvt_f16_f32_e32 v54, v16
	ds_store_b16 v36, v54
	ds_store_b16 v36, v55 offset:64
	s_wait_loadcnt 0x1
	ds_store_b128 v37, v[18:21]
	s_wait_loadcnt 0x0
	ds_store_b128 v38, v[62:65]
	s_wait_dscnt 0x0
	s_barrier_signal -1
	s_barrier_wait -1
	global_inv scope:SCOPE_SE
	ds_load_2addr_b64 v[18:21], v39 offset1:32
	ds_load_2addr_b64 v[54:57], v39 offset0:64 offset1:96
	ds_load_b128 v[58:61], v35
	ds_load_2addr_b64 v[62:65], v39 offset0:128 offset1:160
	ds_load_2addr_b64 v[66:69], v39 offset0:192 offset1:224
	ds_load_2addr_b64 v[70:73], v43 offset1:32
	ds_load_2addr_b64 v[74:77], v43 offset0:64 offset1:96
	ds_load_2addr_b64 v[78:81], v43 offset0:128 offset1:160
	ds_load_2addr_b64 v[82:85], v43 offset0:192 offset1:224
	ds_load_2addr_b64 v[86:89], v44 offset1:32
	ds_load_2addr_b64 v[90:93], v44 offset0:64 offset1:96
	;; [unrolled: 4-line block ×3, first 2 shown]
	ds_load_2addr_b64 v[110:113], v45 offset0:128 offset1:160
	v_and_b32_e32 v22, 0xffff, v22
	s_wait_alu 0xfffe
	s_ashr_i32 s3, s2, 31
	s_wait_alu 0xfffe
	s_mul_u64 s[2:3], s[2:3], s[14:15]
	v_mul_u32_u24_e32 v22, 0x10001, v22
	s_wait_dscnt 0xd
	v_and_b32_e32 v114, 0xffff, v58
	v_lshrrev_b32_e32 v58, 16, v58
	v_lshrrev_b32_e32 v115, 16, v59
	v_and_b32_e32 v59, 0xffff, v59
	v_pk_mul_f16 v50, v50, v22
	v_mul_u32_u24_e32 v114, 0x10001, v114
	v_pk_mul_f16 v48, v48, v22
	v_pk_mul_f16 v49, v49, v22
	;; [unrolled: 1-line block ×6, first 2 shown]
	v_pk_fma_f16 v116, v20, v114, v50
	v_pk_mul_f16 v50, v19, v114
	v_pk_fma_f16 v54, v54, v114, v48
	v_pk_fma_f16 v55, v55, v114, v49
	;; [unrolled: 1-line block ×4, first 2 shown]
	ds_load_2addr_b64 v[46:49], v45 offset0:192 offset1:224
	s_wait_loadcnt_dscnt 0x0
	s_barrier_signal -1
	s_barrier_wait -1
	global_inv scope:SCOPE_SE
	v_pk_fma_f16 v117, v21, v114, v52
	v_pk_fma_f16 v119, v51, v22, v18
	global_load_b128 v[18:21], v[13:14], off
	v_pk_fma_f16 v22, v53, v22, v50
	global_load_b128 v[50:53], v[13:14], off offset:512
	v_mul_u32_u24_e32 v13, 0x10001, v58
	v_mul_u32_u24_e32 v14, 0x10001, v59
	v_lshrrev_b32_e32 v114, 16, v60
	v_and_b32_e32 v60, 0xffff, v60
	v_mul_u32_u24_e32 v58, 0x10001, v115
	v_pk_fma_f16 v64, v64, v13, v116
	v_pk_fma_f16 v65, v65, v13, v117
	;; [unrolled: 1-line block ×15, first 2 shown]
	v_mul_u32_u24_e32 v59, 0x10001, v60
	v_pk_fma_f16 v13, v71, v14, v13
	v_pk_fma_f16 v14, v80, v58, v22
	;; [unrolled: 1-line block ×8, first 2 shown]
	v_lshrrev_b32_e32 v118, 16, v61
	v_and_b32_e32 v61, 0xffff, v61
	v_mul_u32_u24_e32 v60, 0x10001, v114
	v_pk_fma_f16 v13, v79, v58, v13
	v_pk_fma_f16 v14, v88, v59, v14
	v_pk_fma_f16 v22, v89, v59, v22
	v_pk_fma_f16 v54, v90, v59, v54
	v_pk_fma_f16 v55, v91, v59, v55
	v_pk_fma_f16 v56, v92, v59, v56
	v_pk_fma_f16 v57, v93, v59, v57
	v_pk_fma_f16 v58, v86, v59, v62
	v_mul_u32_u24_e32 v61, 0x10001, v61
	v_pk_fma_f16 v13, v87, v59, v13
	v_pk_fma_f16 v14, v96, v60, v14
	v_pk_fma_f16 v22, v97, v60, v22
	v_pk_fma_f16 v54, v98, v60, v54
	v_pk_fma_f16 v55, v99, v60, v55
	v_pk_fma_f16 v56, v100, v60, v56
	v_pk_fma_f16 v57, v101, v60, v57
	v_pk_fma_f16 v58, v94, v60, v58
	;; [unrolled: 9-line block ×3, first 2 shown]
	v_pk_fma_f16 v13, v103, v61, v13
	v_pk_fma_f16 v14, v112, v114, v14
	;; [unrolled: 1-line block ×8, first 2 shown]
	s_wait_loadcnt 0x1
	ds_store_b128 v37, v[18:21]
	s_wait_loadcnt 0x0
	ds_store_b128 v38, v[50:53]
	s_wait_dscnt 0x0
	s_barrier_signal -1
	s_barrier_wait -1
	global_inv scope:SCOPE_SE
	ds_load_2addr_b64 v[18:21], v39 offset1:32
	ds_load_b128 v[46:49], v35 offset:16
	ds_load_2addr_b64 v[50:53], v39 offset0:64 offset1:96
	ds_load_2addr_b64 v[54:57], v39 offset0:128 offset1:160
	ds_load_2addr_b64 v[58:61], v39 offset0:192 offset1:224
	ds_load_2addr_b64 v[62:65], v43 offset1:32
	ds_load_2addr_b64 v[66:69], v43 offset0:64 offset1:96
	ds_load_2addr_b64 v[70:73], v43 offset0:128 offset1:160
	ds_load_2addr_b64 v[74:77], v43 offset0:192 offset1:224
	ds_load_2addr_b64 v[78:81], v44 offset1:32
	ds_load_2addr_b64 v[82:85], v44 offset0:64 offset1:96
	ds_load_2addr_b64 v[86:89], v44 offset0:128 offset1:160
	ds_load_2addr_b64 v[90:93], v44 offset0:192 offset1:224
	ds_load_2addr_b64 v[94:97], v45 offset1:32
	ds_load_2addr_b64 v[98:101], v45 offset0:64 offset1:96
	ds_load_2addr_b64 v[102:105], v45 offset0:128 offset1:160
	ds_load_2addr_b64 v[106:109], v45 offset0:192 offset1:224
	v_pk_fma_f16 v13, v111, v114, v13
	s_wait_loadcnt_dscnt 0x0
	s_barrier_signal -1
	s_barrier_wait -1
	v_and_b32_e32 v111, 0xffff, v46
	global_inv scope:SCOPE_SE
	v_lshrrev_b32_e32 v46, 16, v46
	v_lshrrev_b32_e32 v118, 16, v47
	v_and_b32_e32 v47, 0xffff, v47
	v_mul_u32_u24_e32 v111, 0x10001, v111
	s_wait_alu 0xfffe
	s_lshl_b64 s[2:3], s[2:3], 2
	v_mul_u32_u24_e32 v46, 0x10001, v46
	v_mul_u32_u24_e32 v47, 0x10001, v47
	v_pk_fma_f16 v110, v18, v111, v110
	v_pk_fma_f16 v114, v19, v111, v13
	;; [unrolled: 1-line block ×4, first 2 shown]
	s_clause 0x1
	global_load_b128 v[18:21], v[11:12], off
	global_load_b128 v[11:14], v[11:12], off offset:512
	v_pk_fma_f16 v50, v50, v111, v112
	v_pk_fma_f16 v51, v51, v111, v113
	;; [unrolled: 1-line block ×12, first 2 shown]
	v_lshrrev_b32_e32 v111, 16, v48
	v_and_b32_e32 v48, 0xffff, v48
	v_mul_u32_u24_e32 v113, 0x10001, v118
	v_pk_fma_f16 v53, v62, v47, v54
	v_pk_fma_f16 v54, v63, v47, v55
	;; [unrolled: 1-line block ×8, first 2 shown]
	v_mul_u32_u24_e32 v48, 0x10001, v48
	v_pk_fma_f16 v47, v70, v113, v53
	v_pk_fma_f16 v53, v71, v113, v54
	;; [unrolled: 1-line block ×8, first 2 shown]
	v_lshrrev_b32_e32 v112, 16, v49
	v_and_b32_e32 v49, 0xffff, v49
	v_mul_u32_u24_e32 v111, 0x10001, v111
	v_pk_fma_f16 v47, v78, v48, v47
	v_pk_fma_f16 v53, v79, v48, v53
	v_pk_fma_f16 v54, v80, v48, v54
	v_pk_fma_f16 v22, v81, v48, v22
	v_pk_fma_f16 v50, v82, v48, v50
	v_pk_fma_f16 v51, v83, v48, v51
	v_pk_fma_f16 v52, v84, v48, v52
	v_pk_fma_f16 v46, v85, v48, v46
	v_mul_u32_u24_e32 v49, 0x10001, v49
	v_pk_fma_f16 v47, v86, v111, v47
	v_pk_fma_f16 v48, v87, v111, v53
	v_pk_fma_f16 v53, v88, v111, v54
	v_pk_fma_f16 v22, v89, v111, v22
	v_pk_fma_f16 v50, v90, v111, v50
	v_pk_fma_f16 v51, v91, v111, v51
	v_pk_fma_f16 v52, v92, v111, v52
	v_pk_fma_f16 v46, v93, v111, v46
	v_mul_u32_u24_e32 v112, 0x10001, v112
	v_pk_fma_f16 v47, v94, v49, v47
	v_pk_fma_f16 v48, v95, v49, v48
	v_pk_fma_f16 v53, v96, v49, v53
	v_pk_fma_f16 v22, v97, v49, v22
	v_pk_fma_f16 v50, v98, v49, v50
	v_pk_fma_f16 v51, v99, v49, v51
	v_pk_fma_f16 v52, v100, v49, v52
	v_pk_fma_f16 v46, v101, v49, v46
	v_pk_fma_f16 v110, v102, v112, v47
	v_pk_fma_f16 v111, v103, v112, v48
	v_pk_fma_f16 v113, v104, v112, v53
	v_pk_fma_f16 v22, v105, v112, v22
	v_pk_fma_f16 v114, v106, v112, v50
	v_pk_fma_f16 v115, v107, v112, v51
	v_pk_fma_f16 v116, v108, v112, v52
	v_pk_fma_f16 v112, v109, v112, v46
	s_wait_loadcnt 0x1
	ds_store_b128 v37, v[18:21]
	s_wait_loadcnt 0x0
	ds_store_b128 v38, v[11:14]
	s_wait_dscnt 0x0
	s_barrier_signal -1
	s_barrier_wait -1
	global_inv scope:SCOPE_SE
	ds_load_2addr_b64 v[11:14], v39 offset1:32
	ds_load_2addr_b64 v[18:21], v39 offset0:64 offset1:96
	ds_load_b128 v[46:49], v35 offset:32
	ds_load_2addr_b64 v[50:53], v39 offset0:128 offset1:160
	ds_load_2addr_b64 v[54:57], v39 offset0:192 offset1:224
	ds_load_2addr_b64 v[58:61], v43 offset1:32
	ds_load_2addr_b64 v[62:65], v43 offset0:64 offset1:96
	ds_load_2addr_b64 v[66:69], v43 offset0:128 offset1:160
	ds_load_2addr_b64 v[70:73], v43 offset0:192 offset1:224
	ds_load_2addr_b64 v[74:77], v44 offset1:32
	ds_load_2addr_b64 v[78:81], v44 offset0:64 offset1:96
	;; [unrolled: 4-line block ×3, first 2 shown]
	ds_load_2addr_b64 v[98:101], v45 offset0:128 offset1:160
	ds_load_2addr_b64 v[102:105], v45 offset0:192 offset1:224
	s_wait_loadcnt_dscnt 0x0
	s_barrier_signal -1
	s_barrier_wait -1
	global_inv scope:SCOPE_SE
	global_load_b128 v[106:109], v[9:10], off
	v_and_b32_e32 v117, 0xffff, v46
	v_lshrrev_b32_e32 v46, 16, v46
	v_lshrrev_b32_e32 v118, 16, v47
	v_and_b32_e32 v47, 0xffff, v47
	s_delay_alu instid0(VALU_DEP_4) | instskip(NEXT) | instid1(VALU_DEP_4)
	v_mul_u32_u24_e32 v117, 0x10001, v117
	v_mul_u32_u24_e32 v46, 0x10001, v46
	s_delay_alu instid0(VALU_DEP_3) | instskip(NEXT) | instid1(VALU_DEP_3)
	v_mul_u32_u24_e32 v47, 0x10001, v47
	v_pk_fma_f16 v110, v11, v117, v110
	v_pk_fma_f16 v111, v12, v117, v111
	global_load_b128 v[9:12], v[9:10], off offset:512
	v_pk_fma_f16 v113, v13, v117, v113
	v_pk_fma_f16 v22, v14, v117, v22
	;; [unrolled: 1-line block ×14, first 2 shown]
	v_lshrrev_b32_e32 v112, 16, v48
	v_and_b32_e32 v48, 0xffff, v48
	v_mul_u32_u24_e32 v115, 0x10001, v118
	v_pk_fma_f16 v46, v58, v47, v50
	v_pk_fma_f16 v50, v59, v47, v51
	;; [unrolled: 1-line block ×8, first 2 shown]
	v_mul_u32_u24_e32 v48, 0x10001, v48
	v_pk_fma_f16 v46, v66, v115, v46
	v_pk_fma_f16 v47, v67, v115, v50
	;; [unrolled: 1-line block ×8, first 2 shown]
	v_lshrrev_b32_e32 v114, 16, v49
	v_and_b32_e32 v49, 0xffff, v49
	v_mul_u32_u24_e32 v112, 0x10001, v112
	v_pk_fma_f16 v46, v74, v48, v46
	v_pk_fma_f16 v47, v75, v48, v47
	v_pk_fma_f16 v50, v76, v48, v50
	v_pk_fma_f16 v22, v77, v48, v22
	v_pk_fma_f16 v18, v78, v48, v18
	v_pk_fma_f16 v19, v79, v48, v19
	v_pk_fma_f16 v20, v80, v48, v20
	v_pk_fma_f16 v21, v81, v48, v21
	v_mul_u32_u24_e32 v49, 0x10001, v49
	v_pk_fma_f16 v46, v82, v112, v46
	v_pk_fma_f16 v47, v83, v112, v47
	v_pk_fma_f16 v48, v84, v112, v50
	v_pk_fma_f16 v22, v85, v112, v22
	v_pk_fma_f16 v18, v86, v112, v18
	v_pk_fma_f16 v19, v87, v112, v19
	v_pk_fma_f16 v20, v88, v112, v20
	v_pk_fma_f16 v21, v89, v112, v21
	;; [unrolled: 9-line block ×3, first 2 shown]
	v_pk_fma_f16 v110, v98, v114, v46
	v_pk_fma_f16 v111, v99, v114, v47
	;; [unrolled: 1-line block ×8, first 2 shown]
	s_wait_loadcnt 0x1
	ds_store_b128 v37, v[106:109]
	s_wait_loadcnt 0x0
	ds_store_b128 v38, v[9:12]
	s_wait_dscnt 0x0
	s_barrier_signal -1
	s_barrier_wait -1
	global_inv scope:SCOPE_SE
	ds_load_2addr_b64 v[9:12], v39 offset1:32
	ds_load_2addr_b64 v[18:21], v39 offset0:64 offset1:96
	ds_load_b128 v[46:49], v35 offset:48
	ds_load_2addr_b64 v[50:53], v39 offset0:128 offset1:160
	ds_load_2addr_b64 v[54:57], v39 offset0:192 offset1:224
	ds_load_2addr_b64 v[58:61], v43 offset1:32
	ds_load_2addr_b64 v[62:65], v43 offset0:64 offset1:96
	ds_load_2addr_b64 v[66:69], v43 offset0:128 offset1:160
	ds_load_2addr_b64 v[70:73], v43 offset0:192 offset1:224
	ds_load_2addr_b64 v[74:77], v44 offset1:32
	ds_load_2addr_b64 v[78:81], v44 offset0:64 offset1:96
	;; [unrolled: 4-line block ×3, first 2 shown]
	ds_load_2addr_b64 v[98:101], v45 offset0:128 offset1:160
	ds_load_2addr_b64 v[102:105], v45 offset0:192 offset1:224
	s_wait_alu 0xfffe
	v_add_co_u32 v13, vcc_lo, v40, s2
	s_wait_alu 0xfffd
	v_add_co_ci_u32_e64 v14, null, s3, v41, vcc_lo
	s_wait_loadcnt_dscnt 0x0
	v_and_b32_e32 v117, 0xffff, v46
	s_barrier_signal -1
	s_barrier_wait -1
	global_inv scope:SCOPE_SE
	global_load_b128 v[106:109], v[13:14], off
	v_mul_u32_u24_e32 v117, 0x10001, v117
	v_lshrrev_b32_e32 v46, 16, v46
	v_lshrrev_b32_e32 v118, 16, v47
	v_and_b32_e32 v47, 0xffff, v47
	s_or_b32 s2, s10, 40
	v_pk_fma_f16 v110, v9, v117, v110
	v_pk_fma_f16 v111, v10, v117, v111
	;; [unrolled: 1-line block ×4, first 2 shown]
	global_load_b128 v[9:12], v[13:14], off offset:512
	v_pk_fma_f16 v18, v18, v117, v113
	v_pk_fma_f16 v19, v19, v117, v115
	;; [unrolled: 1-line block ×4, first 2 shown]
	v_mul_u32_u24_e32 v46, 0x10001, v46
	v_mul_u32_u24_e32 v47, 0x10001, v47
	v_lshrrev_b32_e32 v113, 16, v48
	v_and_b32_e32 v48, 0xffff, v48
	v_mul_u32_u24_e32 v115, 0x10001, v118
	v_pk_fma_f16 v50, v50, v46, v110
	v_pk_fma_f16 v51, v51, v46, v111
	;; [unrolled: 1-line block ×16, first 2 shown]
	v_mul_u32_u24_e32 v48, 0x10001, v48
	v_pk_fma_f16 v46, v66, v115, v46
	v_pk_fma_f16 v47, v67, v115, v50
	;; [unrolled: 1-line block ×8, first 2 shown]
	v_lshrrev_b32_e32 v114, 16, v49
	v_and_b32_e32 v49, 0xffff, v49
	v_mul_u32_u24_e32 v113, 0x10001, v113
	v_pk_fma_f16 v46, v74, v48, v46
	v_pk_fma_f16 v47, v75, v48, v47
	v_pk_fma_f16 v50, v76, v48, v50
	v_pk_fma_f16 v22, v77, v48, v22
	v_pk_fma_f16 v18, v78, v48, v18
	v_pk_fma_f16 v19, v79, v48, v19
	v_pk_fma_f16 v20, v80, v48, v20
	v_pk_fma_f16 v21, v81, v48, v21
	v_mul_u32_u24_e32 v49, 0x10001, v49
	v_pk_fma_f16 v46, v82, v113, v46
	v_pk_fma_f16 v47, v83, v113, v47
	v_pk_fma_f16 v48, v84, v113, v50
	v_pk_fma_f16 v22, v85, v113, v22
	v_pk_fma_f16 v18, v86, v113, v18
	v_pk_fma_f16 v19, v87, v113, v19
	v_pk_fma_f16 v20, v88, v113, v20
	v_pk_fma_f16 v21, v89, v113, v21
	;; [unrolled: 9-line block ×3, first 2 shown]
	v_pk_fma_f16 v110, v98, v114, v46
	v_pk_fma_f16 v111, v99, v114, v47
	;; [unrolled: 1-line block ×8, first 2 shown]
	s_wait_loadcnt 0x1
	ds_store_b128 v37, v[106:109]
	s_wait_loadcnt 0x0
	ds_store_b128 v38, v[9:12]
	s_wait_dscnt 0x0
	s_barrier_signal -1
	s_barrier_wait -1
	global_inv scope:SCOPE_SE
	ds_load_2addr_b64 v[9:12], v39 offset1:32
	ds_load_2addr_b64 v[18:21], v39 offset0:64 offset1:96
	ds_load_b128 v[46:49], v35 offset:64
	ds_load_2addr_b64 v[50:53], v39 offset0:128 offset1:160
	ds_load_2addr_b64 v[54:57], v39 offset0:192 offset1:224
	ds_load_2addr_b64 v[58:61], v43 offset1:32
	ds_load_2addr_b64 v[62:65], v43 offset0:64 offset1:96
	ds_load_2addr_b64 v[66:69], v43 offset0:128 offset1:160
	ds_load_2addr_b64 v[70:73], v43 offset0:192 offset1:224
	ds_load_2addr_b64 v[74:77], v44 offset1:32
	ds_load_2addr_b64 v[78:81], v44 offset0:64 offset1:96
	ds_load_2addr_b64 v[82:85], v44 offset0:128 offset1:160
	ds_load_2addr_b64 v[86:89], v44 offset0:192 offset1:224
	ds_load_2addr_b64 v[90:93], v45 offset1:32
	ds_load_2addr_b64 v[94:97], v45 offset0:64 offset1:96
	ds_load_2addr_b64 v[98:101], v45 offset0:128 offset1:160
	ds_load_2addr_b64 v[102:105], v45 offset0:192 offset1:224
	s_wait_alu 0xfffe
	s_ashr_i32 s3, s2, 31
	s_wait_loadcnt_dscnt 0x0
	s_wait_alu 0xfffe
	s_mul_u64 s[2:3], s[2:3], s[14:15]
	s_barrier_signal -1
	s_wait_alu 0xfffe
	s_lshl_b64 s[2:3], s[2:3], 2
	v_and_b32_e32 v117, 0xffff, v46
	s_wait_alu 0xfffe
	v_add_co_u32 v13, vcc_lo, v40, s2
	s_wait_alu 0xfffd
	v_add_co_ci_u32_e64 v14, null, s3, v41, vcc_lo
	v_mul_u32_u24_e32 v117, 0x10001, v117
	s_barrier_wait -1
	global_inv scope:SCOPE_SE
	global_load_b128 v[106:109], v[13:14], off
	v_lshrrev_b32_e32 v46, 16, v46
	v_pk_fma_f16 v110, v9, v117, v110
	v_pk_fma_f16 v111, v10, v117, v111
	;; [unrolled: 1-line block ×4, first 2 shown]
	global_load_b128 v[9:12], v[13:14], off offset:512
	v_lshrrev_b32_e32 v118, 16, v47
	v_pk_fma_f16 v18, v18, v117, v113
	v_pk_fma_f16 v19, v19, v117, v115
	;; [unrolled: 1-line block ×4, first 2 shown]
	v_and_b32_e32 v47, 0xffff, v47
	v_mul_u32_u24_e32 v46, 0x10001, v46
	v_lshrrev_b32_e32 v113, 16, v48
	v_and_b32_e32 v48, 0xffff, v48
	v_mul_u32_u24_e32 v115, 0x10001, v118
	v_mul_u32_u24_e32 v47, 0x10001, v47
	v_pk_fma_f16 v50, v50, v46, v110
	v_pk_fma_f16 v51, v51, v46, v111
	;; [unrolled: 1-line block ×16, first 2 shown]
	v_mul_u32_u24_e32 v48, 0x10001, v48
	v_pk_fma_f16 v46, v66, v115, v46
	v_pk_fma_f16 v47, v67, v115, v50
	;; [unrolled: 1-line block ×8, first 2 shown]
	v_lshrrev_b32_e32 v114, 16, v49
	v_and_b32_e32 v49, 0xffff, v49
	v_mul_u32_u24_e32 v113, 0x10001, v113
	v_pk_fma_f16 v46, v74, v48, v46
	v_pk_fma_f16 v47, v75, v48, v47
	v_pk_fma_f16 v50, v76, v48, v50
	v_pk_fma_f16 v22, v77, v48, v22
	v_pk_fma_f16 v18, v78, v48, v18
	v_pk_fma_f16 v19, v79, v48, v19
	v_pk_fma_f16 v20, v80, v48, v20
	v_pk_fma_f16 v21, v81, v48, v21
	v_mul_u32_u24_e32 v49, 0x10001, v49
	v_pk_fma_f16 v46, v82, v113, v46
	v_pk_fma_f16 v47, v83, v113, v47
	v_pk_fma_f16 v48, v84, v113, v50
	v_pk_fma_f16 v22, v85, v113, v22
	v_pk_fma_f16 v18, v86, v113, v18
	v_pk_fma_f16 v19, v87, v113, v19
	v_pk_fma_f16 v20, v88, v113, v20
	v_pk_fma_f16 v21, v89, v113, v21
	v_mul_u32_u24_e32 v114, 0x10001, v114
	v_pk_fma_f16 v46, v90, v49, v46
	v_pk_fma_f16 v47, v91, v49, v47
	v_pk_fma_f16 v48, v92, v49, v48
	v_pk_fma_f16 v22, v93, v49, v22
	v_pk_fma_f16 v18, v94, v49, v18
	v_pk_fma_f16 v19, v95, v49, v19
	v_pk_fma_f16 v20, v96, v49, v20
	v_pk_fma_f16 v21, v97, v49, v21
	s_or_b32 s2, s10, 48
	v_pk_fma_f16 v110, v98, v114, v46
	v_pk_fma_f16 v111, v99, v114, v47
	;; [unrolled: 1-line block ×8, first 2 shown]
	s_wait_loadcnt 0x1
	ds_store_b128 v37, v[106:109]
	s_wait_loadcnt 0x0
	ds_store_b128 v38, v[9:12]
	s_wait_dscnt 0x0
	s_barrier_signal -1
	s_barrier_wait -1
	global_inv scope:SCOPE_SE
	ds_load_2addr_b64 v[9:12], v39 offset1:32
	ds_load_2addr_b64 v[18:21], v39 offset0:64 offset1:96
	ds_load_b128 v[46:49], v35 offset:80
	ds_load_2addr_b64 v[50:53], v39 offset0:128 offset1:160
	ds_load_2addr_b64 v[54:57], v39 offset0:192 offset1:224
	ds_load_2addr_b64 v[58:61], v43 offset1:32
	ds_load_2addr_b64 v[62:65], v43 offset0:64 offset1:96
	ds_load_2addr_b64 v[66:69], v43 offset0:128 offset1:160
	ds_load_2addr_b64 v[70:73], v43 offset0:192 offset1:224
	ds_load_2addr_b64 v[74:77], v44 offset1:32
	ds_load_2addr_b64 v[78:81], v44 offset0:64 offset1:96
	;; [unrolled: 4-line block ×3, first 2 shown]
	ds_load_2addr_b64 v[98:101], v45 offset0:128 offset1:160
	ds_load_2addr_b64 v[102:105], v45 offset0:192 offset1:224
	s_wait_alu 0xfffe
	s_ashr_i32 s3, s2, 31
	s_wait_loadcnt_dscnt 0x0
	s_wait_alu 0xfffe
	s_mul_u64 s[2:3], s[2:3], s[14:15]
	s_barrier_signal -1
	s_wait_alu 0xfffe
	s_lshl_b64 s[2:3], s[2:3], 2
	v_and_b32_e32 v117, 0xffff, v46
	s_wait_alu 0xfffe
	v_add_co_u32 v13, vcc_lo, v40, s2
	s_wait_alu 0xfffd
	v_add_co_ci_u32_e64 v14, null, s3, v41, vcc_lo
	v_mul_u32_u24_e32 v117, 0x10001, v117
	s_barrier_wait -1
	global_inv scope:SCOPE_SE
	global_load_b128 v[106:109], v[13:14], off
	v_add_f32_e32 v118, v16, v17
	v_pk_fma_f16 v110, v9, v117, v110
	v_pk_fma_f16 v111, v10, v117, v111
	;; [unrolled: 1-line block ×4, first 2 shown]
	global_load_b128 v[9:12], v[13:14], off offset:512
	v_lshrrev_b32_e32 v16, 16, v46
	v_pk_fma_f16 v17, v18, v117, v113
	v_pk_fma_f16 v18, v19, v117, v115
	;; [unrolled: 1-line block ×4, first 2 shown]
	v_lshrrev_b32_e32 v21, 16, v47
	v_and_b32_e32 v47, 0xffff, v47
	v_mul_u32_u24_e32 v16, 0x10001, v16
	v_lshrrev_b32_e32 v46, 16, v48
	v_and_b32_e32 v48, 0xffff, v48
	v_mul_u32_u24_e32 v21, 0x10001, v21
	v_mul_u32_u24_e32 v47, 0x10001, v47
	v_pk_fma_f16 v50, v50, v16, v110
	v_pk_fma_f16 v51, v51, v16, v111
	;; [unrolled: 1-line block ×16, first 2 shown]
	v_mul_u32_u24_e32 v48, 0x10001, v48
	v_pk_fma_f16 v20, v66, v21, v20
	v_pk_fma_f16 v47, v67, v21, v50
	;; [unrolled: 1-line block ×8, first 2 shown]
	v_lshrrev_b32_e32 v113, 16, v49
	v_and_b32_e32 v49, 0xffff, v49
	v_mul_u32_u24_e32 v46, 0x10001, v46
	v_pk_fma_f16 v20, v74, v48, v20
	v_pk_fma_f16 v21, v75, v48, v47
	v_pk_fma_f16 v47, v76, v48, v50
	v_pk_fma_f16 v22, v77, v48, v22
	v_pk_fma_f16 v17, v78, v48, v17
	v_pk_fma_f16 v18, v79, v48, v18
	v_pk_fma_f16 v19, v80, v48, v19
	v_pk_fma_f16 v16, v81, v48, v16
	v_mul_u32_u24_e32 v49, 0x10001, v49
	v_pk_fma_f16 v20, v82, v46, v20
	v_pk_fma_f16 v21, v83, v46, v21
	v_pk_fma_f16 v47, v84, v46, v47
	v_pk_fma_f16 v22, v85, v46, v22
	v_pk_fma_f16 v17, v86, v46, v17
	v_pk_fma_f16 v18, v87, v46, v18
	v_pk_fma_f16 v19, v88, v46, v19
	v_pk_fma_f16 v16, v89, v46, v16
	;; [unrolled: 9-line block ×3, first 2 shown]
	s_or_b32 s2, s10, 56
	v_pk_fma_f16 v20, v98, v113, v20
	v_pk_fma_f16 v21, v99, v113, v21
	;; [unrolled: 1-line block ×8, first 2 shown]
	s_wait_loadcnt 0x1
	ds_store_b128 v37, v[106:109]
	s_wait_loadcnt 0x0
	ds_store_b128 v38, v[9:12]
	s_wait_dscnt 0x0
	s_barrier_signal -1
	s_barrier_wait -1
	global_inv scope:SCOPE_SE
	ds_load_b128 v[9:12], v35 offset:96
	ds_load_2addr_b64 v[16:19], v39 offset1:32
	ds_load_2addr_b64 v[46:49], v39 offset0:64 offset1:96
	ds_load_2addr_b64 v[50:53], v39 offset0:128 offset1:160
	ds_load_2addr_b64 v[54:57], v39 offset0:192 offset1:224
	ds_load_2addr_b64 v[58:61], v43 offset1:32
	ds_load_2addr_b64 v[62:65], v43 offset0:64 offset1:96
	ds_load_2addr_b64 v[66:69], v43 offset0:128 offset1:160
	ds_load_2addr_b64 v[70:73], v43 offset0:192 offset1:224
	;; [unrolled: 4-line block ×3, first 2 shown]
	ds_load_2addr_b64 v[90:93], v45 offset1:32
	ds_load_2addr_b64 v[94:97], v45 offset0:64 offset1:96
	ds_load_2addr_b64 v[98:101], v45 offset0:128 offset1:160
	s_wait_alu 0xfffe
	s_ashr_i32 s3, s2, 31
	s_wait_alu 0xfffe
	s_mul_u64 s[2:3], s[2:3], s[14:15]
	s_wait_dscnt 0xf
	v_and_b32_e32 v102, 0xffff, v9
	s_wait_alu 0xfffe
	s_lshl_b64 s[2:3], s[2:3], 2
	v_lshrrev_b32_e32 v106, 16, v9
	s_wait_alu 0xfffe
	v_add_co_u32 v13, vcc_lo, v40, s2
	s_wait_alu 0xfffd
	v_add_co_ci_u32_e64 v14, null, s3, v41, vcc_lo
	v_mul_u32_u24_e32 v119, 0x10001, v102
	v_lshrrev_b32_e32 v107, 16, v10
	v_lshrrev_b32_e32 v108, 16, v11
	;; [unrolled: 1-line block ×3, first 2 shown]
	v_and_b32_e32 v115, 0xffff, v10
	v_and_b32_e32 v116, 0xffff, v11
	;; [unrolled: 1-line block ×3, first 2 shown]
	ds_load_2addr_b64 v[9:12], v45 offset0:192 offset1:224
	s_wait_loadcnt_dscnt 0x0
	s_barrier_signal -1
	s_barrier_wait -1
	global_inv scope:SCOPE_SE
	v_pk_fma_f16 v20, v16, v119, v20
	v_pk_fma_f16 v21, v17, v119, v21
	;; [unrolled: 1-line block ×4, first 2 shown]
	s_clause 0x1
	global_load_b128 v[16:19], v[13:14], off
	global_load_b128 v[102:105], v[13:14], off offset:512
	v_mov_b32_e32 v13, v31
	v_mov_b32_e32 v31, v118
	v_pk_fma_f16 v46, v46, v119, v111
	v_pk_fma_f16 v47, v47, v119, v112
	;; [unrolled: 1-line block ×4, first 2 shown]
	v_fmac_f32_e32 v31, v13, v15
	v_mul_u32_u24_e32 v13, 0x10001, v106
	v_mul_u32_u24_e32 v14, 0x10001, v115
	v_mul_u32_u24_e32 v15, 0x10001, v107
	v_mul_u32_u24_e32 v106, 0x10001, v116
	v_mul_u32_u24_e32 v107, 0x10001, v108
	v_pk_fma_f16 v20, v50, v13, v20
	v_pk_fma_f16 v21, v51, v13, v21
	;; [unrolled: 1-line block ×32, first 2 shown]
	v_mul_u32_u24_e32 v108, 0x10001, v117
	v_pk_fma_f16 v14, v82, v107, v14
	v_pk_fma_f16 v15, v83, v107, v15
	;; [unrolled: 1-line block ×8, first 2 shown]
	v_mul_u32_u24_e32 v109, 0x10001, v109
	v_pk_fma_f16 v14, v90, v108, v14
	v_pk_fma_f16 v15, v91, v108, v15
	;; [unrolled: 1-line block ×16, first 2 shown]
	s_wait_loadcnt 0x1
	ds_store_b128 v37, v[16:19]
	s_wait_loadcnt 0x0
	ds_store_b128 v38, v[102:105]
	s_wait_dscnt 0x0
	s_barrier_signal -1
	s_barrier_wait -1
	global_inv scope:SCOPE_SE
	ds_load_2addr_b64 v[9:12], v39 offset1:32
	ds_load_2addr_b64 v[13:16], v39 offset0:64 offset1:96
	ds_load_b128 v[17:20], v35 offset:112
	ds_load_2addr_b64 v[46:49], v39 offset0:128 offset1:160
	ds_load_2addr_b64 v[50:53], v39 offset0:192 offset1:224
	ds_load_2addr_b64 v[54:57], v43 offset1:32
	ds_load_2addr_b64 v[58:61], v43 offset0:64 offset1:96
	ds_load_2addr_b64 v[62:65], v43 offset0:128 offset1:160
	ds_load_2addr_b64 v[66:69], v43 offset0:192 offset1:224
	ds_load_2addr_b64 v[70:73], v44 offset1:32
	ds_load_2addr_b64 v[74:77], v44 offset0:64 offset1:96
	;; [unrolled: 4-line block ×3, first 2 shown]
	ds_load_2addr_b64 v[94:97], v45 offset0:128 offset1:160
	ds_load_2addr_b64 v[98:101], v45 offset0:192 offset1:224
	s_wait_loadcnt_dscnt 0x0
	s_barrier_signal -1
	s_barrier_wait -1
	global_inv scope:SCOPE_SE
	s_load_b32 s2, s[8:9], 0x4
	v_lshrrev_b32_e32 v102, 16, v17
	v_and_b32_e32 v17, 0xffff, v17
	v_lshrrev_b32_e32 v103, 16, v18
	v_and_b32_e32 v18, 0xffff, v18
	v_lshrrev_b32_e32 v104, 16, v19
	v_mul_u32_u24_e32 v102, 0x10001, v102
	v_mul_u32_u24_e32 v17, 0x10001, v17
	v_and_b32_e32 v19, 0xffff, v19
	v_mul_u32_u24_e32 v18, 0x10001, v18
	v_mul_u32_u24_e32 v103, 0x10001, v103
	v_lshrrev_b32_e32 v105, 16, v20
	v_pk_fma_f16 v9, v9, v17, v106
	v_pk_fma_f16 v10, v10, v17, v107
	;; [unrolled: 1-line block ×24, first 2 shown]
	v_mul_u32_u24_e32 v19, 0x10001, v19
	v_pk_fma_f16 v9, v62, v103, v9
	v_pk_fma_f16 v10, v63, v103, v10
	;; [unrolled: 1-line block ×8, first 2 shown]
	v_and_b32_e32 v20, 0xffff, v20
	v_mul_u32_u24_e32 v104, 0x10001, v104
	v_pk_fma_f16 v9, v70, v19, v9
	v_pk_fma_f16 v10, v71, v19, v10
	v_pk_fma_f16 v11, v72, v19, v11
	v_pk_fma_f16 v12, v73, v19, v12
	v_pk_fma_f16 v13, v74, v19, v13
	v_pk_fma_f16 v14, v75, v19, v14
	v_pk_fma_f16 v15, v76, v19, v15
	v_pk_fma_f16 v16, v77, v19, v16
	v_mul_u32_u24_e32 v20, 0x10001, v20
	v_pk_fma_f16 v9, v78, v104, v9
	v_pk_fma_f16 v10, v79, v104, v10
	v_pk_fma_f16 v11, v80, v104, v11
	v_pk_fma_f16 v12, v81, v104, v12
	v_pk_fma_f16 v13, v82, v104, v13
	v_pk_fma_f16 v14, v83, v104, v14
	v_pk_fma_f16 v15, v84, v104, v15
	v_pk_fma_f16 v16, v85, v104, v16
	;; [unrolled: 9-line block ×3, first 2 shown]
	s_wait_kmcnt 0x0
	s_lshl_b32 s2, s2, 6
	v_pk_fma_f16 v51, v94, v105, v9
	v_pk_fma_f16 v53, v95, v105, v10
	;; [unrolled: 1-line block ×8, first 2 shown]
	s_wait_alu 0xfffe
	s_add_co_i32 s10, s2, s10
	s_wait_alu 0xfffe
	s_cmp_ge_i32 s10, s30
	s_cbranch_scc0 .LBB17_11
; %bb.12:
	v_dual_mov_b32 v3, 32 :: v_dual_mov_b32 v4, v25
.LBB17_13:
	s_delay_alu instid0(VALU_DEP_1)
	v_cmp_lt_i32_e32 vcc_lo, v30, v3
	s_cmp_lg_u64 s[12:13], 0
	s_cselect_b32 s2, -1, 0
	s_cmp_eq_u32 s4, 0
	s_wait_alu 0xfffd
	v_cndmask_b32_e32 v0, v4, v30, vcc_lo
	v_cmp_lt_i32_e32 vcc_lo, v29, v3
	s_cselect_b32 s3, -1, 0
	s_wait_alu 0xfffe
	s_and_b32 s2, s3, s2
	s_wait_alu 0xfffd
	v_cndmask_b32_e32 v5, v4, v29, vcc_lo
	v_cmp_lt_i32_e32 vcc_lo, v28, v3
	s_delay_alu instid0(VALU_DEP_2)
	v_lshlrev_b32_e32 v5, 2, v5
	v_lshlrev_b32_e32 v0, 2, v0
	s_wait_alu 0xfffd
	v_cndmask_b32_e32 v6, v4, v28, vcc_lo
	v_cmp_lt_i32_e32 vcc_lo, v27, v3
	ds_bpermute_b32 v0, v0, v31
	v_lshlrev_b32_e32 v6, 2, v6
	s_wait_dscnt 0x0
	v_add_f32_e32 v0, v31, v0
	ds_bpermute_b32 v5, v5, v0
	s_wait_dscnt 0x0
	v_add_f32_e32 v0, v0, v5
	ds_bpermute_b32 v5, v6, v0
	s_wait_alu 0xfffd
	v_cndmask_b32_e32 v6, v4, v27, vcc_lo
	v_cmp_lt_i32_e32 vcc_lo, v26, v3
	s_delay_alu instid0(VALU_DEP_2)
	v_lshlrev_b32_e32 v6, 2, v6
	s_wait_alu 0xfffd
	v_cndmask_b32_e32 v3, v4, v26, vcc_lo
	s_wait_alu 0xfffe
	s_and_b32 vcc_lo, exec_lo, s2
	s_wait_dscnt 0x0
	s_delay_alu instid0(VALU_DEP_1)
	v_dual_add_f32 v0, v0, v5 :: v_dual_lshlrev_b32 v3, 2, v3
	ds_bpermute_b32 v5, v6, v0
	s_wait_dscnt 0x0
	v_add_f32_e32 v0, v0, v5
	ds_bpermute_b32 v3, v3, v0
	s_wait_dscnt 0x0
	v_add_f32_e32 v9, v0, v3
	s_wait_alu 0xfffe
	s_cbranch_vccz .LBB17_15
; %bb.14:
	v_add_nc_u32_e32 v3, s33, v23
	s_delay_alu instid0(VALU_DEP_1) | instskip(NEXT) | instid1(VALU_DEP_1)
	v_ashrrev_i32_e32 v4, 31, v3
	v_lshlrev_b64_e32 v[3:4], 2, v[3:4]
	s_delay_alu instid0(VALU_DEP_1) | instskip(SKIP_1) | instid1(VALU_DEP_2)
	v_add_co_u32 v3, vcc_lo, s12, v3
	s_wait_alu 0xfffd
	v_add_co_ci_u32_e64 v4, null, s13, v4, vcc_lo
	global_load_b32 v0, v[3:4], off
	v_max_num_f32_e32 v3, v8, v8
	s_wait_loadcnt 0x0
	v_max_num_f32_e32 v4, v0, v0
	s_delay_alu instid0(VALU_DEP_1) | instskip(NEXT) | instid1(VALU_DEP_1)
	v_max_num_f32_e32 v3, v3, v4
	v_sub_f32_e32 v4, v8, v3
	s_delay_alu instid0(VALU_DEP_1) | instskip(NEXT) | instid1(VALU_DEP_1)
	v_dual_sub_f32 v0, v0, v3 :: v_dual_mul_f32 v5, 0x3fb8aa3b, v4
	v_fma_f32 v6, 0x3fb8aa3b, v4, -v5
	v_rndne_f32_e32 v7, v5
	s_delay_alu instid0(VALU_DEP_3) | instskip(NEXT) | instid1(VALU_DEP_2)
	v_mul_f32_e32 v8, 0x3fb8aa3b, v0
	v_dual_fmac_f32 v6, 0x32a5705f, v4 :: v_dual_sub_f32 v5, v5, v7
	v_cvt_i32_f32_e32 v7, v7
	s_delay_alu instid0(VALU_DEP_3) | instskip(SKIP_1) | instid1(VALU_DEP_4)
	v_fma_f32 v10, 0x3fb8aa3b, v0, -v8
	v_rndne_f32_e32 v11, v8
	v_add_f32_e32 v5, v5, v6
	v_cmp_ngt_f32_e32 vcc_lo, 0xc2ce8ed0, v4
	s_delay_alu instid0(VALU_DEP_3) | instskip(SKIP_1) | instid1(VALU_DEP_4)
	v_sub_f32_e32 v6, v8, v11
	v_mov_b32_e32 v8, v3
	v_exp_f32_e32 v5, v5
	s_delay_alu instid0(TRANS32_DEP_1) | instskip(SKIP_2) | instid1(VALU_DEP_2)
	v_ldexp_f32 v5, v5, v7
	v_cvt_i32_f32_e32 v7, v11
	s_wait_alu 0xfffd
	v_cndmask_b32_e32 v5, 0, v5, vcc_lo
	v_cmp_nlt_f32_e32 vcc_lo, 0x42b17218, v4
	s_wait_alu 0xfffd
	s_delay_alu instid0(VALU_DEP_2) | instskip(SKIP_2) | instid1(VALU_DEP_1)
	v_cndmask_b32_e32 v4, 0x7f800000, v5, vcc_lo
	v_cmp_ngt_f32_e32 vcc_lo, 0xc2ce8ed0, v0
	v_fmac_f32_e32 v10, 0x32a5705f, v0
	v_add_f32_e32 v6, v6, v10
	s_delay_alu instid0(VALU_DEP_1) | instskip(NEXT) | instid1(TRANS32_DEP_1)
	v_exp_f32_e32 v6, v6
	v_ldexp_f32 v6, v6, v7
	s_wait_alu 0xfffd
	s_delay_alu instid0(VALU_DEP_1) | instskip(SKIP_2) | instid1(VALU_DEP_2)
	v_cndmask_b32_e32 v5, 0, v6, vcc_lo
	v_cmp_nlt_f32_e32 vcc_lo, 0x42b17218, v0
	s_wait_alu 0xfffd
	v_cndmask_b32_e32 v0, 0x7f800000, v5, vcc_lo
	s_delay_alu instid0(VALU_DEP_1) | instskip(NEXT) | instid1(VALU_DEP_1)
	v_fmac_f32_e32 v0, v9, v4
	v_mov_b32_e32 v9, v0
	v_cvt_f16_f32_e32 v6, v4
	s_delay_alu instid0(VALU_DEP_1) | instskip(NEXT) | instid1(VALU_DEP_1)
	v_and_b32_e32 v5, 0xffff, v6
	v_mul_u32_u24_e32 v4, 0x10001, v5
	s_delay_alu instid0(VALU_DEP_1)
	v_pk_mul_f16 v51, v51, v4
	v_pk_mul_f16 v53, v53, v4
	;; [unrolled: 1-line block ×8, first 2 shown]
.LBB17_15:
	s_mov_b32 s2, exec_lo
	v_cmpx_gt_i32_e64 s22, v1
	s_cbranch_execz .LBB17_18
; %bb.16:
	v_div_scale_f32 v3, null, v9, v9, 1.0
	v_mad_co_u64_u32 v[0:1], null, s28, s22, v[1:2]
	s_load_b32 s1, s[0:1], 0xd4
	v_rcp_f32_e32 v4, v3
	v_div_scale_f32 v7, vcc_lo, 1.0, v9, 1.0
	v_cmp_eq_u32_e64 s0, 0, v2
	v_lshrrev_b32_e32 v2, 16, v53
	v_mul_lo_u32 v0, v0, s23
	v_lshrrev_b32_e32 v11, 16, v51
	v_lshrrev_b32_e32 v14, 16, v52
	;; [unrolled: 1-line block ×3, first 2 shown]
	v_cvt_f32_f16_e32 v20, v2
	s_delay_alu instid0(TRANS32_DEP_1)
	v_fma_f32 v1, -v3, v4, 1.0
	v_cvt_f32_f16_e32 v10, v53
	v_cvt_f32_f16_e32 v12, v51
	v_add3_u32 v0, s33, v23, v0
	v_cvt_f32_f16_e32 v15, v52
	v_fmac_f32_e32 v4, v1, v4
	v_mov_b32_e32 v6, 0
	v_lshrrev_b32_e32 v18, 16, v49
	v_cvt_f32_f16_e32 v11, v11
	s_wait_kmcnt 0x0
	v_mad_co_u64_u32 v[0:1], null, s1, v0, s[4:5]
	v_mul_f32_e32 v13, v7, v4
	s_cmp_lg_u32 s1, 1
	v_cvt_f32_f16_e32 v14, v14
	s_cselect_b32 s1, -1, 0
	v_cvt_f32_f16_e32 v16, v16
	v_fma_f32 v1, -v3, v13, v7
	v_lshl_add_u32 v5, v0, 9, v24
	v_lshrrev_b32_e32 v19, 16, v48
	v_cvt_f32_f16_e32 v17, v50
	s_delay_alu instid0(VALU_DEP_4) | instskip(NEXT) | instid1(VALU_DEP_4)
	v_dual_mov_b32 v2, v6 :: v_dual_fmac_f32 v13, v1, v4
	v_add_nc_u32_e32 v1, 0x80, v5
	v_cvt_f32_f16_e32 v21, v48
	v_cvt_f32_f16_e32 v29, v47
	s_wait_alu 0xfffe
	s_and_b32 s0, s0, s1
	v_fma_f32 v3, -v3, v13, v7
	v_lshlrev_b64_e32 v[1:2], 2, v[1:2]
	s_wait_alu 0xfffd
	s_delay_alu instid0(VALU_DEP_2) | instskip(SKIP_1) | instid1(VALU_DEP_2)
	v_div_fmas_f32 v7, v3, v4, v13
	v_lshlrev_b64_e32 v[3:4], 2, v[5:6]
	v_div_fixup_f32 v7, v7, v9, 1.0
	s_delay_alu instid0(VALU_DEP_2) | instskip(SKIP_1) | instid1(VALU_DEP_3)
	v_add_co_u32 v22, vcc_lo, s16, v3
	s_wait_alu 0xfffd
	v_add_co_ci_u32_e64 v23, null, s17, v4, vcc_lo
	s_delay_alu instid0(VALU_DEP_3) | instskip(SKIP_3) | instid1(VALU_DEP_3)
	v_cndmask_b32_e64 v7, v7, 1.0, s1
	v_add_co_u32 v24, vcc_lo, s16, v1
	s_wait_alu 0xfffd
	v_add_co_ci_u32_e64 v25, null, s17, v2, vcc_lo
	v_mul_f32_e32 v4, v7, v20
	v_mul_f32_e32 v3, v7, v10
	v_mul_f32_e32 v2, v7, v11
	v_mul_f32_e32 v1, v7, v12
	v_mul_f32_e32 v13, v7, v14
	v_mul_f32_e32 v12, v7, v15
	v_mul_f32_e32 v11, v7, v16
	v_cvt_f32_f16_e32 v16, v18
	v_cvt_f32_f16_e32 v18, v49
	v_dual_mov_b32 v15, v6 :: v_dual_add_nc_u32 v14, 0x100, v5
	v_cvt_f32_f16_e32 v20, v19
	v_mul_f32_e32 v10, v7, v17
	v_mul_f32_e32 v17, v7, v16
	v_mul_f32_e32 v16, v7, v18
	v_lshlrev_b64_e32 v[18:19], 2, v[14:15]
	v_add_nc_u32_e32 v5, 0x180, v5
	v_mul_f32_e32 v15, v7, v20
	v_mul_f32_e32 v14, v7, v21
	v_lshrrev_b32_e32 v20, 16, v46
	v_lshrrev_b32_e32 v21, 16, v47
	v_lshlrev_b64_e32 v[5:6], 2, v[5:6]
	v_add_co_u32 v26, vcc_lo, s16, v18
	s_wait_alu 0xfffd
	v_add_co_ci_u32_e64 v27, null, s17, v19, vcc_lo
	v_cvt_f32_f16_e32 v18, v20
	v_cvt_f32_f16_e32 v19, v46
	;; [unrolled: 1-line block ×3, first 2 shown]
	v_add_co_u32 v5, vcc_lo, s16, v5
	s_delay_alu instid0(VALU_DEP_4) | instskip(NEXT) | instid1(VALU_DEP_4)
	v_mul_f32_e32 v21, v7, v18
	v_mul_f32_e32 v20, v7, v19
	s_delay_alu instid0(VALU_DEP_4)
	v_mul_f32_e32 v19, v7, v28
	v_mul_f32_e32 v18, v7, v29
	s_wait_alu 0xfffd
	v_add_co_ci_u32_e64 v6, null, s17, v6, vcc_lo
	s_clause 0x3
	global_store_b128 v[22:23], v[1:4], off
	global_store_b128 v[24:25], v[10:13], off
	global_store_b128 v[26:27], v[14:17], off
	global_store_b128 v[5:6], v[18:21], off
	s_wait_alu 0xfffe
	s_and_b32 exec_lo, exec_lo, s0
	s_cbranch_execz .LBB17_18
; %bb.17:
	v_ashrrev_i32_e32 v1, 31, v0
	s_delay_alu instid0(VALU_DEP_1) | instskip(NEXT) | instid1(VALU_DEP_1)
	v_lshlrev_b64_e32 v[0:1], 3, v[0:1]
	v_add_co_u32 v0, vcc_lo, s18, v0
	s_wait_alu 0xfffd
	s_delay_alu instid0(VALU_DEP_2)
	v_add_co_ci_u32_e64 v1, null, s19, v1, vcc_lo
	global_store_b64 v[0:1], v[8:9], off
.LBB17_18:
	s_nop 0
	s_sendmsg sendmsg(MSG_DEALLOC_VGPRS)
	s_endpgm
	.section	.rodata,"a",@progbits
	.p2align	6, 0x0
	.amdhsa_kernel _ZL15flash_attn_tileILi576ELi512ELi2ELi4ELb0EEvPKcS1_S1_S1_S1_PKiPfP15HIP_vector_typeIfLj2EEffffjfiS5_IjLj3EEiiiiiiiiiiiliiliiiiil
		.amdhsa_group_segment_fixed_size 19456
		.amdhsa_private_segment_fixed_size 0
		.amdhsa_kernarg_size 464
		.amdhsa_user_sgpr_count 2
		.amdhsa_user_sgpr_dispatch_ptr 0
		.amdhsa_user_sgpr_queue_ptr 0
		.amdhsa_user_sgpr_kernarg_segment_ptr 1
		.amdhsa_user_sgpr_dispatch_id 0
		.amdhsa_user_sgpr_private_segment_size 0
		.amdhsa_wavefront_size32 1
		.amdhsa_uses_dynamic_stack 0
		.amdhsa_enable_private_segment 0
		.amdhsa_system_sgpr_workgroup_id_x 1
		.amdhsa_system_sgpr_workgroup_id_y 1
		.amdhsa_system_sgpr_workgroup_id_z 1
		.amdhsa_system_sgpr_workgroup_info 0
		.amdhsa_system_vgpr_workitem_id 1
		.amdhsa_next_free_vgpr 120
		.amdhsa_next_free_sgpr 42
		.amdhsa_reserve_vcc 1
		.amdhsa_float_round_mode_32 0
		.amdhsa_float_round_mode_16_64 0
		.amdhsa_float_denorm_mode_32 3
		.amdhsa_float_denorm_mode_16_64 3
		.amdhsa_fp16_overflow 0
		.amdhsa_workgroup_processor_mode 1
		.amdhsa_memory_ordered 1
		.amdhsa_forward_progress 1
		.amdhsa_inst_pref_size 116
		.amdhsa_round_robin_scheduling 0
		.amdhsa_exception_fp_ieee_invalid_op 0
		.amdhsa_exception_fp_denorm_src 0
		.amdhsa_exception_fp_ieee_div_zero 0
		.amdhsa_exception_fp_ieee_overflow 0
		.amdhsa_exception_fp_ieee_underflow 0
		.amdhsa_exception_fp_ieee_inexact 0
		.amdhsa_exception_int_div_zero 0
	.end_amdhsa_kernel
	.section	.text._ZL15flash_attn_tileILi576ELi512ELi2ELi4ELb0EEvPKcS1_S1_S1_S1_PKiPfP15HIP_vector_typeIfLj2EEffffjfiS5_IjLj3EEiiiiiiiiiiiliiliiiiil,"axG",@progbits,_ZL15flash_attn_tileILi576ELi512ELi2ELi4ELb0EEvPKcS1_S1_S1_S1_PKiPfP15HIP_vector_typeIfLj2EEffffjfiS5_IjLj3EEiiiiiiiiiiiliiliiiiil,comdat
.Lfunc_end17:
	.size	_ZL15flash_attn_tileILi576ELi512ELi2ELi4ELb0EEvPKcS1_S1_S1_S1_PKiPfP15HIP_vector_typeIfLj2EEffffjfiS5_IjLj3EEiiiiiiiiiiiliiliiiiil, .Lfunc_end17-_ZL15flash_attn_tileILi576ELi512ELi2ELi4ELb0EEvPKcS1_S1_S1_S1_PKiPfP15HIP_vector_typeIfLj2EEffffjfiS5_IjLj3EEiiiiiiiiiiiliiliiiiil
                                        ; -- End function
	.set _ZL15flash_attn_tileILi576ELi512ELi2ELi4ELb0EEvPKcS1_S1_S1_S1_PKiPfP15HIP_vector_typeIfLj2EEffffjfiS5_IjLj3EEiiiiiiiiiiiliiliiiiil.num_vgpr, 120
	.set _ZL15flash_attn_tileILi576ELi512ELi2ELi4ELb0EEvPKcS1_S1_S1_S1_PKiPfP15HIP_vector_typeIfLj2EEffffjfiS5_IjLj3EEiiiiiiiiiiiliiliiiiil.num_agpr, 0
	.set _ZL15flash_attn_tileILi576ELi512ELi2ELi4ELb0EEvPKcS1_S1_S1_S1_PKiPfP15HIP_vector_typeIfLj2EEffffjfiS5_IjLj3EEiiiiiiiiiiiliiliiiiil.numbered_sgpr, 42
	.set _ZL15flash_attn_tileILi576ELi512ELi2ELi4ELb0EEvPKcS1_S1_S1_S1_PKiPfP15HIP_vector_typeIfLj2EEffffjfiS5_IjLj3EEiiiiiiiiiiiliiliiiiil.num_named_barrier, 0
	.set _ZL15flash_attn_tileILi576ELi512ELi2ELi4ELb0EEvPKcS1_S1_S1_S1_PKiPfP15HIP_vector_typeIfLj2EEffffjfiS5_IjLj3EEiiiiiiiiiiiliiliiiiil.private_seg_size, 0
	.set _ZL15flash_attn_tileILi576ELi512ELi2ELi4ELb0EEvPKcS1_S1_S1_S1_PKiPfP15HIP_vector_typeIfLj2EEffffjfiS5_IjLj3EEiiiiiiiiiiiliiliiiiil.uses_vcc, 1
	.set _ZL15flash_attn_tileILi576ELi512ELi2ELi4ELb0EEvPKcS1_S1_S1_S1_PKiPfP15HIP_vector_typeIfLj2EEffffjfiS5_IjLj3EEiiiiiiiiiiiliiliiiiil.uses_flat_scratch, 0
	.set _ZL15flash_attn_tileILi576ELi512ELi2ELi4ELb0EEvPKcS1_S1_S1_S1_PKiPfP15HIP_vector_typeIfLj2EEffffjfiS5_IjLj3EEiiiiiiiiiiiliiliiiiil.has_dyn_sized_stack, 0
	.set _ZL15flash_attn_tileILi576ELi512ELi2ELi4ELb0EEvPKcS1_S1_S1_S1_PKiPfP15HIP_vector_typeIfLj2EEffffjfiS5_IjLj3EEiiiiiiiiiiiliiliiiiil.has_recursion, 0
	.set _ZL15flash_attn_tileILi576ELi512ELi2ELi4ELb0EEvPKcS1_S1_S1_S1_PKiPfP15HIP_vector_typeIfLj2EEffffjfiS5_IjLj3EEiiiiiiiiiiiliiliiiiil.has_indirect_call, 0
	.section	.AMDGPU.csdata,"",@progbits
; Kernel info:
; codeLenInByte = 14824
; TotalNumSgprs: 44
; NumVgprs: 120
; ScratchSize: 0
; MemoryBound: 0
; FloatMode: 240
; IeeeMode: 1
; LDSByteSize: 19456 bytes/workgroup (compile time only)
; SGPRBlocks: 0
; VGPRBlocks: 14
; NumSGPRsForWavesPerEU: 44
; NumVGPRsForWavesPerEU: 120
; Occupancy: 12
; WaveLimiterHint : 1
; COMPUTE_PGM_RSRC2:SCRATCH_EN: 0
; COMPUTE_PGM_RSRC2:USER_SGPR: 2
; COMPUTE_PGM_RSRC2:TRAP_HANDLER: 0
; COMPUTE_PGM_RSRC2:TGID_X_EN: 1
; COMPUTE_PGM_RSRC2:TGID_Y_EN: 1
; COMPUTE_PGM_RSRC2:TGID_Z_EN: 1
; COMPUTE_PGM_RSRC2:TIDIG_COMP_CNT: 1
	.section	.text._ZL33flash_attn_stream_k_fixup_uniformILi512ELi2ELi4EEvPfPK15HIP_vector_typeIfLj2EEiiiiiiS1_IjLj3EES5_S5_,"axG",@progbits,_ZL33flash_attn_stream_k_fixup_uniformILi512ELi2ELi4EEvPfPK15HIP_vector_typeIfLj2EEiiiiiiS1_IjLj3EES5_S5_,comdat
	.globl	_ZL33flash_attn_stream_k_fixup_uniformILi512ELi2ELi4EEvPfPK15HIP_vector_typeIfLj2EEiiiiiiS1_IjLj3EES5_S5_ ; -- Begin function _ZL33flash_attn_stream_k_fixup_uniformILi512ELi2ELi4EEvPfPK15HIP_vector_typeIfLj2EEiiiiiiS1_IjLj3EES5_S5_
	.p2align	8
	.type	_ZL33flash_attn_stream_k_fixup_uniformILi512ELi2ELi4EEvPfPK15HIP_vector_typeIfLj2EEiiiiiiS1_IjLj3EES5_S5_,@function
_ZL33flash_attn_stream_k_fixup_uniformILi512ELi2ELi4EEvPfPK15HIP_vector_typeIfLj2EEiiiiiiS1_IjLj3EES5_S5_: ; @_ZL33flash_attn_stream_k_fixup_uniformILi512ELi2ELi4EEvPfPK15HIP_vector_typeIfLj2EEiiiiiiS1_IjLj3EES5_S5_
; %bb.0:
	s_clause 0x1
	s_load_b256 s[4:11], s[0:1], 0x1c
	s_load_b128 s[12:15], s[0:1], 0x3c
	s_wait_kmcnt 0x0
	s_mul_hi_u32 s2, s7, ttmp9
	s_delay_alu instid0(SALU_CYCLE_1) | instskip(NEXT) | instid1(SALU_CYCLE_1)
	s_add_co_i32 s2, ttmp9, s2
	s_lshr_b32 s2, s2, s8
	s_delay_alu instid0(SALU_CYCLE_1) | instskip(SKIP_2) | instid1(SALU_CYCLE_1)
	s_mul_i32 s3, s2, s9
	s_load_b64 s[8:9], s[0:1], 0x10
	s_sub_co_i32 s7, ttmp9, s3
	s_mul_hi_u32 s3, s7, s10
	s_delay_alu instid0(SALU_CYCLE_1) | instskip(NEXT) | instid1(SALU_CYCLE_1)
	s_add_co_i32 s3, s7, s3
	s_lshr_b32 s3, s3, s11
	s_delay_alu instid0(SALU_CYCLE_1) | instskip(NEXT) | instid1(SALU_CYCLE_1)
	s_mul_i32 s10, s3, s12
	s_sub_co_i32 s7, s7, s10
	s_delay_alu instid0(SALU_CYCLE_1) | instskip(NEXT) | instid1(SALU_CYCLE_1)
	s_mul_hi_u32 s10, s7, s13
	s_add_co_i32 s10, s7, s10
	s_delay_alu instid0(SALU_CYCLE_1) | instskip(NEXT) | instid1(SALU_CYCLE_1)
	s_lshr_b32 s12, s10, s14
	s_mul_i32 s10, s12, s15
	s_lshl_b32 s12, s12, 2
	s_sub_co_i32 s11, s7, s10
	s_and_b32 s7, ttmp7, 0xffff
	s_lshl_b32 s13, s11, 1
	s_lshr_b32 s10, ttmp7, 16
	s_add_co_i32 s13, s13, s7
	s_wait_kmcnt 0x0
	s_cmp_lt_i32 s13, s8
	s_cselect_b32 s13, -1, 0
	s_add_co_i32 s14, s12, s10
	s_delay_alu instid0(SALU_CYCLE_1) | instskip(SKIP_1) | instid1(SALU_CYCLE_1)
	s_cmp_lt_i32 s14, s5
	s_cselect_b32 s14, -1, 0
	s_and_b32 s13, s13, s14
	s_delay_alu instid0(SALU_CYCLE_1)
	s_and_not1_b32 vcc_lo, exec_lo, s13
	s_cbranch_vccnz .LBB18_6
; %bb.1:
	s_mul_i32 s2, s2, s8
	s_mul_i32 s5, s3, s5
	s_add_co_i32 s2, s2, s7
	s_delay_alu instid0(SALU_CYCLE_1) | instskip(NEXT) | instid1(SALU_CYCLE_1)
	s_mul_i32 s2, s2, s9
	s_add_co_i32 s8, s2, s10
	s_load_b128 s[0:3], s[0:1], 0x0
	s_add_co_i32 s5, s8, s5
	s_mul_i32 s8, s9, s11
	s_add_co_i32 s5, s5, s12
	s_lshl_b32 s8, s8, 10
	s_lshl_b32 s5, s5, 9
	s_delay_alu instid0(SALU_CYCLE_1)
	s_add_co_i32 s8, s8, s5
	s_lshl_b32 s5, s7, 2
	v_or_b32_e32 v1, s8, v0
	s_mul_i32 s8, s6, ttmp9
	s_wait_alu 0xfffe
	s_add_co_i32 s9, s8, s6
	s_wait_alu 0xfffe
	s_add_co_i32 s12, s9, -2
	v_ashrrev_i32_e32 v2, 31, v1
	s_delay_alu instid0(VALU_DEP_1) | instskip(SKIP_1) | instid1(VALU_DEP_1)
	v_lshlrev_b64_e32 v[1:2], 2, v[1:2]
	s_wait_kmcnt 0x0
	v_add_co_u32 v1, vcc_lo, s0, v1
	s_delay_alu instid0(VALU_DEP_1)
	v_add_co_ci_u32_e64 v2, null, s1, v2, vcc_lo
	s_add_co_i32 s0, s5, s10
	s_lshl_b32 s1, s9, 3
	global_load_b32 v5, v[1:2], off
	s_wait_alu 0xfffe
	s_add_co_i32 s0, s0, s1
	s_wait_alu 0xfffe
	s_add_co_i32 s0, s0, -8
	s_wait_alu 0xfffe
	s_ashr_i32 s1, s0, 31
	s_wait_alu 0xfffe
	s_lshl_b64 s[0:1], s[0:1], 3
	s_cmp_lt_i32 s12, s8
	s_wait_alu 0xfffe
	s_add_nc_u64 s[0:1], s[2:3], s[0:1]
	s_load_b32 s11, s[0:1], 0x4
	s_cbranch_scc1 .LBB18_4
; %bb.2:
	s_load_b32 s0, s[0:1], 0x0
	s_add_co_i32 s13, ttmp9, 1
	s_lshl_b32 s12, s4, 5
	s_mul_i32 s1, s6, s13
	s_lshl_b32 s6, s7, 11
	s_lshl_b32 s7, s10, 9
	s_wait_alu 0xfffe
	s_lshl_b32 s14, s1, 12
	s_add_co_i32 s6, s7, s6
	s_lshl_b32 s1, s1, 3
	s_add_co_i32 s14, s6, s14
	s_wait_alu 0xfffe
	s_add_co_i32 s1, s10, s1
	v_or_b32_e32 v0, s14, v0
	s_lshl_b32 s4, s4, 3
	s_ashr_i32 s13, s12, 31
	s_wait_alu 0xfffe
	s_add_co_i32 s1, s1, s4
	s_wait_kmcnt 0x0
	v_dual_mov_b32 v6, s11 :: v_dual_add_nc_u32 v3, 0xffffe000, v0
	s_lshl_b64 s[6:7], s[12:13], 2
	s_wait_alu 0xfffe
	s_add_co_i32 s4, s1, s5
	s_add_nc_u64 s[6:7], s[2:3], s[6:7]
	s_add_co_i32 s1, s9, -1
	s_add_co_i32 s4, s4, -16
.LBB18_3:                               ; =>This Inner Loop Header: Depth=1
	v_ashrrev_i32_e32 v4, 31, v3
	s_ashr_i32 s5, s4, 31
	v_mov_b32_e32 v10, v6
	s_lshl_b64 s[10:11], s[4:5], 3
	s_wait_loadcnt 0x0
	v_mov_b32_e32 v9, v5
	v_lshlrev_b64_e32 v[7:8], 2, v[3:4]
	s_wait_alu 0xfffe
	s_add_nc_u64 s[10:11], s[2:3], s[10:11]
	v_max_num_f32_e64 v4, s0, s0
	s_load_b64 s[10:11], s[10:11], 0x0
	v_add_nc_u32_e32 v3, 0xfffff000, v3
	v_add_co_u32 v7, vcc_lo, s6, v7
	s_wait_alu 0xfffd
	v_add_co_ci_u32_e64 v8, null, s7, v8, vcc_lo
	v_readfirstlane_b32 s5, v4
	global_load_b32 v0, v[7:8], off
	s_wait_kmcnt 0x0
	v_max_num_f32_e64 v4, s10, s10
	s_delay_alu instid0(VALU_DEP_1) | instskip(SKIP_1) | instid1(SALU_CYCLE_3)
	v_readfirstlane_b32 s9, v4
	s_max_num_f32 s5, s5, s9
	s_sub_f32 s0, s0, s5
	s_sub_f32 s9, s10, s5
	s_wait_alu 0xfffe
	s_delay_alu instid0(SALU_CYCLE_1) | instskip(NEXT) | instid1(SALU_CYCLE_1)
	s_mul_f32 s10, s0, 0x3fb8aa3b
	s_mul_f32 s12, s9, 0x3fb8aa3b
	s_wait_alu 0xfffe
	s_delay_alu instid0(SALU_CYCLE_1)
	s_xor_b32 s13, s10, 0x80000000
	s_rndne_f32 s14, s10
	s_fmamk_f32 s13, s0, 0x3fb8aa3b, s13
	s_cmp_nlt_f32 s0, 0xc2ce8ed0
	s_rndne_f32 s15, s12
	s_wait_alu 0xfffe
	s_sub_f32 s10, s10, s14
	s_fmamk_f32 s13, s0, 0x32a5705f, s13
	s_cvt_i32_f32 s14, s14
	s_cselect_b32 vcc_lo, -1, 0
	s_cmp_ngt_f32 s0, 0x42b17218
	s_wait_alu 0xfffe
	s_add_f32 s10, s10, s13
	s_sub_f32 s13, s12, s15
	s_wait_alu 0xfffe
	s_delay_alu instid0(SALU_CYCLE_1) | instskip(SKIP_1) | instid1(TRANS32_DEP_1)
	v_s_exp_f32 s10, s10
	s_wait_alu 0xf1ff
	v_ldexp_f32 v4, s10, s14
	s_cvt_i32_f32 s10, s15
	s_delay_alu instid0(VALU_DEP_1) | instskip(SKIP_3) | instid1(VALU_DEP_1)
	v_cndmask_b32_e32 v4, 0, v4, vcc_lo
	s_cselect_b32 vcc_lo, -1, 0
	s_cmp_ge_f32 s0, 0xc1a00000
	s_wait_alu 0xfffe
	v_cndmask_b32_e32 v4, 0x7f800000, v4, vcc_lo
	s_cselect_b32 vcc_lo, -1, 0
	s_xor_b32 s0, s12, 0x80000000
	s_cmp_nlt_f32 s9, 0xc2ce8ed0
	s_wait_alu 0xfffe
	s_fmamk_f32 s0, s9, 0x3fb8aa3b, s0
	s_wait_alu 0xfffe
	s_delay_alu instid0(SALU_CYCLE_2) | instskip(SKIP_1) | instid1(SALU_CYCLE_2)
	s_fmamk_f32 s0, s9, 0x32a5705f, s0
	s_wait_alu 0xfffe
	s_add_f32 s0, s13, s0
	s_wait_alu 0xfffe
	s_delay_alu instid0(SALU_CYCLE_2) | instskip(SKIP_1) | instid1(TRANS32_DEP_1)
	v_s_exp_f32 s0, s0
	s_wait_alu 0xf1ff
	v_ldexp_f32 v7, s0, s10
	s_cselect_b32 s0, -1, 0
	s_cmp_ngt_f32 s9, 0x42b17218
	s_wait_alu 0xfffe
	s_delay_alu instid0(VALU_DEP_1) | instskip(SKIP_3) | instid1(VALU_DEP_1)
	v_cndmask_b32_e64 v7, 0, v7, s0
	s_cselect_b32 s0, -1, 0
	s_cmp_ge_f32 s9, 0xc1a00000
	s_wait_alu 0xfffe
	v_cndmask_b32_e64 v7, 0x7f800000, v7, s0
	s_cselect_b32 s0, -1, 0
	s_add_co_i32 s1, s1, -1
	s_add_co_i32 s4, s4, -8
	s_wait_alu 0xfffe
	s_cmp_le_i32 s1, s8
	v_cndmask_b32_e64 v7, 0, v7, s0
	s_mov_b32 s0, s5
	s_wait_loadcnt 0x0
	s_delay_alu instid0(VALU_DEP_1) | instskip(NEXT) | instid1(VALU_DEP_1)
	v_dual_mul_f32 v5, v0, v7 :: v_dual_cndmask_b32 v4, 0, v4
	v_dual_mul_f32 v8, s11, v7 :: v_dual_fmac_f32 v5, v9, v4
	s_delay_alu instid0(VALU_DEP_1) | instskip(NEXT) | instid1(VALU_DEP_1)
	v_mov_b32_e32 v6, v8
	v_fmac_f32_e32 v6, v10, v4
	s_cbranch_scc0 .LBB18_3
	s_branch .LBB18_5
.LBB18_4:
	s_wait_kmcnt 0x0
	v_mov_b32_e32 v6, s11
.LBB18_5:
	s_wait_loadcnt 0x0
	s_delay_alu instid0(VALU_DEP_1) | instskip(NEXT) | instid1(VALU_DEP_1)
	v_div_scale_f32 v0, null, v6, v6, v5
	v_rcp_f32_e32 v3, v0
	s_delay_alu instid0(TRANS32_DEP_1) | instskip(NEXT) | instid1(VALU_DEP_1)
	v_fma_f32 v4, -v0, v3, 1.0
	v_fmac_f32_e32 v3, v4, v3
	v_div_scale_f32 v4, vcc_lo, v5, v6, v5
	s_delay_alu instid0(VALU_DEP_1) | instskip(NEXT) | instid1(VALU_DEP_1)
	v_mul_f32_e32 v7, v4, v3
	v_fma_f32 v8, -v0, v7, v4
	s_delay_alu instid0(VALU_DEP_1) | instskip(NEXT) | instid1(VALU_DEP_1)
	v_fmac_f32_e32 v7, v8, v3
	v_fma_f32 v0, -v0, v7, v4
	s_wait_alu 0xfffd
	s_delay_alu instid0(VALU_DEP_1) | instskip(NEXT) | instid1(VALU_DEP_1)
	v_div_fmas_f32 v0, v0, v3, v7
	v_div_fixup_f32 v0, v0, v6, v5
	global_store_b32 v[1:2], v0, off
.LBB18_6:
	s_endpgm
	.section	.rodata,"a",@progbits
	.p2align	6, 0x0
	.amdhsa_kernel _ZL33flash_attn_stream_k_fixup_uniformILi512ELi2ELi4EEvPfPK15HIP_vector_typeIfLj2EEiiiiiiS1_IjLj3EES5_S5_
		.amdhsa_group_segment_fixed_size 0
		.amdhsa_private_segment_fixed_size 0
		.amdhsa_kernarg_size 76
		.amdhsa_user_sgpr_count 2
		.amdhsa_user_sgpr_dispatch_ptr 0
		.amdhsa_user_sgpr_queue_ptr 0
		.amdhsa_user_sgpr_kernarg_segment_ptr 1
		.amdhsa_user_sgpr_dispatch_id 0
		.amdhsa_user_sgpr_private_segment_size 0
		.amdhsa_wavefront_size32 1
		.amdhsa_uses_dynamic_stack 0
		.amdhsa_enable_private_segment 0
		.amdhsa_system_sgpr_workgroup_id_x 1
		.amdhsa_system_sgpr_workgroup_id_y 1
		.amdhsa_system_sgpr_workgroup_id_z 1
		.amdhsa_system_sgpr_workgroup_info 0
		.amdhsa_system_vgpr_workitem_id 0
		.amdhsa_next_free_vgpr 11
		.amdhsa_next_free_sgpr 16
		.amdhsa_reserve_vcc 1
		.amdhsa_float_round_mode_32 0
		.amdhsa_float_round_mode_16_64 0
		.amdhsa_float_denorm_mode_32 3
		.amdhsa_float_denorm_mode_16_64 3
		.amdhsa_fp16_overflow 0
		.amdhsa_workgroup_processor_mode 1
		.amdhsa_memory_ordered 1
		.amdhsa_forward_progress 1
		.amdhsa_inst_pref_size 9
		.amdhsa_round_robin_scheduling 0
		.amdhsa_exception_fp_ieee_invalid_op 0
		.amdhsa_exception_fp_denorm_src 0
		.amdhsa_exception_fp_ieee_div_zero 0
		.amdhsa_exception_fp_ieee_overflow 0
		.amdhsa_exception_fp_ieee_underflow 0
		.amdhsa_exception_fp_ieee_inexact 0
		.amdhsa_exception_int_div_zero 0
	.end_amdhsa_kernel
	.section	.text._ZL33flash_attn_stream_k_fixup_uniformILi512ELi2ELi4EEvPfPK15HIP_vector_typeIfLj2EEiiiiiiS1_IjLj3EES5_S5_,"axG",@progbits,_ZL33flash_attn_stream_k_fixup_uniformILi512ELi2ELi4EEvPfPK15HIP_vector_typeIfLj2EEiiiiiiS1_IjLj3EES5_S5_,comdat
.Lfunc_end18:
	.size	_ZL33flash_attn_stream_k_fixup_uniformILi512ELi2ELi4EEvPfPK15HIP_vector_typeIfLj2EEiiiiiiS1_IjLj3EES5_S5_, .Lfunc_end18-_ZL33flash_attn_stream_k_fixup_uniformILi512ELi2ELi4EEvPfPK15HIP_vector_typeIfLj2EEiiiiiiS1_IjLj3EES5_S5_
                                        ; -- End function
	.set _ZL33flash_attn_stream_k_fixup_uniformILi512ELi2ELi4EEvPfPK15HIP_vector_typeIfLj2EEiiiiiiS1_IjLj3EES5_S5_.num_vgpr, 11
	.set _ZL33flash_attn_stream_k_fixup_uniformILi512ELi2ELi4EEvPfPK15HIP_vector_typeIfLj2EEiiiiiiS1_IjLj3EES5_S5_.num_agpr, 0
	.set _ZL33flash_attn_stream_k_fixup_uniformILi512ELi2ELi4EEvPfPK15HIP_vector_typeIfLj2EEiiiiiiS1_IjLj3EES5_S5_.numbered_sgpr, 16
	.set _ZL33flash_attn_stream_k_fixup_uniformILi512ELi2ELi4EEvPfPK15HIP_vector_typeIfLj2EEiiiiiiS1_IjLj3EES5_S5_.num_named_barrier, 0
	.set _ZL33flash_attn_stream_k_fixup_uniformILi512ELi2ELi4EEvPfPK15HIP_vector_typeIfLj2EEiiiiiiS1_IjLj3EES5_S5_.private_seg_size, 0
	.set _ZL33flash_attn_stream_k_fixup_uniformILi512ELi2ELi4EEvPfPK15HIP_vector_typeIfLj2EEiiiiiiS1_IjLj3EES5_S5_.uses_vcc, 1
	.set _ZL33flash_attn_stream_k_fixup_uniformILi512ELi2ELi4EEvPfPK15HIP_vector_typeIfLj2EEiiiiiiS1_IjLj3EES5_S5_.uses_flat_scratch, 0
	.set _ZL33flash_attn_stream_k_fixup_uniformILi512ELi2ELi4EEvPfPK15HIP_vector_typeIfLj2EEiiiiiiS1_IjLj3EES5_S5_.has_dyn_sized_stack, 0
	.set _ZL33flash_attn_stream_k_fixup_uniformILi512ELi2ELi4EEvPfPK15HIP_vector_typeIfLj2EEiiiiiiS1_IjLj3EES5_S5_.has_recursion, 0
	.set _ZL33flash_attn_stream_k_fixup_uniformILi512ELi2ELi4EEvPfPK15HIP_vector_typeIfLj2EEiiiiiiS1_IjLj3EES5_S5_.has_indirect_call, 0
	.section	.AMDGPU.csdata,"",@progbits
; Kernel info:
; codeLenInByte = 1140
; TotalNumSgprs: 18
; NumVgprs: 11
; ScratchSize: 0
; MemoryBound: 0
; FloatMode: 240
; IeeeMode: 1
; LDSByteSize: 0 bytes/workgroup (compile time only)
; SGPRBlocks: 0
; VGPRBlocks: 1
; NumSGPRsForWavesPerEU: 18
; NumVGPRsForWavesPerEU: 11
; Occupancy: 16
; WaveLimiterHint : 0
; COMPUTE_PGM_RSRC2:SCRATCH_EN: 0
; COMPUTE_PGM_RSRC2:USER_SGPR: 2
; COMPUTE_PGM_RSRC2:TRAP_HANDLER: 0
; COMPUTE_PGM_RSRC2:TGID_X_EN: 1
; COMPUTE_PGM_RSRC2:TGID_Y_EN: 1
; COMPUTE_PGM_RSRC2:TGID_Z_EN: 1
; COMPUTE_PGM_RSRC2:TIDIG_COMP_CNT: 0
	.section	.text._ZL33flash_attn_stream_k_fixup_generalILi512ELi2ELi4EEvPfPK15HIP_vector_typeIfLj2EEiiiiS1_IjLj3EES5_S5_S5_,"axG",@progbits,_ZL33flash_attn_stream_k_fixup_generalILi512ELi2ELi4EEvPfPK15HIP_vector_typeIfLj2EEiiiiS1_IjLj3EES5_S5_S5_,comdat
	.globl	_ZL33flash_attn_stream_k_fixup_generalILi512ELi2ELi4EEvPfPK15HIP_vector_typeIfLj2EEiiiiS1_IjLj3EES5_S5_S5_ ; -- Begin function _ZL33flash_attn_stream_k_fixup_generalILi512ELi2ELi4EEvPfPK15HIP_vector_typeIfLj2EEiiiiS1_IjLj3EES5_S5_S5_
	.p2align	8
	.type	_ZL33flash_attn_stream_k_fixup_generalILi512ELi2ELi4EEvPfPK15HIP_vector_typeIfLj2EEiiiiS1_IjLj3EES5_S5_S5_,@function
_ZL33flash_attn_stream_k_fixup_generalILi512ELi2ELi4EEvPfPK15HIP_vector_typeIfLj2EEiiiiS1_IjLj3EES5_S5_S5_: ; @_ZL33flash_attn_stream_k_fixup_generalILi512ELi2ELi4EEvPfPK15HIP_vector_typeIfLj2EEiiiiS1_IjLj3EES5_S5_S5_
; %bb.0:
	s_clause 0x1
	s_load_b128 s[4:7], s[0:1], 0x10
	s_load_b32 s16, s[0:1], 0x50
	s_mov_b32 s2, ttmp9
	s_ashr_i32 s3, ttmp9, 31
	s_mov_b32 s17, 0
	s_delay_alu instid0(SALU_CYCLE_1) | instskip(SKIP_3) | instid1(SALU_CYCLE_1)
	s_mov_b32 s8, s17
	s_wait_kmcnt 0x0
	s_ashr_i32 s19, s7, 31
	s_mov_b32 s18, s7
	s_mul_u64 s[2:3], s[18:19], s[2:3]
	s_delay_alu instid0(SALU_CYCLE_1) | instskip(NEXT) | instid1(SALU_CYCLE_1)
	s_mov_b32 s9, s3
	s_cmp_lg_u64 s[8:9], 0
	s_cbranch_scc0 .LBB19_21
; %bb.1:
	s_add_nc_u64 s[8:9], s[16:17], 0
	s_mov_b32 s15, s17
	s_xor_b64 s[8:9], s[8:9], 0
	s_mov_b32 s23, s17
	s_cvt_f32_u32 s7, s8
	s_cvt_f32_u32 s10, s9
	s_sub_nc_u64 s[12:13], 0, s[8:9]
	s_delay_alu instid0(SALU_CYCLE_2) | instskip(NEXT) | instid1(SALU_CYCLE_3)
	s_fmamk_f32 s7, s10, 0x4f800000, s7
	v_s_rcp_f32 s7, s7
	s_delay_alu instid0(TRANS32_DEP_1) | instskip(SKIP_1) | instid1(SALU_CYCLE_2)
	s_mul_f32 s7, s7, 0x5f7ffffc
	s_wait_alu 0xfffe
	s_mul_f32 s10, s7, 0x2f800000
	s_delay_alu instid0(SALU_CYCLE_3) | instskip(NEXT) | instid1(SALU_CYCLE_3)
	s_trunc_f32 s10, s10
	s_fmamk_f32 s7, s10, 0xcf800000, s7
	s_cvt_u32_f32 s11, s10
	s_wait_alu 0xfffe
	s_delay_alu instid0(SALU_CYCLE_1) | instskip(NEXT) | instid1(SALU_CYCLE_3)
	s_cvt_u32_f32 s10, s7
	s_mul_u64 s[20:21], s[12:13], s[10:11]
	s_delay_alu instid0(SALU_CYCLE_1)
	s_mul_hi_u32 s25, s10, s21
	s_mul_i32 s24, s10, s21
	s_mul_hi_u32 s14, s10, s20
	s_mul_i32 s22, s11, s20
	s_add_nc_u64 s[14:15], s[14:15], s[24:25]
	s_mul_hi_u32 s7, s11, s20
	s_mul_hi_u32 s26, s11, s21
	s_add_co_u32 s14, s14, s22
	s_wait_alu 0xfffe
	s_add_co_ci_u32 s22, s15, s7
	s_mul_i32 s20, s11, s21
	s_add_co_ci_u32 s21, s26, 0
	s_delay_alu instid0(SALU_CYCLE_1)
	s_add_nc_u64 s[14:15], s[22:23], s[20:21]
	s_mov_b32 s21, s17
	s_add_co_u32 s10, s10, s14
	s_cselect_b32 s7, -1, 0
	s_wait_alu 0xfffe
	s_cmp_lg_u32 s7, 0
	s_add_co_ci_u32 s11, s11, s15
	s_mov_b32 s15, s17
	s_mul_u64 s[12:13], s[12:13], s[10:11]
	s_delay_alu instid0(SALU_CYCLE_1)
	s_mul_hi_u32 s23, s10, s13
	s_mul_i32 s22, s10, s13
	s_mul_hi_u32 s14, s10, s12
	s_mul_i32 s20, s11, s12
	s_add_nc_u64 s[14:15], s[14:15], s[22:23]
	s_mul_hi_u32 s7, s11, s12
	s_mul_hi_u32 s24, s11, s13
	s_mul_i32 s12, s11, s13
	s_add_co_u32 s13, s14, s20
	s_wait_alu 0xfffe
	s_add_co_ci_u32 s20, s15, s7
	s_add_co_ci_u32 s13, s24, 0
	s_mov_b32 s15, s17
	s_add_nc_u64 s[12:13], s[20:21], s[12:13]
	s_delay_alu instid0(SALU_CYCLE_1) | instskip(SKIP_1) | instid1(SALU_CYCLE_1)
	s_add_co_u32 s7, s10, s12
	s_cselect_b32 s10, -1, 0
	s_cmp_lg_u32 s10, 0
	s_add_co_ci_u32 s20, s11, s13
	s_ashr_i32 s10, s3, 31
	s_delay_alu instid0(SALU_CYCLE_1) | instskip(NEXT) | instid1(SALU_CYCLE_1)
	s_mov_b32 s11, s10
	s_add_nc_u64 s[12:13], s[2:3], s[10:11]
	s_delay_alu instid0(SALU_CYCLE_1) | instskip(NEXT) | instid1(SALU_CYCLE_1)
	s_xor_b64 s[12:13], s[12:13], s[10:11]
	s_mul_hi_u32 s23, s12, s20
	s_mul_i32 s22, s12, s20
	s_wait_alu 0xfffe
	s_mul_hi_u32 s14, s12, s7
	s_mul_hi_u32 s24, s13, s7
	s_mul_i32 s7, s13, s7
	s_add_nc_u64 s[14:15], s[14:15], s[22:23]
	s_mul_hi_u32 s3, s13, s20
	s_wait_alu 0xfffe
	s_add_co_u32 s7, s14, s7
	s_mul_i32 s22, s13, s20
	s_add_co_ci_u32 s20, s15, s24
	s_add_co_ci_u32 s23, s3, 0
	s_delay_alu instid0(SALU_CYCLE_1) | instskip(NEXT) | instid1(SALU_CYCLE_1)
	s_add_nc_u64 s[14:15], s[20:21], s[22:23]
	s_mul_u64 s[20:21], s[8:9], s[14:15]
	s_delay_alu instid0(SALU_CYCLE_1)
	s_sub_co_u32 s3, s12, s20
	s_cselect_b32 s7, -1, 0
	s_sub_co_i32 s12, s13, s21
	s_wait_alu 0xfffe
	s_cmp_lg_u32 s7, 0
	s_sub_co_ci_u32 s12, s12, s9
	s_sub_co_u32 s20, s3, s8
	s_cselect_b32 s22, -1, 0
	s_delay_alu instid0(SALU_CYCLE_1) | instskip(SKIP_2) | instid1(SALU_CYCLE_1)
	s_cmp_lg_u32 s22, 0
	s_add_nc_u64 s[22:23], s[14:15], 1
	s_sub_co_ci_u32 s12, s12, 0
	s_cmp_ge_u32 s12, s9
	s_cselect_b32 s24, -1, 0
	s_cmp_ge_u32 s20, s8
	s_cselect_b32 s20, -1, 0
	s_cmp_eq_u32 s12, s9
	s_cselect_b32 s12, s20, s24
	s_add_nc_u64 s[24:25], s[14:15], 2
	s_cmp_lg_u32 s12, 0
	s_cselect_b32 s12, s24, s22
	s_cselect_b32 s20, s25, s23
	s_cmp_lg_u32 s7, 0
	s_sub_co_ci_u32 s7, s13, s21
	s_wait_alu 0xfffe
	s_cmp_ge_u32 s7, s9
	s_cselect_b32 s13, -1, 0
	s_cmp_ge_u32 s3, s8
	s_cselect_b32 s3, -1, 0
	s_cmp_eq_u32 s7, s9
	s_cselect_b32 s3, s3, s13
	s_delay_alu instid0(SALU_CYCLE_1) | instskip(SKIP_4) | instid1(SALU_CYCLE_1)
	s_cmp_lg_u32 s3, 0
	s_mov_b32 s3, s17
	s_cselect_b32 s9, s20, s15
	s_cselect_b32 s8, s12, s14
	s_xor_b64 s[10:11], s[10:11], 0
	s_xor_b64 s[8:9], s[8:9], s[10:11]
	s_delay_alu instid0(SALU_CYCLE_1)
	s_sub_nc_u64 s[20:21], s[8:9], s[10:11]
	s_and_not1_b32 vcc_lo, exec_lo, s3
	s_cbranch_vccnz .LBB19_3
.LBB19_2:
	v_cvt_f32_u32_e32 v1, s16
	s_sub_co_i32 s7, 0, s16
	s_delay_alu instid0(VALU_DEP_1) | instskip(NEXT) | instid1(TRANS32_DEP_1)
	v_rcp_iflag_f32_e32 v1, v1
	v_mul_f32_e32 v1, 0x4f7ffffe, v1
	s_delay_alu instid0(VALU_DEP_1) | instskip(NEXT) | instid1(VALU_DEP_1)
	v_cvt_u32_f32_e32 v1, v1
	v_readfirstlane_b32 s3, v1
	s_wait_alu 0xfffe
	s_mul_i32 s7, s7, s3
	s_wait_alu 0xfffe
	s_mul_hi_u32 s7, s3, s7
	s_wait_alu 0xfffe
	s_add_co_i32 s3, s3, s7
	s_delay_alu instid0(SALU_CYCLE_1) | instskip(NEXT) | instid1(SALU_CYCLE_1)
	s_mul_hi_u32 s3, s2, s3
	s_mul_i32 s7, s3, s16
	s_wait_alu 0xfffe
	s_sub_co_i32 s2, s2, s7
	s_add_co_i32 s7, s3, 1
	s_sub_co_i32 s8, s2, s16
	s_cmp_ge_u32 s2, s16
	s_wait_alu 0xfffe
	s_cselect_b32 s3, s7, s3
	s_cselect_b32 s2, s8, s2
	s_add_co_i32 s7, s3, 1
	s_cmp_ge_u32 s2, s16
	s_wait_alu 0xfffe
	s_cselect_b32 s20, s7, s3
.LBB19_3:
	s_add_co_i32 s2, ttmp9, 1
	s_mov_b32 s8, 0
	s_ashr_i32 s3, s2, 31
	s_delay_alu instid0(SALU_CYCLE_1) | instskip(NEXT) | instid1(SALU_CYCLE_1)
	s_mul_u64 s[2:3], s[18:19], s[2:3]
	s_mov_b32 s9, s3
	s_delay_alu instid0(SALU_CYCLE_1)
	s_cmp_lg_u64 s[8:9], 0
	s_cbranch_scc0 .LBB19_22
; %bb.4:
	s_add_nc_u64 s[10:11], s[16:17], 0
	s_mov_b32 s23, s8
	s_xor_b64 s[10:11], s[10:11], 0
	s_mov_b32 s27, s8
	s_cvt_f32_u32 s7, s10
	s_cvt_f32_u32 s9, s11
	s_sub_nc_u64 s[14:15], 0, s[10:11]
	s_wait_alu 0xfffe
	s_delay_alu instid0(SALU_CYCLE_1) | instskip(SKIP_1) | instid1(SALU_CYCLE_2)
	s_fmamk_f32 s7, s9, 0x4f800000, s7
	s_wait_alu 0xfffe
	v_s_rcp_f32 s7, s7
	s_delay_alu instid0(TRANS32_DEP_1) | instskip(SKIP_1) | instid1(SALU_CYCLE_2)
	s_mul_f32 s7, s7, 0x5f7ffffc
	s_wait_alu 0xfffe
	s_mul_f32 s9, s7, 0x2f800000
	s_delay_alu instid0(SALU_CYCLE_3) | instskip(NEXT) | instid1(SALU_CYCLE_3)
	s_trunc_f32 s9, s9
	s_fmamk_f32 s7, s9, 0xcf800000, s7
	s_cvt_u32_f32 s13, s9
	s_wait_alu 0xfffe
	s_delay_alu instid0(SALU_CYCLE_1) | instskip(NEXT) | instid1(SALU_CYCLE_3)
	s_cvt_u32_f32 s12, s7
	s_mul_u64 s[24:25], s[14:15], s[12:13]
	s_delay_alu instid0(SALU_CYCLE_1)
	s_mul_hi_u32 s29, s12, s25
	s_mul_i32 s28, s12, s25
	s_mul_hi_u32 s22, s12, s24
	s_mul_i32 s9, s13, s24
	s_add_nc_u64 s[22:23], s[22:23], s[28:29]
	s_mul_hi_u32 s7, s13, s24
	s_mul_hi_u32 s21, s13, s25
	s_add_co_u32 s9, s22, s9
	s_wait_alu 0xfffe
	s_add_co_ci_u32 s26, s23, s7
	s_mul_i32 s24, s13, s25
	s_add_co_ci_u32 s25, s21, 0
	s_delay_alu instid0(SALU_CYCLE_1)
	s_add_nc_u64 s[22:23], s[26:27], s[24:25]
	s_mov_b32 s25, s8
	s_add_co_u32 s12, s12, s22
	s_cselect_b32 s7, -1, 0
	s_wait_alu 0xfffe
	s_cmp_lg_u32 s7, 0
	s_add_co_ci_u32 s13, s13, s23
	s_mov_b32 s23, s8
	s_mul_u64 s[14:15], s[14:15], s[12:13]
	s_delay_alu instid0(SALU_CYCLE_1)
	s_mul_hi_u32 s27, s12, s15
	s_mul_i32 s26, s12, s15
	s_mul_hi_u32 s22, s12, s14
	s_mul_i32 s9, s13, s14
	s_add_nc_u64 s[22:23], s[22:23], s[26:27]
	s_mul_hi_u32 s7, s13, s14
	s_mul_hi_u32 s21, s13, s15
	s_add_co_u32 s9, s22, s9
	s_wait_alu 0xfffe
	s_add_co_ci_u32 s24, s23, s7
	s_mul_i32 s14, s13, s15
	s_add_co_ci_u32 s15, s21, 0
	s_mov_b32 s23, s8
	s_add_nc_u64 s[14:15], s[24:25], s[14:15]
	s_delay_alu instid0(SALU_CYCLE_1) | instskip(SKIP_1) | instid1(SALU_CYCLE_1)
	s_add_co_u32 s7, s12, s14
	s_cselect_b32 s9, -1, 0
	s_cmp_lg_u32 s9, 0
	s_add_co_ci_u32 s9, s13, s15
	s_ashr_i32 s12, s3, 31
	s_delay_alu instid0(SALU_CYCLE_1) | instskip(NEXT) | instid1(SALU_CYCLE_1)
	s_mov_b32 s13, s12
	s_add_nc_u64 s[14:15], s[2:3], s[12:13]
	s_delay_alu instid0(SALU_CYCLE_1) | instskip(NEXT) | instid1(SALU_CYCLE_1)
	s_xor_b64 s[14:15], s[14:15], s[12:13]
	s_mul_hi_u32 s27, s14, s9
	s_mul_i32 s26, s14, s9
	s_wait_alu 0xfffe
	s_mul_hi_u32 s22, s14, s7
	s_mul_hi_u32 s21, s15, s7
	s_mul_i32 s7, s15, s7
	s_add_nc_u64 s[22:23], s[22:23], s[26:27]
	s_mul_hi_u32 s3, s15, s9
	s_wait_alu 0xfffe
	s_add_co_u32 s7, s22, s7
	s_add_co_ci_u32 s24, s23, s21
	s_mul_i32 s26, s15, s9
	s_add_co_ci_u32 s27, s3, 0
	s_delay_alu instid0(SALU_CYCLE_1) | instskip(NEXT) | instid1(SALU_CYCLE_1)
	s_add_nc_u64 s[22:23], s[24:25], s[26:27]
	s_mul_u64 s[24:25], s[10:11], s[22:23]
	s_add_nc_u64 s[26:27], s[22:23], 1
	s_sub_co_u32 s3, s14, s24
	s_cselect_b32 s7, -1, 0
	s_sub_co_i32 s9, s15, s25
	s_wait_alu 0xfffe
	s_cmp_lg_u32 s7, 0
	s_add_nc_u64 s[28:29], s[22:23], 2
	s_sub_co_ci_u32 s9, s9, s11
	s_sub_co_u32 s14, s3, s10
	s_cselect_b32 s21, -1, 0
	s_delay_alu instid0(SALU_CYCLE_1) | instskip(SKIP_1) | instid1(SALU_CYCLE_1)
	s_cmp_lg_u32 s21, 0
	s_sub_co_ci_u32 s9, s9, 0
	s_cmp_ge_u32 s9, s11
	s_cselect_b32 s21, -1, 0
	s_cmp_ge_u32 s14, s10
	s_cselect_b32 s14, -1, 0
	s_cmp_eq_u32 s9, s11
	s_cselect_b32 s9, s14, s21
	s_delay_alu instid0(SALU_CYCLE_1)
	s_cmp_lg_u32 s9, 0
	s_cselect_b32 s9, s28, s26
	s_cselect_b32 s14, s29, s27
	s_cmp_lg_u32 s7, 0
	s_sub_co_ci_u32 s7, s15, s25
	s_wait_alu 0xfffe
	s_cmp_ge_u32 s7, s11
	s_cselect_b32 s15, -1, 0
	s_cmp_ge_u32 s3, s10
	s_cselect_b32 s3, -1, 0
	s_cmp_eq_u32 s7, s11
	s_cselect_b32 s3, s3, s15
	s_delay_alu instid0(SALU_CYCLE_1) | instskip(SKIP_3) | instid1(SALU_CYCLE_1)
	s_cmp_lg_u32 s3, 0
	s_cselect_b32 s11, s14, s23
	s_cselect_b32 s10, s9, s22
	s_xor_b64 s[12:13], s[12:13], 0
	s_xor_b64 s[10:11], s[10:11], s[12:13]
	s_delay_alu instid0(SALU_CYCLE_1)
	s_sub_nc_u64 s[10:11], s[10:11], s[12:13]
	s_load_b96 s[12:14], s[0:1], 0x44
	s_and_not1_b32 vcc_lo, exec_lo, s8
	s_cbranch_vccnz .LBB19_6
.LBB19_5:
	v_cvt_f32_u32_e32 v1, s16
	s_sub_co_i32 s7, 0, s16
	s_delay_alu instid0(VALU_DEP_1) | instskip(NEXT) | instid1(TRANS32_DEP_1)
	v_rcp_iflag_f32_e32 v1, v1
	v_mul_f32_e32 v1, 0x4f7ffffe, v1
	s_delay_alu instid0(VALU_DEP_1) | instskip(NEXT) | instid1(VALU_DEP_1)
	v_cvt_u32_f32_e32 v1, v1
	v_readfirstlane_b32 s3, v1
	s_wait_alu 0xfffe
	s_mul_i32 s7, s7, s3
	s_wait_alu 0xfffe
	s_mul_hi_u32 s7, s3, s7
	s_wait_alu 0xfffe
	s_add_co_i32 s3, s3, s7
	s_delay_alu instid0(SALU_CYCLE_1) | instskip(NEXT) | instid1(SALU_CYCLE_1)
	s_mul_hi_u32 s3, s2, s3
	s_mul_i32 s7, s3, s16
	s_wait_alu 0xfffe
	s_sub_co_i32 s2, s2, s7
	s_add_co_i32 s7, s3, 1
	s_sub_co_i32 s8, s2, s16
	s_cmp_ge_u32 s2, s16
	s_wait_alu 0xfffe
	s_cselect_b32 s3, s7, s3
	s_cselect_b32 s2, s8, s2
	s_add_co_i32 s7, s3, 1
	s_cmp_ge_u32 s2, s16
	s_wait_alu 0xfffe
	s_cselect_b32 s10, s7, s3
.LBB19_6:
	s_mov_b32 s21, 0
	s_wait_kmcnt 0x0
	s_mov_b32 s22, s12
	s_mov_b32 s23, s21
	s_cmp_eq_u32 s20, s10
	s_mul_u64 s[2:3], s[20:21], s[22:23]
	s_cselect_b32 s7, -1, 0
	s_add_co_i32 s2, s3, s20
	s_mov_b32 s11, s21
	s_lshr_b32 s12, s2, s13
	s_mul_u64 s[2:3], s[10:11], s[22:23]
	s_mul_i32 s2, s12, s14
	s_delay_alu instid0(SALU_CYCLE_1) | instskip(SKIP_2) | instid1(SALU_CYCLE_1)
	s_cmp_eq_u32 s2, s20
	s_cselect_b32 s2, -1, 0
	s_add_co_i32 s3, s3, s10
	s_lshr_b32 s3, s3, s13
	s_delay_alu instid0(SALU_CYCLE_1)
	s_cmp_eq_u32 s12, s3
	s_mul_i32 s3, s3, s14
	s_cselect_b32 s8, -1, 0
	s_cmp_lg_u32 s3, s10
	s_cselect_b32 s3, -1, 0
	s_wait_alu 0xfffe
	s_or_b32 s2, s7, s2
	s_and_b32 s3, s8, s3
	s_delay_alu instid0(SALU_CYCLE_1) | instskip(NEXT) | instid1(SALU_CYCLE_1)
	s_or_b32 s2, s2, s3
	s_and_b32 vcc_lo, exec_lo, s2
	s_cbranch_vccnz .LBB19_24
; %bb.7:
	s_load_b256 s[24:31], s[0:1], 0x20
	s_mov_b32 s3, s21
	s_wait_kmcnt 0x0
	s_mov_b32 s2, s24
	s_delay_alu instid0(SALU_CYCLE_1) | instskip(NEXT) | instid1(SALU_CYCLE_1)
	s_mul_u64 s[2:3], s[20:21], s[2:3]
	s_add_co_i32 s2, s3, s20
	s_delay_alu instid0(SALU_CYCLE_1) | instskip(SKIP_2) | instid1(SALU_CYCLE_1)
	s_lshr_b32 s7, s2, s25
	s_load_b32 s2, s[0:1], 0x40
	s_mul_i32 s3, s7, s26
	s_sub_co_i32 s3, s20, s3
	s_delay_alu instid0(SALU_CYCLE_1) | instskip(NEXT) | instid1(SALU_CYCLE_1)
	s_mul_hi_u32 s8, s3, s27
	s_add_co_i32 s8, s3, s8
	s_delay_alu instid0(SALU_CYCLE_1) | instskip(NEXT) | instid1(SALU_CYCLE_1)
	s_lshr_b32 s8, s8, s28
	s_mul_i32 s9, s8, s29
	s_delay_alu instid0(SALU_CYCLE_1) | instskip(NEXT) | instid1(SALU_CYCLE_1)
	s_sub_co_i32 s9, s3, s9
	s_mul_hi_u32 s3, s9, s30
	s_delay_alu instid0(SALU_CYCLE_1) | instskip(NEXT) | instid1(SALU_CYCLE_1)
	s_add_co_i32 s3, s9, s3
	s_lshr_b32 s24, s3, s31
	s_mov_b32 s3, s21
	s_wait_kmcnt 0x0
	s_mul_i32 s2, s24, s2
	s_lshl_b32 s21, s24, 2
	s_sub_co_i32 s2, s9, s2
	s_delay_alu instid0(SALU_CYCLE_1) | instskip(SKIP_2) | instid1(SALU_CYCLE_1)
	s_mul_u64 s[10:11], s[2:3], s[22:23]
	s_lshr_b32 s3, ttmp7, 16
	s_add_co_i32 s2, s2, s11
	s_lshr_b32 s15, s2, s13
	s_and_b32 s2, ttmp7, 0xffff
	s_lshl_b32 s9, s15, 1
	s_delay_alu instid0(SALU_CYCLE_1) | instskip(NEXT) | instid1(SALU_CYCLE_1)
	s_add_co_i32 s9, s9, s2
	s_cmp_lt_i32 s9, s4
	s_cselect_b32 s9, -1, 0
	s_add_co_i32 s10, s21, s3
	s_delay_alu instid0(SALU_CYCLE_1) | instskip(SKIP_1) | instid1(SALU_CYCLE_1)
	s_cmp_lt_i32 s10, s6
	s_cselect_b32 s10, -1, 0
	s_and_b32 s9, s9, s10
	s_delay_alu instid0(SALU_CYCLE_1)
	s_and_not1_b32 vcc_lo, exec_lo, s9
	s_cbranch_vccnz .LBB19_24
; %bb.8:
	s_mul_i32 s4, s7, s4
	s_mul_i32 s6, s8, s6
	s_add_co_i32 s4, s4, s2
	s_load_b128 s[8:11], s[0:1], 0x0
	s_mul_i32 s4, s4, s5
	s_mul_i32 s1, s5, s15
	s_add_co_i32 s4, s4, s3
	s_lshl_b32 s1, s1, 10
	s_add_co_i32 s0, s4, s6
	s_lshl_b32 s15, s2, 2
	s_add_co_i32 s0, s0, s21
	s_add_co_i32 s15, s15, s3
	s_lshl_b32 s0, s0, 9
	v_cvt_f32_u32_e32 v4, s16
	s_add_co_i32 s1, s1, s0
	s_add_co_i32 s34, ttmp9, -1
	v_or_b32_e32 v1, s1, v0
	s_add_nc_u64 s[0:1], s[16:17], 0
	v_rcp_iflag_f32_e32 v4, v4
	s_wait_alu 0xfffe
	s_xor_b64 s[6:7], s[0:1], 0
	s_lshl_b32 s0, ttmp9, 3
	v_ashrrev_i32_e32 v2, 31, v1
	s_wait_alu 0xfffe
	s_cvt_f32_u32 s1, s6
	s_cvt_f32_u32 s2, s7
	s_add_co_i32 s0, s15, s0
	v_lshl_or_b32 v0, s15, 9, v0
	v_lshlrev_b64_e32 v[1:2], 2, v[1:2]
	s_wait_alu 0xfffe
	s_fmamk_f32 s2, s2, 0x4f800000, s1
	s_ashr_i32 s1, s0, 31
	s_sub_nc_u64 s[30:31], 0, s[6:7]
	s_wait_alu 0xfffe
	s_lshl_b64 s[0:1], s[0:1], 3
	v_s_rcp_f32 s2, s2
	s_wait_kmcnt 0x0
	v_add_co_u32 v1, vcc_lo, s8, v1
	s_delay_alu instid0(VALU_DEP_1)
	v_add_co_ci_u32_e64 v2, null, s9, v2, vcc_lo
	s_wait_alu 0xfffe
	s_add_nc_u64 s[0:1], s[10:11], s[0:1]
	s_mov_b32 s8, 0
	s_load_b64 s[26:27], s[0:1], 0x0
	global_load_b32 v3, v[1:2], off
	s_mul_f32 s2, s2, 0x5f7ffffc
	v_mul_f32_e32 v4, 0x4f7ffffe, v4
	s_lshl_b32 s0, s16, 5
	s_wait_alu 0xfffe
	s_mul_f32 s1, s2, 0x2f800000
	s_wait_alu 0xfffe
	s_delay_alu instid0(SALU_CYCLE_2)
	s_trunc_f32 s3, s1
	s_mov_b32 s1, s8
	s_wait_alu 0xfffe
	s_lshl_b64 s[0:1], s[0:1], 2
	s_fmamk_f32 s2, s3, 0xcf800000, s2
	s_cvt_u32_f32 s29, s3
	s_wait_alu 0xfffe
	s_add_nc_u64 s[24:25], s[10:11], s[0:1]
	s_cvt_u32_f32 s28, s2
	s_wait_kmcnt 0x0
	v_mov_b32_e32 v5, s27
	v_cvt_u32_f32_e32 v4, v4
.LBB19_9:                               ; =>This Inner Loop Header: Depth=1
	s_wait_alu 0xfffe
	s_ashr_i32 s35, s34, 31
	s_mov_b32 s2, -1
	s_wait_alu 0xfffe
	s_mul_u64 s[0:1], s[34:35], s[18:19]
                                        ; implicit-def: $sgpr38_sgpr39
	s_wait_alu 0xfffe
	s_mov_b32 s9, s1
	s_wait_alu 0xfffe
	s_cmp_lg_u64 s[8:9], 0
	s_cbranch_scc0 .LBB19_11
; %bb.10:                               ;   in Loop: Header=BB19_9 Depth=1
	s_mul_u64 s[2:3], s[30:31], s[28:29]
	s_mov_b32 s37, s8
	s_wait_alu 0xfffe
	s_mul_hi_u32 s5, s28, s3
	s_mul_i32 s4, s28, s3
	s_mul_hi_u32 s36, s28, s2
	s_mul_hi_u32 s9, s29, s2
	s_wait_alu 0xfffe
	s_add_nc_u64 s[4:5], s[36:37], s[4:5]
	s_mul_i32 s2, s29, s2
	s_mul_hi_u32 s17, s29, s3
	s_wait_alu 0xfffe
	s_add_co_u32 s2, s4, s2
	s_add_co_ci_u32 s2, s5, s9
	s_add_co_ci_u32 s5, s17, 0
	s_mul_i32 s4, s29, s3
	s_mov_b32 s3, s8
	s_mov_b32 s39, s8
	s_wait_alu 0xfffe
	s_add_nc_u64 s[2:3], s[2:3], s[4:5]
	s_wait_alu 0xfffe
	s_add_co_u32 s2, s28, s2
	s_cselect_b32 s4, -1, 0
	s_wait_alu 0xfffe
	s_cmp_lg_u32 s4, 0
	s_add_co_ci_u32 s3, s29, s3
	s_wait_alu 0xfffe
	s_mul_u64 s[4:5], s[30:31], s[2:3]
	s_wait_alu 0xfffe
	s_mul_hi_u32 s37, s2, s5
	s_mul_i32 s36, s2, s5
	s_mul_hi_u32 s38, s2, s4
	s_mul_hi_u32 s9, s3, s4
	s_mul_i32 s4, s3, s4
	s_wait_alu 0xfffe
	s_add_nc_u64 s[36:37], s[38:39], s[36:37]
	s_mul_hi_u32 s17, s3, s5
	s_wait_alu 0xfffe
	s_add_co_u32 s4, s36, s4
	s_add_co_ci_u32 s4, s37, s9
	s_add_co_ci_u32 s37, s17, 0
	s_mul_i32 s36, s3, s5
	s_mov_b32 s5, s8
	s_wait_alu 0xfffe
	s_add_nc_u64 s[4:5], s[4:5], s[36:37]
	s_mov_b32 s37, s8
	s_wait_alu 0xfffe
	s_add_co_u32 s9, s2, s4
	s_cselect_b32 s2, -1, 0
	s_wait_alu 0xfffe
	s_cmp_lg_u32 s2, 0
	s_add_co_ci_u32 s17, s3, s5
	s_ashr_i32 s2, s1, 31
	s_wait_alu 0xfffe
	s_mov_b32 s3, s2
	s_wait_alu 0xfffe
	s_add_nc_u64 s[4:5], s[0:1], s[2:3]
	s_wait_alu 0xfffe
	s_xor_b64 s[4:5], s[4:5], s[2:3]
	s_wait_alu 0xfffe
	s_mul_hi_u32 s39, s4, s17
	s_mul_i32 s38, s4, s17
	s_mul_hi_u32 s36, s4, s9
	s_mul_i32 s21, s5, s9
	s_wait_alu 0xfffe
	s_add_nc_u64 s[36:37], s[36:37], s[38:39]
	s_mul_hi_u32 s9, s5, s9
	s_mul_hi_u32 s1, s5, s17
	s_wait_alu 0xfffe
	s_add_co_u32 s21, s36, s21
	s_add_co_ci_u32 s36, s37, s9
	s_add_co_ci_u32 s39, s1, 0
	s_mul_i32 s38, s5, s17
	s_mov_b32 s37, s8
	s_wait_alu 0xfffe
	s_add_nc_u64 s[36:37], s[36:37], s[38:39]
	s_wait_alu 0xfffe
	s_mul_u64 s[38:39], s[6:7], s[36:37]
	s_add_nc_u64 s[40:41], s[36:37], 1
	s_sub_co_u32 s1, s4, s38
	s_cselect_b32 s4, -1, 0
	s_sub_co_i32 s9, s5, s39
	s_wait_alu 0xfffe
	s_cmp_lg_u32 s4, 0
	s_add_nc_u64 s[42:43], s[36:37], 2
	s_sub_co_ci_u32 s9, s9, s7
	s_sub_co_u32 s17, s1, s6
	s_cselect_b32 s21, -1, 0
	s_delay_alu instid0(SALU_CYCLE_1)
	s_cmp_lg_u32 s21, 0
	s_wait_alu 0xfffe
	s_sub_co_ci_u32 s9, s9, 0
	s_wait_alu 0xfffe
	s_cmp_ge_u32 s9, s7
	s_cselect_b32 s21, -1, 0
	s_cmp_ge_u32 s17, s6
	s_cselect_b32 s17, -1, 0
	s_cmp_eq_u32 s9, s7
	s_wait_alu 0xfffe
	s_cselect_b32 s9, s17, s21
	s_wait_alu 0xfffe
	s_cmp_lg_u32 s9, 0
	s_cselect_b32 s9, s42, s40
	s_cselect_b32 s17, s43, s41
	s_cmp_lg_u32 s4, 0
	s_sub_co_ci_u32 s4, s5, s39
	s_wait_alu 0xfffe
	s_cmp_ge_u32 s4, s7
	s_cselect_b32 s5, -1, 0
	s_cmp_ge_u32 s1, s6
	s_cselect_b32 s1, -1, 0
	s_cmp_eq_u32 s4, s7
	s_wait_alu 0xfffe
	s_cselect_b32 s1, s1, s5
	s_wait_alu 0xfffe
	s_cmp_lg_u32 s1, 0
	s_cselect_b32 s5, s17, s37
	s_cselect_b32 s4, s9, s36
	s_xor_b64 s[2:3], s[2:3], 0
	s_wait_alu 0xfffe
	s_xor_b64 s[4:5], s[4:5], s[2:3]
	s_wait_alu 0xfffe
	s_sub_nc_u64 s[38:39], s[4:5], s[2:3]
	s_mov_b32 s2, 0
.LBB19_11:                              ;   in Loop: Header=BB19_9 Depth=1
	s_wait_alu 0xfffe
	s_and_not1_b32 vcc_lo, exec_lo, s2
	s_wait_alu 0xfffe
	s_cbranch_vccnz .LBB19_13
; %bb.12:                               ;   in Loop: Header=BB19_9 Depth=1
	v_readfirstlane_b32 s1, v4
	s_sub_co_i32 s2, 0, s16
	s_wait_alu 0xfffe
	s_mul_i32 s2, s2, s1
	s_wait_alu 0xfffe
	s_mul_hi_u32 s2, s1, s2
	s_wait_alu 0xfffe
	s_add_co_i32 s1, s1, s2
	s_wait_alu 0xfffe
	s_mul_hi_u32 s1, s0, s1
	s_wait_alu 0xfffe
	s_mul_i32 s2, s1, s16
	s_wait_alu 0xfffe
	s_sub_co_i32 s0, s0, s2
	s_add_co_i32 s2, s1, 1
	s_wait_alu 0xfffe
	s_sub_co_i32 s3, s0, s16
	s_cmp_ge_u32 s0, s16
	s_cselect_b32 s1, s2, s1
	s_wait_alu 0xfffe
	s_cselect_b32 s0, s3, s0
	s_add_co_i32 s2, s1, 1
	s_wait_alu 0xfffe
	s_cmp_ge_u32 s0, s16
	s_cselect_b32 s38, s2, s1
.LBB19_13:                              ;   in Loop: Header=BB19_9 Depth=1
	v_readfirstlane_b32 s9, v0
	s_cmp_lg_u32 s20, s38
	s_mov_b32 s0, -1
                                        ; implicit-def: $sgpr21
                                        ; implicit-def: $vgpr6
                                        ; implicit-def: $vgpr7
                                        ; implicit-def: $sgpr17
                                        ; implicit-def: $sgpr27
	s_cbranch_scc1 .LBB19_16
; %bb.14:                               ;   in Loop: Header=BB19_9 Depth=1
	s_wait_alu 0xfffe
	s_and_not1_b32 vcc_lo, exec_lo, s0
	s_wait_alu 0xfffe
	s_cbranch_vccz .LBB19_19
.LBB19_15:                              ;   in Loop: Header=BB19_9 Depth=1
	s_and_not1_b32 vcc_lo, exec_lo, s21
	s_wait_alu 0xfffe
	s_cbranch_vccnz .LBB19_20
	s_branch .LBB19_23
.LBB19_16:                              ;   in Loop: Header=BB19_9 Depth=1
	s_add_co_i32 s0, s34, s16
	s_mov_b32 s1, s8
	s_wait_alu 0xfffe
	s_lshl_b32 s0, s0, 3
	v_max_num_f32_e64 v6, s26, s26
	s_wait_alu 0xfffe
	s_add_co_i32 s0, s0, s15
	s_mov_b32 s39, s8
	s_wait_alu 0xfffe
	s_lshl_b64 s[0:1], s[0:1], 3
	s_mul_u64 s[40:41], s[38:39], s[22:23]
	s_wait_alu 0xfffe
	s_add_nc_u64 s[0:1], s[10:11], s[0:1]
	s_mov_b32 s27, s20
	s_load_b64 s[36:37], s[0:1], 0x0
	v_readfirstlane_b32 s0, v6
	s_wait_kmcnt 0x0
	v_max_num_f32_e64 v7, s36, s36
	s_delay_alu instid0(VALU_DEP_1) | instskip(SKIP_2) | instid1(SALU_CYCLE_2)
	v_readfirstlane_b32 s1, v7
	s_max_num_f32 s9, s0, s1
	s_wait_alu 0xfffe
	s_sub_f32 s33, s26, s9
	s_sub_f32 s35, s36, s9
	s_wait_alu 0xfffe
	s_delay_alu instid0(SALU_CYCLE_1)
	s_cmp_nlt_f32 s33, 0xc2ce8ed0
	s_cselect_b32 s0, -1, 0
	s_cmp_ngt_f32 s33, 0x42b17218
	s_cselect_b32 s1, -1, 0
	s_cmp_ge_f32 s33, 0xc1a00000
	s_cselect_b32 s2, -1, 0
	s_cmp_nlt_f32 s35, 0xc2ce8ed0
	s_cselect_b32 s3, -1, 0
	s_cmp_ngt_f32 s35, 0x42b17218
	s_cselect_b32 s4, -1, 0
	s_cmp_ge_f32 s35, 0xc1a00000
	s_cselect_b32 s5, -1, 0
	s_add_co_i32 s17, s41, s38
	s_wait_alu 0xfffe
	s_lshr_b32 s17, s17, s13
	s_wait_alu 0xfffe
	s_mul_i32 s21, s17, s14
	s_delay_alu instid0(SALU_CYCLE_1)
	s_cmp_eq_u32 s21, s38
	s_cselect_b32 s21, -1, 0
	s_cmp_lt_u32 s17, s12
	s_cselect_b32 s17, -1, 0
	s_wait_alu 0xfffe
	s_or_b32 s17, s17, s21
	s_mov_b32 s21, -1
	s_wait_alu 0xfffe
	s_and_b32 vcc_lo, exec_lo, s17
	s_mov_b32 s17, s34
	s_wait_alu 0xfffe
	s_cbranch_vccnz .LBB19_18
; %bb.17:                               ;   in Loop: Header=BB19_9 Depth=1
	s_add_co_i32 s17, s34, -1
	s_mov_b32 s21, 0
	s_mov_b32 s27, s38
.LBB19_18:                              ;   in Loop: Header=BB19_9 Depth=1
	v_lshl_add_u32 v6, s34, 12, v0
	s_mul_f32 s36, s35, 0x3fb8aa3b
	s_mul_f32 s38, s33, 0x3fb8aa3b
	s_wait_alu 0xfffe
	s_delay_alu instid0(SALU_CYCLE_1)
	s_xor_b32 s39, s36, 0x80000000
	v_ashrrev_i32_e32 v7, 31, v6
	s_rndne_f32 s40, s36
	s_fmamk_f32 s39, s35, 0x3fb8aa3b, s39
	s_xor_b32 s41, s38, 0x80000000
	s_rndne_f32 s42, s38
	v_lshlrev_b64_e32 v[6:7], 2, v[6:7]
	s_sub_f32 s36, s36, s40
	s_fmamk_f32 s35, s35, 0x32a5705f, s39
	s_fmamk_f32 s39, s33, 0x3fb8aa3b, s41
	s_sub_f32 s38, s38, s42
	s_delay_alu instid0(VALU_DEP_1)
	v_add_co_u32 v6, vcc_lo, s24, v6
	s_wait_alu 0xfffd
	v_add_co_ci_u32_e64 v7, null, s25, v7, vcc_lo
	s_wait_alu 0xfffe
	s_add_f32 s35, s36, s35
	s_fmamk_f32 s33, s33, 0x32a5705f, s39
	s_cvt_i32_f32 s36, s40
	global_load_b32 v6, v[6:7], off
	s_wait_alu 0xfffe
	v_s_exp_f32 s35, s35
	s_add_f32 s33, s38, s33
	s_wait_alu 0xfffe
	s_delay_alu instid0(SALU_CYCLE_2) | instskip(NEXT) | instid1(TRANS32_DEP_2)
	v_s_exp_f32 s33, s33
	v_ldexp_f32 v7, s35, s36
	s_cvt_i32_f32 s35, s42
	s_wait_alu 0xf1fe
	s_delay_alu instid0(TRANS32_DEP_1) | instid1(SALU_CYCLE_2)
	v_ldexp_f32 v8, s33, s35
	s_delay_alu instid0(VALU_DEP_2) | instskip(NEXT) | instid1(VALU_DEP_2)
	v_cndmask_b32_e64 v7, 0, v7, s3
	v_cndmask_b32_e64 v8, 0, v8, s0
	s_delay_alu instid0(VALU_DEP_2) | instskip(NEXT) | instid1(VALU_DEP_2)
	v_cndmask_b32_e64 v7, 0x7f800000, v7, s4
	v_cndmask_b32_e64 v8, 0x7f800000, v8, s1
	;; [unrolled: 3-line block ×3, first 2 shown]
	s_wait_loadcnt 0x0
	s_delay_alu instid0(VALU_DEP_2) | instskip(SKIP_1) | instid1(VALU_DEP_1)
	v_mul_f32_e32 v6, v6, v7
	v_mul_f32_e32 v7, s37, v7
	v_fmac_f32_e32 v7, v5, v8
	s_delay_alu instid0(VALU_DEP_3)
	v_fmac_f32_e32 v6, v3, v8
	s_cbranch_execnz .LBB19_15
.LBB19_19:                              ;   in Loop: Header=BB19_9 Depth=1
	s_wait_loadcnt 0x0
	v_dual_mov_b32 v7, v5 :: v_dual_mov_b32 v6, v3
	s_add_co_i32 s17, s34, -1
	s_mov_b32 s27, s20
	s_mov_b32 s9, s26
	s_cbranch_execz .LBB19_23
.LBB19_20:                              ;   in Loop: Header=BB19_9 Depth=1
	v_mov_b32_e32 v5, v7
	s_wait_loadcnt 0x0
	v_mov_b32_e32 v3, v6
	s_wait_alu 0xfffe
	s_mov_b32 s20, s27
	s_mov_b32 s34, s17
	;; [unrolled: 1-line block ×3, first 2 shown]
	s_branch .LBB19_9
.LBB19_21:
                                        ; implicit-def: $sgpr20_sgpr21
	s_branch .LBB19_2
.LBB19_22:
                                        ; implicit-def: $sgpr10_sgpr11
	s_load_b96 s[12:14], s[0:1], 0x44
	s_branch .LBB19_5
.LBB19_23:
	v_div_scale_f32 v0, null, v7, v7, v6
	s_wait_loadcnt 0x0
	s_delay_alu instid0(VALU_DEP_1) | instskip(NEXT) | instid1(TRANS32_DEP_1)
	v_rcp_f32_e32 v3, v0
	v_fma_f32 v4, -v0, v3, 1.0
	s_delay_alu instid0(VALU_DEP_1) | instskip(SKIP_1) | instid1(VALU_DEP_1)
	v_fmac_f32_e32 v3, v4, v3
	v_div_scale_f32 v4, vcc_lo, v6, v7, v6
	v_mul_f32_e32 v5, v4, v3
	s_delay_alu instid0(VALU_DEP_1) | instskip(NEXT) | instid1(VALU_DEP_1)
	v_fma_f32 v8, -v0, v5, v4
	v_fmac_f32_e32 v5, v8, v3
	s_delay_alu instid0(VALU_DEP_1) | instskip(SKIP_1) | instid1(VALU_DEP_1)
	v_fma_f32 v0, -v0, v5, v4
	s_wait_alu 0xfffd
	v_div_fmas_f32 v0, v0, v3, v5
	s_delay_alu instid0(VALU_DEP_1)
	v_div_fixup_f32 v0, v0, v7, v6
	global_store_b32 v[1:2], v0, off
.LBB19_24:
	s_endpgm
	.section	.rodata,"a",@progbits
	.p2align	6, 0x0
	.amdhsa_kernel _ZL33flash_attn_stream_k_fixup_generalILi512ELi2ELi4EEvPfPK15HIP_vector_typeIfLj2EEiiiiS1_IjLj3EES5_S5_S5_
		.amdhsa_group_segment_fixed_size 0
		.amdhsa_private_segment_fixed_size 0
		.amdhsa_kernarg_size 336
		.amdhsa_user_sgpr_count 2
		.amdhsa_user_sgpr_dispatch_ptr 0
		.amdhsa_user_sgpr_queue_ptr 0
		.amdhsa_user_sgpr_kernarg_segment_ptr 1
		.amdhsa_user_sgpr_dispatch_id 0
		.amdhsa_user_sgpr_private_segment_size 0
		.amdhsa_wavefront_size32 1
		.amdhsa_uses_dynamic_stack 0
		.amdhsa_enable_private_segment 0
		.amdhsa_system_sgpr_workgroup_id_x 1
		.amdhsa_system_sgpr_workgroup_id_y 1
		.amdhsa_system_sgpr_workgroup_id_z 1
		.amdhsa_system_sgpr_workgroup_info 0
		.amdhsa_system_vgpr_workitem_id 0
		.amdhsa_next_free_vgpr 9
		.amdhsa_next_free_sgpr 44
		.amdhsa_reserve_vcc 1
		.amdhsa_float_round_mode_32 0
		.amdhsa_float_round_mode_16_64 0
		.amdhsa_float_denorm_mode_32 3
		.amdhsa_float_denorm_mode_16_64 3
		.amdhsa_fp16_overflow 0
		.amdhsa_workgroup_processor_mode 1
		.amdhsa_memory_ordered 1
		.amdhsa_forward_progress 1
		.amdhsa_inst_pref_size 28
		.amdhsa_round_robin_scheduling 0
		.amdhsa_exception_fp_ieee_invalid_op 0
		.amdhsa_exception_fp_denorm_src 0
		.amdhsa_exception_fp_ieee_div_zero 0
		.amdhsa_exception_fp_ieee_overflow 0
		.amdhsa_exception_fp_ieee_underflow 0
		.amdhsa_exception_fp_ieee_inexact 0
		.amdhsa_exception_int_div_zero 0
	.end_amdhsa_kernel
	.section	.text._ZL33flash_attn_stream_k_fixup_generalILi512ELi2ELi4EEvPfPK15HIP_vector_typeIfLj2EEiiiiS1_IjLj3EES5_S5_S5_,"axG",@progbits,_ZL33flash_attn_stream_k_fixup_generalILi512ELi2ELi4EEvPfPK15HIP_vector_typeIfLj2EEiiiiS1_IjLj3EES5_S5_S5_,comdat
.Lfunc_end19:
	.size	_ZL33flash_attn_stream_k_fixup_generalILi512ELi2ELi4EEvPfPK15HIP_vector_typeIfLj2EEiiiiS1_IjLj3EES5_S5_S5_, .Lfunc_end19-_ZL33flash_attn_stream_k_fixup_generalILi512ELi2ELi4EEvPfPK15HIP_vector_typeIfLj2EEiiiiS1_IjLj3EES5_S5_S5_
                                        ; -- End function
	.set _ZL33flash_attn_stream_k_fixup_generalILi512ELi2ELi4EEvPfPK15HIP_vector_typeIfLj2EEiiiiS1_IjLj3EES5_S5_S5_.num_vgpr, 9
	.set _ZL33flash_attn_stream_k_fixup_generalILi512ELi2ELi4EEvPfPK15HIP_vector_typeIfLj2EEiiiiS1_IjLj3EES5_S5_S5_.num_agpr, 0
	.set _ZL33flash_attn_stream_k_fixup_generalILi512ELi2ELi4EEvPfPK15HIP_vector_typeIfLj2EEiiiiS1_IjLj3EES5_S5_S5_.numbered_sgpr, 44
	.set _ZL33flash_attn_stream_k_fixup_generalILi512ELi2ELi4EEvPfPK15HIP_vector_typeIfLj2EEiiiiS1_IjLj3EES5_S5_S5_.num_named_barrier, 0
	.set _ZL33flash_attn_stream_k_fixup_generalILi512ELi2ELi4EEvPfPK15HIP_vector_typeIfLj2EEiiiiS1_IjLj3EES5_S5_S5_.private_seg_size, 0
	.set _ZL33flash_attn_stream_k_fixup_generalILi512ELi2ELi4EEvPfPK15HIP_vector_typeIfLj2EEiiiiS1_IjLj3EES5_S5_S5_.uses_vcc, 1
	.set _ZL33flash_attn_stream_k_fixup_generalILi512ELi2ELi4EEvPfPK15HIP_vector_typeIfLj2EEiiiiS1_IjLj3EES5_S5_S5_.uses_flat_scratch, 0
	.set _ZL33flash_attn_stream_k_fixup_generalILi512ELi2ELi4EEvPfPK15HIP_vector_typeIfLj2EEiiiiS1_IjLj3EES5_S5_S5_.has_dyn_sized_stack, 0
	.set _ZL33flash_attn_stream_k_fixup_generalILi512ELi2ELi4EEvPfPK15HIP_vector_typeIfLj2EEiiiiS1_IjLj3EES5_S5_S5_.has_recursion, 0
	.set _ZL33flash_attn_stream_k_fixup_generalILi512ELi2ELi4EEvPfPK15HIP_vector_typeIfLj2EEiiiiS1_IjLj3EES5_S5_S5_.has_indirect_call, 0
	.section	.AMDGPU.csdata,"",@progbits
; Kernel info:
; codeLenInByte = 3548
; TotalNumSgprs: 46
; NumVgprs: 9
; ScratchSize: 0
; MemoryBound: 0
; FloatMode: 240
; IeeeMode: 1
; LDSByteSize: 0 bytes/workgroup (compile time only)
; SGPRBlocks: 0
; VGPRBlocks: 1
; NumSGPRsForWavesPerEU: 46
; NumVGPRsForWavesPerEU: 9
; Occupancy: 16
; WaveLimiterHint : 0
; COMPUTE_PGM_RSRC2:SCRATCH_EN: 0
; COMPUTE_PGM_RSRC2:USER_SGPR: 2
; COMPUTE_PGM_RSRC2:TRAP_HANDLER: 0
; COMPUTE_PGM_RSRC2:TGID_X_EN: 1
; COMPUTE_PGM_RSRC2:TGID_Y_EN: 1
; COMPUTE_PGM_RSRC2:TGID_Z_EN: 1
; COMPUTE_PGM_RSRC2:TIDIG_COMP_CNT: 0
	.section	.text._ZL15flash_attn_tileILi576ELi512ELi1ELi4ELb0EEvPKcS1_S1_S1_S1_PKiPfP15HIP_vector_typeIfLj2EEffffjfiS5_IjLj3EEiiiiiiiiiiiliiliiiiil,"axG",@progbits,_ZL15flash_attn_tileILi576ELi512ELi1ELi4ELb0EEvPKcS1_S1_S1_S1_PKiPfP15HIP_vector_typeIfLj2EEffffjfiS5_IjLj3EEiiiiiiiiiiiliiliiiiil,comdat
	.globl	_ZL15flash_attn_tileILi576ELi512ELi1ELi4ELb0EEvPKcS1_S1_S1_S1_PKiPfP15HIP_vector_typeIfLj2EEffffjfiS5_IjLj3EEiiiiiiiiiiiliiliiiiil ; -- Begin function _ZL15flash_attn_tileILi576ELi512ELi1ELi4ELb0EEvPKcS1_S1_S1_S1_PKiPfP15HIP_vector_typeIfLj2EEffffjfiS5_IjLj3EEiiiiiiiiiiiliiliiiiil
	.p2align	8
	.type	_ZL15flash_attn_tileILi576ELi512ELi1ELi4ELb0EEvPKcS1_S1_S1_S1_PKiPfP15HIP_vector_typeIfLj2EEffffjfiS5_IjLj3EEiiiiiiiiiiiliiliiiiil,@function
_ZL15flash_attn_tileILi576ELi512ELi1ELi4ELb0EEvPKcS1_S1_S1_S1_PKiPfP15HIP_vector_typeIfLj2EEffffjfiS5_IjLj3EEiiiiiiiiiiiliiliiiiil: ; @_ZL15flash_attn_tileILi576ELi512ELi1ELi4ELb0EEvPKcS1_S1_S1_S1_PKiPfP15HIP_vector_typeIfLj2EEffffjfiS5_IjLj3EEiiiiiiiiiiiliiliiiiil
; %bb.0:
	s_clause 0x1
	s_load_b128 s[20:23], s[0:1], 0x5c
	s_load_b64 s[30:31], s[0:1], 0x80
	s_lshr_b32 s5, ttmp7, 16
	s_load_b64 s[36:37], s[0:1], 0xb8
	s_mov_b64 s[34:35], 0
	s_wait_kmcnt 0x0
	s_ashr_i32 s2, s23, 31
	s_delay_alu instid0(SALU_CYCLE_1) | instskip(NEXT) | instid1(SALU_CYCLE_1)
	s_lshr_b32 s2, s2, 30
	s_add_co_i32 s2, s23, s2
	s_delay_alu instid0(SALU_CYCLE_1) | instskip(NEXT) | instid1(SALU_CYCLE_1)
	s_ashr_i32 s2, s2, 2
	s_cvt_f32_u32 s3, s2
	s_sub_co_i32 s4, 0, s2
	s_delay_alu instid0(SALU_CYCLE_2) | instskip(NEXT) | instid1(TRANS32_DEP_1)
	v_rcp_iflag_f32_e32 v1, s3
	v_readfirstlane_b32 s3, v1
	s_mul_f32 s3, s3, 0x4f7ffffe
	s_wait_alu 0xfffe
	s_delay_alu instid0(SALU_CYCLE_2) | instskip(SKIP_1) | instid1(SALU_CYCLE_2)
	s_cvt_u32_f32 s3, s3
	s_wait_alu 0xfffe
	s_mul_i32 s4, s4, s3
	s_delay_alu instid0(SALU_CYCLE_1) | instskip(NEXT) | instid1(SALU_CYCLE_1)
	s_mul_hi_u32 s4, s3, s4
	s_add_co_i32 s3, s3, s4
	s_wait_alu 0xfffe
	s_mul_hi_u32 s3, s5, s3
	s_wait_alu 0xfffe
	s_mul_i32 s4, s3, s2
	s_add_co_i32 s6, s3, 1
	s_sub_co_i32 s4, s5, s4
	s_delay_alu instid0(SALU_CYCLE_1)
	s_sub_co_i32 s7, s4, s2
	s_cmp_ge_u32 s4, s2
	s_cselect_b32 s3, s6, s3
	s_cselect_b32 s4, s7, s4
	s_wait_alu 0xfffe
	s_add_co_i32 s6, s3, 1
	s_cmp_ge_u32 s4, s2
	s_cselect_b32 s28, s6, s3
	s_abs_i32 s2, s31
	s_abs_i32 s7, s23
	s_wait_alu 0xfffe
	s_cvt_f32_u32 s3, s2
	s_sub_co_i32 s4, 0, s2
	s_lshl_b32 s5, s5, 2
	s_mul_i32 s6, s28, s23
	s_wait_alu 0xfffe
	v_rcp_iflag_f32_e32 v1, s3
	s_sub_co_i32 s33, s5, s6
	s_delay_alu instid0(TRANS32_DEP_1) | instskip(SKIP_2) | instid1(SALU_CYCLE_2)
	v_readfirstlane_b32 s3, v1
	s_mul_f32 s3, s3, 0x4f7ffffe
	s_wait_alu 0xfffe
	s_cvt_u32_f32 s3, s3
	s_wait_alu 0xfffe
	s_delay_alu instid0(SALU_CYCLE_2) | instskip(NEXT) | instid1(SALU_CYCLE_1)
	s_mul_i32 s4, s4, s3
	s_mul_hi_u32 s4, s3, s4
	s_delay_alu instid0(SALU_CYCLE_1)
	s_add_co_i32 s3, s3, s4
	s_xor_b32 s4, s23, s31
	s_wait_alu 0xfffe
	s_mul_hi_u32 s3, s7, s3
	s_ashr_i32 s24, s4, 31
	s_wait_alu 0xfffe
	s_mul_i32 s5, s3, s2
	s_delay_alu instid0(SALU_CYCLE_1)
	s_sub_co_i32 s4, s7, s5
	s_add_co_i32 s5, s3, 1
	s_sub_co_i32 s6, s4, s2
	s_cmp_ge_u32 s4, s2
	s_cselect_b32 s3, s5, s3
	s_cselect_b32 s4, s6, s4
	s_wait_alu 0xfffe
	s_add_co_i32 s5, s3, 1
	s_cmp_ge_u32 s4, s2
	s_cselect_b32 s2, s5, s3
	s_load_b512 s[4:19], s[0:1], 0x0
	s_xor_b32 s2, s2, s24
	s_mov_b32 s3, 0
	s_wait_alu 0xfffe
	s_sub_co_i32 s38, s2, s24
	s_delay_alu instid0(SALU_CYCLE_1) | instskip(NEXT) | instid1(SALU_CYCLE_1)
	s_abs_i32 s31, s38
	s_cvt_f32_u32 s2, s31
	s_wait_alu 0xfffe
	s_delay_alu instid0(SALU_CYCLE_2) | instskip(SKIP_2) | instid1(TRANS32_DEP_1)
	v_rcp_iflag_f32_e32 v1, s2
	s_wait_kmcnt 0x0
	s_cmp_eq_u64 s[10:11], 0
	v_readfirstlane_b32 s2, v1
	s_cbranch_scc1 .LBB20_2
; %bb.1:
	s_abs_i32 s26, s36
	s_delay_alu instid0(SALU_CYCLE_1) | instskip(NEXT) | instid1(SALU_CYCLE_3)
	s_cvt_f32_u32 s24, s26
	v_rcp_iflag_f32_e32 v1, s24
	s_delay_alu instid0(TRANS32_DEP_1) | instskip(SKIP_2) | instid1(SALU_CYCLE_2)
	v_readfirstlane_b32 s24, v1
	s_mul_f32 s24, s24, 0x4f7ffffe
	s_wait_alu 0xfffe
	s_cvt_u32_f32 s27, s24
	s_sub_co_i32 s24, 0, s26
	s_wait_alu 0xfffe
	s_delay_alu instid0(SALU_CYCLE_1) | instskip(SKIP_4) | instid1(SALU_CYCLE_1)
	s_mul_i32 s24, s24, s27
	s_wait_alu 0xfffe
	s_mul_hi_u32 s29, s27, s24
	s_load_b64 s[24:25], s[0:1], 0xc8
	s_add_co_i32 s27, s27, s29
	s_mul_hi_u32 s27, s28, s27
	s_delay_alu instid0(SALU_CYCLE_1) | instskip(NEXT) | instid1(SALU_CYCLE_1)
	s_mul_i32 s27, s27, s26
	s_sub_co_i32 s27, s28, s27
	s_delay_alu instid0(SALU_CYCLE_1) | instskip(SKIP_2) | instid1(SALU_CYCLE_1)
	s_sub_co_i32 s29, s27, s26
	s_cmp_ge_u32 s27, s26
	s_cselect_b32 s27, s29, s27
	s_sub_co_i32 s29, s27, s26
	s_cmp_ge_u32 s27, s26
	s_cselect_b32 s26, s29, s27
	s_delay_alu instid0(SALU_CYCLE_1)
	s_ashr_i32 s27, s26, 31
	s_wait_kmcnt 0x0
	s_mul_u64 s[24:25], s[24:25], s[26:27]
	s_wait_alu 0xfffe
	s_add_nc_u64 s[34:35], s[10:11], s[24:25]
.LBB20_2:
	v_lshrrev_b32_e32 v1, 10, v0
	s_load_b96 s[24:26], s[0:1], 0x70
	v_bfe_u32 v31, v0, 10, 2
	s_delay_alu instid0(VALU_DEP_2) | instskip(NEXT) | instid1(VALU_DEP_1)
	v_bfe_u32 v1, v1, 2, 8
	v_add_nc_u32_e32 v1, ttmp9, v1
	s_delay_alu instid0(VALU_DEP_1) | instskip(SKIP_3) | instid1(VALU_DEP_1)
	v_mul_hi_u32 v2, s20, v1
	s_wait_kmcnt 0x0
	s_mov_b32 s20, s25
	s_mul_i32 s10, s33, s25
	v_add_nc_u32_e32 v2, v1, v2
	s_delay_alu instid0(VALU_DEP_1)
	v_lshrrev_b32_e32 v2, s21, v2
	s_ashr_i32 s21, s25, 31
	s_ashr_i32 s25, s24, 31
	s_wait_alu 0xfffe
	s_lshr_b64 s[40:41], s[20:21], 2
	s_lshr_b32 s11, s21, 2
	v_mul_lo_u32 v2, v2, s22
	s_mul_i32 s20, s28, s26
	s_wait_alu 0xfffe
	s_ashr_i32 s21, s20, 31
	s_wait_alu 0xfffe
	s_add_nc_u64 s[4:5], s[4:5], s[20:21]
	s_delay_alu instid0(VALU_DEP_1) | instskip(SKIP_4) | instid1(VALU_DEP_1)
	v_sub_nc_u32_e32 v5, v1, v2
	v_mad_co_u64_u32 v[2:3], null, s40, v31, 0
	s_lshr_b64 s[40:41], s[24:25], 2
	s_wait_alu 0xfffe
	v_mad_co_u64_u32 v[6:7], null, s40, v5, 0
	v_mov_b32_e32 v4, v7
	s_delay_alu instid0(VALU_DEP_1)
	v_mad_co_u64_u32 v[7:8], null, s11, v31, v[3:4]
	s_lshr_b32 s11, s25, 2
	s_wait_alu 0xfffe
	v_mad_co_u64_u32 v[8:9], null, s11, v5, v[4:5]
	s_ashr_i32 s11, s10, 31
	s_wait_alu 0xfffe
	s_add_nc_u64 s[4:5], s[4:5], s[10:11]
	v_mov_b32_e32 v3, v7
	v_mov_b32_e32 v7, v8
	s_delay_alu instid0(VALU_DEP_2) | instskip(SKIP_1) | instid1(VALU_DEP_3)
	v_lshlrev_b64_e32 v[3:4], 2, v[2:3]
	v_and_b32_e32 v2, 0x3ff, v0
	v_lshlrev_b64_e32 v[6:7], 2, v[6:7]
	s_delay_alu instid0(VALU_DEP_2) | instskip(NEXT) | instid1(VALU_DEP_4)
	v_lshlrev_b32_e32 v8, 4, v2
	v_add_co_u32 v3, vcc_lo, s4, v3
	s_delay_alu instid0(VALU_DEP_1)
	v_add_co_ci_u32_e64 v4, null, s5, v4, vcc_lo
	s_load_b32 s4, s[0:1], 0x40
	v_add_co_u32 v3, vcc_lo, v3, v6
	s_wait_alu 0xfffd
	v_add_co_ci_u32_e64 v4, null, v4, v7, vcc_lo
	v_bfe_u32 v6, v0, 10, 10
	s_delay_alu instid0(VALU_DEP_3) | instskip(SKIP_1) | instid1(VALU_DEP_3)
	v_add_co_u32 v3, vcc_lo, v3, v8
	s_wait_alu 0xfffd
	v_add_co_ci_u32_e64 v4, null, 0, v4, vcc_lo
	s_movk_i32 s5, 0x480
	s_clause 0x3
	global_load_b128 v[8:11], v[3:4], off
	global_load_b128 v[12:15], v[3:4], off offset:512
	global_load_b128 v[16:19], v[3:4], off offset:1024
	;; [unrolled: 1-line block ×3, first 2 shown]
	s_wait_alu 0xfffe
	v_mad_u32_u24 v0, v6, s5, 0x2400
	v_lshlrev_b32_e32 v32, 3, v2
	s_mov_b32 s5, exec_lo
	s_delay_alu instid0(VALU_DEP_1)
	v_add_nc_u32_e32 v7, v0, v32
	s_wait_loadcnt 0x3
	s_wait_kmcnt 0x0
	v_fma_mixlo_f16 v8, s4, v8, 0
	v_fma_mixlo_f16 v9, s4, v9, 0
	;; [unrolled: 1-line block ×4, first 2 shown]
	s_wait_loadcnt 0x2
	v_fma_mixlo_f16 v12, s4, v12, 0
	v_fma_mixlo_f16 v13, s4, v13, 0
	;; [unrolled: 1-line block ×4, first 2 shown]
	s_wait_loadcnt 0x1
	v_fma_mixlo_f16 v16, s4, v16, 0
	v_fma_mixlo_f16 v17, s4, v17, 0
	s_wait_loadcnt 0x0
	v_fma_mixlo_f16 v20, s4, v20, 0
	v_fma_mixlo_f16 v21, s4, v21, 0
	v_lshlrev_b32_e32 v9, 16, v9
	v_and_b32_e32 v8, 0xffff, v8
	v_lshlrev_b32_e32 v11, 16, v11
	v_and_b32_e32 v10, 0xffff, v10
	v_lshlrev_b32_e32 v13, 16, v13
	v_and_b32_e32 v12, 0xffff, v12
	v_fma_mixlo_f16 v18, s4, v18, 0
	v_fma_mixlo_f16 v19, s4, v19, 0
	;; [unrolled: 1-line block ×4, first 2 shown]
	v_lshlrev_b32_e32 v15, 16, v15
	v_and_b32_e32 v14, 0xffff, v14
	v_lshlrev_b32_e32 v17, 16, v17
	v_and_b32_e32 v16, 0xffff, v16
	;; [unrolled: 2-line block ×3, first 2 shown]
	v_or_b32_e32 v8, v9, v8
	v_or3_b32 v9, v11, v10, 0
	v_or_b32_e32 v10, v13, v12
	v_lshlrev_b32_e32 v19, 16, v19
	v_and_b32_e32 v18, 0xffff, v18
	v_lshlrev_b32_e32 v23, 16, v23
	v_and_b32_e32 v22, 0xffff, v22
	v_or3_b32 v11, v15, v14, 0
	v_or_b32_e32 v12, v17, v16
	v_or_b32_e32 v14, v21, v20
	v_or3_b32 v8, 0, 0, v8
	v_or3_b32 v10, 0, 0, v10
	;; [unrolled: 1-line block ×6, first 2 shown]
	ds_store_2addr_b64 v7, v[8:9], v[10:11] offset1:32
	ds_store_2addr_b64 v7, v[12:13], v[14:15] offset0:64 offset1:96
	v_cmpx_gt_u32_e32 16, v2
	s_cbranch_execz .LBB20_4
; %bb.3:
	global_load_b128 v[8:11], v[3:4], off offset:2048
	s_wait_loadcnt 0x0
	v_fma_mixlo_f16 v3, s4, v9, 0
	v_fma_mixlo_f16 v4, s4, v8, 0
	;; [unrolled: 1-line block ×4, first 2 shown]
	s_delay_alu instid0(VALU_DEP_4) | instskip(NEXT) | instid1(VALU_DEP_4)
	v_lshlrev_b32_e32 v3, 16, v3
	v_and_b32_e32 v4, 0xffff, v4
	s_delay_alu instid0(VALU_DEP_4) | instskip(NEXT) | instid1(VALU_DEP_4)
	v_and_b32_e32 v8, 0xffff, v8
	v_lshlrev_b32_e32 v9, 16, v9
	s_delay_alu instid0(VALU_DEP_3) | instskip(NEXT) | instid1(VALU_DEP_2)
	v_or_b32_e32 v3, v3, v4
	v_or3_b32 v4, v9, v8, 0
	s_delay_alu instid0(VALU_DEP_2)
	v_or3_b32 v3, 0, 0, v3
	ds_store_b64 v7, v[3:4] offset:1024
.LBB20_4:
	s_wait_alu 0xfffe
	s_or_b32 exec_lo, exec_lo, s5
	s_cmp_eq_u64 s[14:15], 0
	s_wait_dscnt 0x0
	s_barrier_signal -1
	s_barrier_wait -1
	global_inv scope:SCOPE_SE
	s_cbranch_scc1 .LBB20_6
; %bb.5:
	s_load_b32 s4, s[0:1], 0xd0
	s_mov_b32 s5, 0
	s_wait_kmcnt 0x0
	s_mul_i32 s4, s4, s28
	s_wait_alu 0xfffe
	s_add_co_i32 s4, s4, ttmp9
	s_wait_alu 0xfffe
	s_lshl_b64 s[4:5], s[4:5], 2
	s_wait_alu 0xfffe
	s_add_nc_u64 s[4:5], s[14:15], s[4:5]
	s_load_b32 s30, s[4:5], 0x0
.LBB20_6:
	s_and_b32 s4, ttmp7, 0xffff
	v_lshlrev_b32_e32 v30, 2, v2
	v_mbcnt_lo_u32_b32 v33, -1, 0
	s_wait_alu 0xfffe
	s_lshl_b32 s10, s4, 6
	s_wait_kmcnt 0x0
	s_wait_alu 0xfffe
	s_cmp_lt_i32 s10, s30
	s_cbranch_scc1 .LBB20_9
; %bb.7:
	v_mbcnt_lo_u32_b32 v4, -1, 0
	v_mov_b32_e32 v3, 32
	s_delay_alu instid0(VALU_DEP_2)
	v_xor_b32_e32 v38, 16, v4
	v_xor_b32_e32 v37, 8, v4
	;; [unrolled: 1-line block ×5, first 2 shown]
	s_mov_b32 s29, 0
	s_cbranch_execz .LBB20_10
; %bb.8:
	v_dual_mov_b32 v60, 0 :: v_dual_mov_b32 v39, 0
	v_dual_mov_b32 v16, 0xfeffffff :: v_dual_mov_b32 v61, 0
	;; [unrolled: 1-line block ×5, first 2 shown]
	s_branch .LBB20_13
.LBB20_9:
                                        ; implicit-def: $vgpr4
                                        ; implicit-def: $vgpr3
                                        ; implicit-def: $vgpr38
                                        ; implicit-def: $vgpr37
                                        ; implicit-def: $vgpr36
                                        ; implicit-def: $vgpr35
                                        ; implicit-def: $vgpr34
	s_mov_b32 s29, 0
.LBB20_10:
	s_mul_f32 s2, s2, 0x4f7ffffe
	s_clause 0x1
	s_load_b128 s[24:27], s[0:1], 0x98
	s_load_b64 s[20:21], s[0:1], 0x8c
	s_sub_co_i32 s11, 0, s31
	s_mov_b32 s15, s3
	s_cvt_u32_f32 s5, s2
	s_abs_i32 s2, s33
	v_lshrrev_b32_e32 v3, 3, v2
	s_ashr_i32 s36, s33, 31
	s_wait_alu 0xfffe
	s_mul_i32 s11, s11, s5
	s_ashr_i32 s40, s38, 31
	s_wait_alu 0xfffe
	s_mul_hi_u32 s11, s5, s11
	s_load_b64 s[38:39], s[0:1], 0xa8
	s_add_co_i32 s14, s5, s11
	s_ashr_i32 s5, s37, 1
	s_mul_u64 s[14:15], s[2:3], s[14:15]
	s_xor_b32 s11, s36, s40
	s_mul_i32 s3, s15, s31
	s_add_co_i32 s36, s15, 1
	s_wait_alu 0xfffe
	s_sub_co_i32 s2, s2, s3
	v_lshl_add_u32 v3, v6, 2, v3
	s_wait_kmcnt 0x0
	s_ashr_i32 s14, s26, 2
	s_ashr_i32 s20, s20, 2
	s_wait_alu 0xfffe
	s_sub_co_i32 s3, s2, s31
	s_cmp_ge_u32 s2, s31
	v_mul_lo_u32 v7, s20, v3
	s_cselect_b32 s15, s36, s15
	s_wait_alu 0xfffe
	s_cselect_b32 s2, s3, s2
	s_add_co_i32 s3, s15, 1
	s_wait_alu 0xfffe
	s_cmp_ge_u32 s2, s31
	v_mul_lo_u32 v17, s14, v6
	s_cselect_b32 s15, s3, s15
	s_mul_u64 s[2:3], s[24:25], s[28:29]
	s_wait_alu 0xfffe
	s_xor_b32 s15, s15, s11
	s_add_nc_u64 s[2:3], s[6:7], s[2:3]
	s_wait_alu 0xfffe
	s_sub_co_i32 s11, s15, s11
	s_lshl_b32 s15, s20, 4
	s_wait_alu 0xfffe
	s_mul_i32 s36, s11, s21
	v_dual_mov_b32 v16, 0xfeffffff :: v_dual_add_nc_u32 v9, s15, v7
	s_ashr_i32 s37, s36, 31
	s_mul_u64 s[24:25], s[38:39], s[28:29]
	s_add_nc_u64 s[6:7], s[2:3], s[36:37]
	s_mul_i32 s2, s11, s27
	v_dual_mov_b32 v58, 0 :: v_dual_add_nc_u32 v11, s15, v9
	v_dual_mov_b32 v56, 0 :: v_dual_and_b32 v15, 28, v30
	s_wait_alu 0xfffe
	s_add_nc_u64 s[8:9], s[8:9], s[24:25]
	s_ashr_i32 s3, s2, 31
	v_dual_mov_b32 v60, 0 :: v_dual_add_nc_u32 v13, s15, v11
	s_wait_alu 0xfffe
	s_add_nc_u64 s[8:9], s[8:9], s[2:3]
	s_and_b32 s2, s26, -4
	v_dual_mov_b32 v57, 0 :: v_dual_lshlrev_b32 v4, 2, v15
	s_wait_alu 0xfffe
	v_add_nc_u32_e32 v19, s2, v17
	v_dual_mov_b32 v63, 0 :: v_dual_lshlrev_b32 v44, 2, v30
	v_ashrrev_i32_e32 v8, 31, v7
	v_ashrrev_i32_e32 v10, 31, v9
	;; [unrolled: 1-line block ×6, first 2 shown]
	v_mad_u32_u24 v40, 0x90, v3, v4
	v_lshl_add_u32 v46, v6, 7, 0x3600
	v_lshl_add_u32 v47, v6, 10, v44
	v_mad_co_u64_u32 v[3:4], null, v5, s5, v[2:3]
	v_lshlrev_b64_e32 v[4:5], 2, v[7:8]
	v_dual_mov_b32 v39, 0 :: v_dual_lshlrev_b32 v52, 2, v15
	v_lshlrev_b64_e32 v[6:7], 2, v[9:10]
	v_lshlrev_b64_e32 v[8:9], 2, v[11:12]
	;; [unrolled: 1-line block ×5, first 2 shown]
	v_dual_mov_b32 v62, 0 :: v_dual_add_nc_u32 v41, 0x900, v40
	v_dual_mov_b32 v59, 0 :: v_dual_add_nc_u32 v42, 0x1200, v40
	v_add_nc_u32_e32 v43, 0x1b00, v40
	v_mul_u32_u24_e32 v45, 0x90, v2
	v_lshl_add_u32 v48, v2, 1, v46
	v_add_nc_u32_e32 v49, 0x200, v47
	v_dual_mov_b32 v61, 0 :: v_dual_add_nc_u32 v50, 0x1000, v47
	v_add_nc_u32_e32 v51, 0x1200, v47
	v_xor_b32_e32 v38, 16, v33
	v_xor_b32_e32 v37, 8, v33
	;; [unrolled: 1-line block ×5, first 2 shown]
	v_add_nc_u32_e32 v53, 0x800, v32
	v_add_nc_u32_e32 v54, 0x1000, v32
	;; [unrolled: 1-line block ×3, first 2 shown]
	s_ashr_i32 s21, s20, 31
	s_ashr_i32 s15, s14, 31
	s_add_nc_u64 s[24:25], s[0:1], 0xd0
.LBB20_11:                              ; =>This Inner Loop Header: Depth=1
	v_cmp_gt_i32_e32 vcc_lo, 32, v38
	s_ashr_i32 s11, s10, 31
	s_or_b32 s2, s10, 8
	s_wait_alu 0xfffe
	s_mul_u64 s[36:37], s[10:11], s[20:21]
	s_mul_u64 s[38:39], s[10:11], s[14:15]
	s_wait_alu 0xfffd
	v_cndmask_b32_e32 v18, v33, v38, vcc_lo
	v_cmp_gt_i32_e32 vcc_lo, 32, v37
	v_mov_b32_e32 v66, 0
	s_wait_alu 0xfffe
	s_lshl_b64 s[36:37], s[36:37], 2
	s_ashr_i32 s3, s2, 31
	s_wait_alu 0xfffe
	s_add_nc_u64 s[36:37], s[6:7], s[36:37]
	s_wait_alu 0xfffd
	v_cndmask_b32_e32 v19, v33, v37, vcc_lo
	v_cmp_gt_i32_e32 vcc_lo, 32, v36
	s_lshl_b64 s[38:39], s[38:39], 2
	s_or_b32 s26, s10, 16
	s_mul_u64 s[2:3], s[2:3], s[14:15]
	s_wait_alu 0xfffe
	s_add_nc_u64 s[38:39], s[8:9], s[38:39]
	s_wait_alu 0xfffd
	v_cndmask_b32_e32 v20, v33, v36, vcc_lo
	v_cmp_gt_i32_e32 vcc_lo, 32, v35
	s_ashr_i32 s27, s26, 31
	s_lshl_b64 s[2:3], s[2:3], 2
	s_wait_alu 0xfffe
	s_mul_u64 s[26:27], s[26:27], s[14:15]
	v_lshlrev_b32_e32 v69, 2, v20
	s_wait_alu 0xfffd
	v_cndmask_b32_e32 v21, v33, v35, vcc_lo
	v_cmp_gt_i32_e32 vcc_lo, 32, v34
	v_lshlrev_b32_e32 v71, 2, v18
	s_add_nc_u64 s[2:3], s[8:9], s[2:3]
	v_dual_mov_b32 v64, v16 :: v_dual_mov_b32 v65, 0
	s_wait_alu 0xfffd
	v_cndmask_b32_e32 v22, v33, v34, vcc_lo
	v_add_co_u32 v18, vcc_lo, s36, v4
	v_lshlrev_b32_e32 v68, 2, v21
	s_wait_alu 0xfffd
	v_add_co_ci_u32_e64 v20, null, s37, v5, vcc_lo
	v_add_co_u32 v21, vcc_lo, s36, v6
	s_wait_alu 0xfffd
	v_add_co_ci_u32_e64 v25, null, s37, v7, vcc_lo
	v_add_co_u32 v26, vcc_lo, s36, v8
	;; [unrolled: 3-line block ×5, first 2 shown]
	v_add_nc_u32_e32 v16, s10, v3
	v_lshlrev_b32_e32 v70, 2, v19
	s_wait_alu 0xfffe
	s_lshl_b64 s[26:27], s[26:27], 2
	s_wait_alu 0xfffd
	v_add_co_ci_u32_e64 v19, null, s39, v15, vcc_lo
	v_add_co_u32 v72, vcc_lo, s2, v12
	s_wait_alu 0xfffe
	s_add_nc_u64 s[26:27], s[8:9], s[26:27]
	s_wait_alu 0xfffd
	v_add_co_ci_u32_e64 v73, null, s3, v13, vcc_lo
	v_add_co_u32 v74, vcc_lo, s2, v14
	s_wait_alu 0xfffd
	v_add_co_ci_u32_e64 v75, null, s3, v15, vcc_lo
	s_wait_alu 0xfffe
	v_add_co_u32 v76, vcc_lo, s26, v12
	v_ashrrev_i32_e32 v17, 31, v16
	s_wait_alu 0xfffd
	v_add_co_ci_u32_e64 v77, null, s27, v13, vcc_lo
	v_add_co_u32 v78, vcc_lo, s26, v14
	v_lshlrev_b32_e32 v67, 2, v22
	s_wait_alu 0xfffd
	v_add_co_ci_u32_e64 v79, null, s27, v15, vcc_lo
	v_add_co_u32 v22, vcc_lo, v18, v52
	v_lshlrev_b64_e32 v[16:17], 1, v[16:17]
	s_wait_alu 0xfffd
	v_add_co_ci_u32_e64 v23, null, 0, v20, vcc_lo
	v_add_co_u32 v24, vcc_lo, v21, v52
	s_wait_alu 0xfffd
	v_add_co_ci_u32_e64 v25, null, 0, v25, vcc_lo
	v_add_co_u32 v26, vcc_lo, v26, v52
	;; [unrolled: 3-line block ×6, first 2 shown]
	s_clause 0x3
	global_load_b128 v[80:83], v[22:23], off
	global_load_b128 v[84:87], v[24:25], off
	;; [unrolled: 1-line block ×4, first 2 shown]
	s_wait_alu 0xfffd
	v_add_co_ci_u32_e64 v19, null, 0, v19, vcc_lo
	v_add_co_u32 v128, vcc_lo, v72, v44
	s_wait_alu 0xfffd
	v_add_co_ci_u32_e64 v129, null, 0, v73, vcc_lo
	v_add_co_u32 v136, vcc_lo, v74, v44
	;; [unrolled: 3-line block ×4, first 2 shown]
	s_wait_alu 0xfffd
	v_add_co_ci_u32_e64 v153, null, 0, v79, vcc_lo
	s_wait_loadcnt 0x3
	ds_store_b128 v40, v[80:83]
	s_wait_loadcnt 0x2
	ds_store_b128 v41, v[84:87]
	;; [unrolled: 2-line block ×4, first 2 shown]
	s_wait_dscnt 0x0
	s_barrier_signal -1
	s_barrier_wait -1
	global_inv scope:SCOPE_SE
	ds_load_b128 v[80:83], v45
	ds_load_b128 v[84:87], v0
	ds_load_b128 v[88:91], v45 offset:4608
	s_wait_dscnt 0x1
	;;#ASMSTART
	v_dot2_f32_f16 v65, v80, v84, v65
	;;#ASMEND
	;;#ASMSTART
	v_dot2_f32_f16 v65, v81, v85, v65
	;;#ASMEND
	;;#ASMSTART
	v_dot2_f32_f16 v65, v82, v86, v65
	;;#ASMEND
	;;#ASMSTART
	v_dot2_f32_f16 v65, v83, v87, v65
	;;#ASMEND
	s_wait_dscnt 0x0
	;;#ASMSTART
	v_dot2_f32_f16 v66, v88, v84, v66
	;;#ASMEND
	;;#ASMSTART
	v_dot2_f32_f16 v66, v89, v85, v66
	;;#ASMEND
	;;#ASMSTART
	v_dot2_f32_f16 v66, v90, v86, v66
	;;#ASMEND
	;;#ASMSTART
	v_dot2_f32_f16 v66, v91, v87, v66
	;;#ASMEND
	ds_load_b128 v[80:83], v45 offset:16
	ds_load_b128 v[84:87], v0 offset:16
	ds_load_b128 v[88:91], v45 offset:4624
	s_wait_dscnt 0x1
	;;#ASMSTART
	v_dot2_f32_f16 v65, v80, v84, v65
	;;#ASMEND
	;;#ASMSTART
	v_dot2_f32_f16 v65, v81, v85, v65
	;;#ASMEND
	;;#ASMSTART
	v_dot2_f32_f16 v65, v82, v86, v65
	;;#ASMEND
	;;#ASMSTART
	v_dot2_f32_f16 v65, v83, v87, v65
	;;#ASMEND
	s_wait_dscnt 0x0
	;;#ASMSTART
	v_dot2_f32_f16 v66, v88, v84, v66
	;;#ASMEND
	;;#ASMSTART
	v_dot2_f32_f16 v66, v89, v85, v66
	;;#ASMEND
	;;#ASMSTART
	v_dot2_f32_f16 v66, v90, v86, v66
	;;#ASMEND
	;;#ASMSTART
	v_dot2_f32_f16 v66, v91, v87, v66
	;;#ASMEND
	ds_load_b128 v[80:83], v45 offset:32
	ds_load_b128 v[84:87], v0 offset:32
	;; [unrolled: 29-line block ×7, first 2 shown]
	ds_load_b128 v[88:91], v45 offset:4720
	s_wait_dscnt 0x1
	;;#ASMSTART
	v_dot2_f32_f16 v65, v80, v84, v65
	;;#ASMEND
	;;#ASMSTART
	v_dot2_f32_f16 v65, v81, v85, v65
	;;#ASMEND
	;; [unrolled: 3-line block ×4, first 2 shown]
	s_wait_dscnt 0x0
	;;#ASMSTART
	v_dot2_f32_f16 v66, v88, v84, v66
	;;#ASMEND
	;;#ASMSTART
	v_dot2_f32_f16 v66, v89, v85, v66
	;;#ASMEND
	;; [unrolled: 3-line block ×4, first 2 shown]
	s_wait_loadcnt 0x0
	s_barrier_signal -1
	s_barrier_wait -1
	global_inv scope:SCOPE_SE
	s_clause 0x3
	global_load_b128 v[80:83], v[22:23], off offset:128
	global_load_b128 v[84:87], v[24:25], off offset:128
	;; [unrolled: 1-line block ×4, first 2 shown]
	s_wait_loadcnt 0x3
	ds_store_b128 v40, v[80:83]
	s_wait_loadcnt 0x2
	ds_store_b128 v41, v[84:87]
	;; [unrolled: 2-line block ×4, first 2 shown]
	s_wait_dscnt 0x0
	s_barrier_signal -1
	s_barrier_wait -1
	global_inv scope:SCOPE_SE
	ds_load_b128 v[80:83], v45
	ds_load_b128 v[84:87], v0 offset:128
	ds_load_b128 v[88:91], v45 offset:4608
	s_wait_dscnt 0x1
	;;#ASMSTART
	v_dot2_f32_f16 v65, v80, v84, v65
	;;#ASMEND
	;;#ASMSTART
	v_dot2_f32_f16 v65, v81, v85, v65
	;;#ASMEND
	;;#ASMSTART
	v_dot2_f32_f16 v65, v82, v86, v65
	;;#ASMEND
	;;#ASMSTART
	v_dot2_f32_f16 v65, v83, v87, v65
	;;#ASMEND
	s_wait_dscnt 0x0
	;;#ASMSTART
	v_dot2_f32_f16 v66, v88, v84, v66
	;;#ASMEND
	;;#ASMSTART
	v_dot2_f32_f16 v66, v89, v85, v66
	;;#ASMEND
	;;#ASMSTART
	v_dot2_f32_f16 v66, v90, v86, v66
	;;#ASMEND
	;;#ASMSTART
	v_dot2_f32_f16 v66, v91, v87, v66
	;;#ASMEND
	ds_load_b128 v[80:83], v45 offset:16
	ds_load_b128 v[84:87], v0 offset:144
	ds_load_b128 v[88:91], v45 offset:4624
	s_wait_dscnt 0x1
	;;#ASMSTART
	v_dot2_f32_f16 v65, v80, v84, v65
	;;#ASMEND
	;;#ASMSTART
	v_dot2_f32_f16 v65, v81, v85, v65
	;;#ASMEND
	;;#ASMSTART
	v_dot2_f32_f16 v65, v82, v86, v65
	;;#ASMEND
	;;#ASMSTART
	v_dot2_f32_f16 v65, v83, v87, v65
	;;#ASMEND
	s_wait_dscnt 0x0
	;;#ASMSTART
	v_dot2_f32_f16 v66, v88, v84, v66
	;;#ASMEND
	;;#ASMSTART
	v_dot2_f32_f16 v66, v89, v85, v66
	;;#ASMEND
	;;#ASMSTART
	v_dot2_f32_f16 v66, v90, v86, v66
	;;#ASMEND
	;;#ASMSTART
	v_dot2_f32_f16 v66, v91, v87, v66
	;;#ASMEND
	ds_load_b128 v[80:83], v45 offset:32
	;; [unrolled: 29-line block ×7, first 2 shown]
	ds_load_b128 v[84:87], v0 offset:240
	ds_load_b128 v[88:91], v45 offset:4720
	s_wait_dscnt 0x1
	;;#ASMSTART
	v_dot2_f32_f16 v65, v80, v84, v65
	;;#ASMEND
	;;#ASMSTART
	v_dot2_f32_f16 v65, v81, v85, v65
	;;#ASMEND
	;; [unrolled: 3-line block ×4, first 2 shown]
	s_wait_dscnt 0x0
	;;#ASMSTART
	v_dot2_f32_f16 v66, v88, v84, v66
	;;#ASMEND
	;;#ASMSTART
	v_dot2_f32_f16 v66, v89, v85, v66
	;;#ASMEND
	;; [unrolled: 3-line block ×4, first 2 shown]
	s_wait_loadcnt 0x0
	s_barrier_signal -1
	s_barrier_wait -1
	global_inv scope:SCOPE_SE
	s_clause 0x3
	global_load_b128 v[80:83], v[22:23], off offset:256
	global_load_b128 v[84:87], v[24:25], off offset:256
	global_load_b128 v[88:91], v[26:27], off offset:256
	global_load_b128 v[92:95], v[28:29], off offset:256
	s_wait_loadcnt 0x3
	ds_store_b128 v40, v[80:83]
	s_wait_loadcnt 0x2
	ds_store_b128 v41, v[84:87]
	s_wait_loadcnt 0x1
	ds_store_b128 v42, v[88:91]
	s_wait_loadcnt 0x0
	ds_store_b128 v43, v[92:95]
	s_wait_dscnt 0x0
	s_barrier_signal -1
	s_barrier_wait -1
	global_inv scope:SCOPE_SE
	ds_load_b128 v[80:83], v45
	ds_load_b128 v[84:87], v0 offset:256
	ds_load_b128 v[88:91], v45 offset:4608
	s_wait_dscnt 0x1
	;;#ASMSTART
	v_dot2_f32_f16 v65, v80, v84, v65
	;;#ASMEND
	;;#ASMSTART
	v_dot2_f32_f16 v65, v81, v85, v65
	;;#ASMEND
	;;#ASMSTART
	v_dot2_f32_f16 v65, v82, v86, v65
	;;#ASMEND
	;;#ASMSTART
	v_dot2_f32_f16 v65, v83, v87, v65
	;;#ASMEND
	s_wait_dscnt 0x0
	;;#ASMSTART
	v_dot2_f32_f16 v66, v88, v84, v66
	;;#ASMEND
	;;#ASMSTART
	v_dot2_f32_f16 v66, v89, v85, v66
	;;#ASMEND
	;;#ASMSTART
	v_dot2_f32_f16 v66, v90, v86, v66
	;;#ASMEND
	;;#ASMSTART
	v_dot2_f32_f16 v66, v91, v87, v66
	;;#ASMEND
	ds_load_b128 v[80:83], v45 offset:16
	ds_load_b128 v[84:87], v0 offset:272
	ds_load_b128 v[88:91], v45 offset:4624
	s_wait_dscnt 0x1
	;;#ASMSTART
	v_dot2_f32_f16 v65, v80, v84, v65
	;;#ASMEND
	;;#ASMSTART
	v_dot2_f32_f16 v65, v81, v85, v65
	;;#ASMEND
	;;#ASMSTART
	v_dot2_f32_f16 v65, v82, v86, v65
	;;#ASMEND
	;;#ASMSTART
	v_dot2_f32_f16 v65, v83, v87, v65
	;;#ASMEND
	s_wait_dscnt 0x0
	;;#ASMSTART
	v_dot2_f32_f16 v66, v88, v84, v66
	;;#ASMEND
	;;#ASMSTART
	v_dot2_f32_f16 v66, v89, v85, v66
	;;#ASMEND
	;;#ASMSTART
	v_dot2_f32_f16 v66, v90, v86, v66
	;;#ASMEND
	;;#ASMSTART
	v_dot2_f32_f16 v66, v91, v87, v66
	;;#ASMEND
	ds_load_b128 v[80:83], v45 offset:32
	;; [unrolled: 29-line block ×7, first 2 shown]
	ds_load_b128 v[84:87], v0 offset:368
	ds_load_b128 v[88:91], v45 offset:4720
	s_wait_dscnt 0x1
	;;#ASMSTART
	v_dot2_f32_f16 v65, v80, v84, v65
	;;#ASMEND
	;;#ASMSTART
	v_dot2_f32_f16 v65, v81, v85, v65
	;;#ASMEND
	;; [unrolled: 3-line block ×4, first 2 shown]
	s_wait_dscnt 0x0
	;;#ASMSTART
	v_dot2_f32_f16 v66, v88, v84, v66
	;;#ASMEND
	;;#ASMSTART
	v_dot2_f32_f16 v66, v89, v85, v66
	;;#ASMEND
	;; [unrolled: 3-line block ×4, first 2 shown]
	s_wait_loadcnt 0x0
	s_barrier_signal -1
	s_barrier_wait -1
	global_inv scope:SCOPE_SE
	s_clause 0x3
	global_load_b128 v[80:83], v[22:23], off offset:384
	global_load_b128 v[84:87], v[24:25], off offset:384
	;; [unrolled: 1-line block ×4, first 2 shown]
	s_wait_loadcnt 0x3
	ds_store_b128 v40, v[80:83]
	s_wait_loadcnt 0x2
	ds_store_b128 v41, v[84:87]
	;; [unrolled: 2-line block ×4, first 2 shown]
	s_wait_dscnt 0x0
	s_barrier_signal -1
	s_barrier_wait -1
	global_inv scope:SCOPE_SE
	ds_load_b128 v[80:83], v45
	ds_load_b128 v[84:87], v0 offset:384
	ds_load_b128 v[88:91], v45 offset:4608
	s_wait_dscnt 0x1
	;;#ASMSTART
	v_dot2_f32_f16 v65, v80, v84, v65
	;;#ASMEND
	;;#ASMSTART
	v_dot2_f32_f16 v65, v81, v85, v65
	;;#ASMEND
	;;#ASMSTART
	v_dot2_f32_f16 v65, v82, v86, v65
	;;#ASMEND
	;;#ASMSTART
	v_dot2_f32_f16 v65, v83, v87, v65
	;;#ASMEND
	s_wait_dscnt 0x0
	;;#ASMSTART
	v_dot2_f32_f16 v66, v88, v84, v66
	;;#ASMEND
	;;#ASMSTART
	v_dot2_f32_f16 v66, v89, v85, v66
	;;#ASMEND
	;;#ASMSTART
	v_dot2_f32_f16 v66, v90, v86, v66
	;;#ASMEND
	;;#ASMSTART
	v_dot2_f32_f16 v66, v91, v87, v66
	;;#ASMEND
	ds_load_b128 v[80:83], v45 offset:16
	ds_load_b128 v[84:87], v0 offset:400
	ds_load_b128 v[88:91], v45 offset:4624
	s_wait_dscnt 0x1
	;;#ASMSTART
	v_dot2_f32_f16 v65, v80, v84, v65
	;;#ASMEND
	;;#ASMSTART
	v_dot2_f32_f16 v65, v81, v85, v65
	;;#ASMEND
	;;#ASMSTART
	v_dot2_f32_f16 v65, v82, v86, v65
	;;#ASMEND
	;;#ASMSTART
	v_dot2_f32_f16 v65, v83, v87, v65
	;;#ASMEND
	s_wait_dscnt 0x0
	;;#ASMSTART
	v_dot2_f32_f16 v66, v88, v84, v66
	;;#ASMEND
	;;#ASMSTART
	v_dot2_f32_f16 v66, v89, v85, v66
	;;#ASMEND
	;;#ASMSTART
	v_dot2_f32_f16 v66, v90, v86, v66
	;;#ASMEND
	;;#ASMSTART
	v_dot2_f32_f16 v66, v91, v87, v66
	;;#ASMEND
	ds_load_b128 v[80:83], v45 offset:32
	;; [unrolled: 29-line block ×7, first 2 shown]
	ds_load_b128 v[84:87], v0 offset:496
	ds_load_b128 v[88:91], v45 offset:4720
	s_wait_dscnt 0x1
	;;#ASMSTART
	v_dot2_f32_f16 v65, v80, v84, v65
	;;#ASMEND
	;;#ASMSTART
	v_dot2_f32_f16 v65, v81, v85, v65
	;;#ASMEND
	;; [unrolled: 3-line block ×4, first 2 shown]
	s_wait_dscnt 0x0
	;;#ASMSTART
	v_dot2_f32_f16 v66, v88, v84, v66
	;;#ASMEND
	;;#ASMSTART
	v_dot2_f32_f16 v66, v89, v85, v66
	;;#ASMEND
	;; [unrolled: 3-line block ×4, first 2 shown]
	s_wait_loadcnt 0x0
	s_barrier_signal -1
	s_barrier_wait -1
	global_inv scope:SCOPE_SE
	s_clause 0x3
	global_load_b128 v[80:83], v[22:23], off offset:512
	global_load_b128 v[84:87], v[24:25], off offset:512
	global_load_b128 v[88:91], v[26:27], off offset:512
	global_load_b128 v[92:95], v[28:29], off offset:512
	s_wait_loadcnt 0x3
	ds_store_b128 v40, v[80:83]
	s_wait_loadcnt 0x2
	ds_store_b128 v41, v[84:87]
	;; [unrolled: 2-line block ×4, first 2 shown]
	s_wait_dscnt 0x0
	s_barrier_signal -1
	s_barrier_wait -1
	global_inv scope:SCOPE_SE
	ds_load_b128 v[80:83], v45
	ds_load_b128 v[84:87], v0 offset:512
	ds_load_b128 v[88:91], v45 offset:4608
	s_wait_dscnt 0x1
	;;#ASMSTART
	v_dot2_f32_f16 v65, v80, v84, v65
	;;#ASMEND
	;;#ASMSTART
	v_dot2_f32_f16 v65, v81, v85, v65
	;;#ASMEND
	;;#ASMSTART
	v_dot2_f32_f16 v65, v82, v86, v65
	;;#ASMEND
	;;#ASMSTART
	v_dot2_f32_f16 v65, v83, v87, v65
	;;#ASMEND
	s_wait_dscnt 0x0
	;;#ASMSTART
	v_dot2_f32_f16 v66, v88, v84, v66
	;;#ASMEND
	;;#ASMSTART
	v_dot2_f32_f16 v66, v89, v85, v66
	;;#ASMEND
	;;#ASMSTART
	v_dot2_f32_f16 v66, v90, v86, v66
	;;#ASMEND
	;;#ASMSTART
	v_dot2_f32_f16 v66, v91, v87, v66
	;;#ASMEND
	ds_load_b128 v[80:83], v45 offset:16
	ds_load_b128 v[84:87], v0 offset:528
	ds_load_b128 v[88:91], v45 offset:4624
	s_wait_dscnt 0x1
	;;#ASMSTART
	v_dot2_f32_f16 v65, v80, v84, v65
	;;#ASMEND
	;;#ASMSTART
	v_dot2_f32_f16 v65, v81, v85, v65
	;;#ASMEND
	;;#ASMSTART
	v_dot2_f32_f16 v65, v82, v86, v65
	;;#ASMEND
	;;#ASMSTART
	v_dot2_f32_f16 v65, v83, v87, v65
	;;#ASMEND
	s_wait_dscnt 0x0
	;;#ASMSTART
	v_dot2_f32_f16 v66, v88, v84, v66
	;;#ASMEND
	;;#ASMSTART
	v_dot2_f32_f16 v66, v89, v85, v66
	;;#ASMEND
	;;#ASMSTART
	v_dot2_f32_f16 v66, v90, v86, v66
	;;#ASMEND
	;;#ASMSTART
	v_dot2_f32_f16 v66, v91, v87, v66
	;;#ASMEND
	ds_load_b128 v[80:83], v45 offset:32
	;; [unrolled: 29-line block ×7, first 2 shown]
	ds_load_b128 v[84:87], v0 offset:624
	ds_load_b128 v[88:91], v45 offset:4720
	s_wait_dscnt 0x1
	;;#ASMSTART
	v_dot2_f32_f16 v65, v80, v84, v65
	;;#ASMEND
	;;#ASMSTART
	v_dot2_f32_f16 v65, v81, v85, v65
	;;#ASMEND
	;; [unrolled: 3-line block ×4, first 2 shown]
	s_wait_dscnt 0x0
	;;#ASMSTART
	v_dot2_f32_f16 v66, v88, v84, v66
	;;#ASMEND
	;;#ASMSTART
	v_dot2_f32_f16 v66, v89, v85, v66
	;;#ASMEND
	;; [unrolled: 3-line block ×4, first 2 shown]
	s_wait_loadcnt 0x0
	s_barrier_signal -1
	s_barrier_wait -1
	global_inv scope:SCOPE_SE
	s_clause 0x3
	global_load_b128 v[80:83], v[22:23], off offset:640
	global_load_b128 v[84:87], v[24:25], off offset:640
	;; [unrolled: 1-line block ×4, first 2 shown]
	s_wait_loadcnt 0x3
	ds_store_b128 v40, v[80:83]
	s_wait_loadcnt 0x2
	ds_store_b128 v41, v[84:87]
	;; [unrolled: 2-line block ×4, first 2 shown]
	s_wait_dscnt 0x0
	s_barrier_signal -1
	s_barrier_wait -1
	global_inv scope:SCOPE_SE
	ds_load_b128 v[80:83], v45
	ds_load_b128 v[84:87], v0 offset:640
	ds_load_b128 v[88:91], v45 offset:4608
	s_wait_dscnt 0x1
	;;#ASMSTART
	v_dot2_f32_f16 v65, v80, v84, v65
	;;#ASMEND
	;;#ASMSTART
	v_dot2_f32_f16 v65, v81, v85, v65
	;;#ASMEND
	;;#ASMSTART
	v_dot2_f32_f16 v65, v82, v86, v65
	;;#ASMEND
	;;#ASMSTART
	v_dot2_f32_f16 v65, v83, v87, v65
	;;#ASMEND
	s_wait_dscnt 0x0
	;;#ASMSTART
	v_dot2_f32_f16 v66, v88, v84, v66
	;;#ASMEND
	;;#ASMSTART
	v_dot2_f32_f16 v66, v89, v85, v66
	;;#ASMEND
	;;#ASMSTART
	v_dot2_f32_f16 v66, v90, v86, v66
	;;#ASMEND
	;;#ASMSTART
	v_dot2_f32_f16 v66, v91, v87, v66
	;;#ASMEND
	ds_load_b128 v[80:83], v45 offset:16
	ds_load_b128 v[84:87], v0 offset:656
	ds_load_b128 v[88:91], v45 offset:4624
	s_wait_dscnt 0x1
	;;#ASMSTART
	v_dot2_f32_f16 v65, v80, v84, v65
	;;#ASMEND
	;;#ASMSTART
	v_dot2_f32_f16 v65, v81, v85, v65
	;;#ASMEND
	;;#ASMSTART
	v_dot2_f32_f16 v65, v82, v86, v65
	;;#ASMEND
	;;#ASMSTART
	v_dot2_f32_f16 v65, v83, v87, v65
	;;#ASMEND
	s_wait_dscnt 0x0
	;;#ASMSTART
	v_dot2_f32_f16 v66, v88, v84, v66
	;;#ASMEND
	;;#ASMSTART
	v_dot2_f32_f16 v66, v89, v85, v66
	;;#ASMEND
	;;#ASMSTART
	v_dot2_f32_f16 v66, v90, v86, v66
	;;#ASMEND
	;;#ASMSTART
	v_dot2_f32_f16 v66, v91, v87, v66
	;;#ASMEND
	ds_load_b128 v[80:83], v45 offset:32
	;; [unrolled: 29-line block ×7, first 2 shown]
	ds_load_b128 v[84:87], v0 offset:752
	ds_load_b128 v[88:91], v45 offset:4720
	s_wait_dscnt 0x1
	;;#ASMSTART
	v_dot2_f32_f16 v65, v80, v84, v65
	;;#ASMEND
	;;#ASMSTART
	v_dot2_f32_f16 v65, v81, v85, v65
	;;#ASMEND
	;; [unrolled: 3-line block ×4, first 2 shown]
	s_wait_dscnt 0x0
	;;#ASMSTART
	v_dot2_f32_f16 v66, v88, v84, v66
	;;#ASMEND
	;;#ASMSTART
	v_dot2_f32_f16 v66, v89, v85, v66
	;;#ASMEND
	;; [unrolled: 3-line block ×4, first 2 shown]
	s_wait_loadcnt 0x0
	s_barrier_signal -1
	s_barrier_wait -1
	global_inv scope:SCOPE_SE
	s_clause 0x3
	global_load_b128 v[80:83], v[22:23], off offset:768
	global_load_b128 v[84:87], v[24:25], off offset:768
	;; [unrolled: 1-line block ×4, first 2 shown]
	s_wait_loadcnt 0x3
	ds_store_b128 v40, v[80:83]
	s_wait_loadcnt 0x2
	ds_store_b128 v41, v[84:87]
	s_wait_loadcnt 0x1
	ds_store_b128 v42, v[88:91]
	s_wait_loadcnt 0x0
	ds_store_b128 v43, v[92:95]
	s_wait_dscnt 0x0
	s_barrier_signal -1
	s_barrier_wait -1
	global_inv scope:SCOPE_SE
	ds_load_b128 v[80:83], v45
	ds_load_b128 v[84:87], v0 offset:768
	ds_load_b128 v[88:91], v45 offset:4608
	s_wait_dscnt 0x1
	;;#ASMSTART
	v_dot2_f32_f16 v65, v80, v84, v65
	;;#ASMEND
	;;#ASMSTART
	v_dot2_f32_f16 v65, v81, v85, v65
	;;#ASMEND
	;;#ASMSTART
	v_dot2_f32_f16 v65, v82, v86, v65
	;;#ASMEND
	;;#ASMSTART
	v_dot2_f32_f16 v65, v83, v87, v65
	;;#ASMEND
	s_wait_dscnt 0x0
	;;#ASMSTART
	v_dot2_f32_f16 v66, v88, v84, v66
	;;#ASMEND
	;;#ASMSTART
	v_dot2_f32_f16 v66, v89, v85, v66
	;;#ASMEND
	;;#ASMSTART
	v_dot2_f32_f16 v66, v90, v86, v66
	;;#ASMEND
	;;#ASMSTART
	v_dot2_f32_f16 v66, v91, v87, v66
	;;#ASMEND
	ds_load_b128 v[80:83], v45 offset:16
	ds_load_b128 v[84:87], v0 offset:784
	ds_load_b128 v[88:91], v45 offset:4624
	s_wait_dscnt 0x1
	;;#ASMSTART
	v_dot2_f32_f16 v65, v80, v84, v65
	;;#ASMEND
	;;#ASMSTART
	v_dot2_f32_f16 v65, v81, v85, v65
	;;#ASMEND
	;;#ASMSTART
	v_dot2_f32_f16 v65, v82, v86, v65
	;;#ASMEND
	;;#ASMSTART
	v_dot2_f32_f16 v65, v83, v87, v65
	;;#ASMEND
	s_wait_dscnt 0x0
	;;#ASMSTART
	v_dot2_f32_f16 v66, v88, v84, v66
	;;#ASMEND
	;;#ASMSTART
	v_dot2_f32_f16 v66, v89, v85, v66
	;;#ASMEND
	;;#ASMSTART
	v_dot2_f32_f16 v66, v90, v86, v66
	;;#ASMEND
	;;#ASMSTART
	v_dot2_f32_f16 v66, v91, v87, v66
	;;#ASMEND
	ds_load_b128 v[80:83], v45 offset:32
	;; [unrolled: 29-line block ×7, first 2 shown]
	ds_load_b128 v[84:87], v0 offset:880
	ds_load_b128 v[88:91], v45 offset:4720
	s_wait_dscnt 0x1
	;;#ASMSTART
	v_dot2_f32_f16 v65, v80, v84, v65
	;;#ASMEND
	;;#ASMSTART
	v_dot2_f32_f16 v65, v81, v85, v65
	;;#ASMEND
	;; [unrolled: 3-line block ×4, first 2 shown]
	s_wait_dscnt 0x0
	;;#ASMSTART
	v_dot2_f32_f16 v66, v88, v84, v66
	;;#ASMEND
	;;#ASMSTART
	v_dot2_f32_f16 v66, v89, v85, v66
	;;#ASMEND
	;; [unrolled: 3-line block ×4, first 2 shown]
	s_wait_loadcnt 0x0
	s_barrier_signal -1
	s_barrier_wait -1
	global_inv scope:SCOPE_SE
	s_clause 0x3
	global_load_b128 v[80:83], v[22:23], off offset:896
	global_load_b128 v[84:87], v[24:25], off offset:896
	;; [unrolled: 1-line block ×4, first 2 shown]
	s_wait_loadcnt 0x3
	ds_store_b128 v40, v[80:83]
	s_wait_loadcnt 0x2
	ds_store_b128 v41, v[84:87]
	;; [unrolled: 2-line block ×4, first 2 shown]
	s_wait_dscnt 0x0
	s_barrier_signal -1
	s_barrier_wait -1
	global_inv scope:SCOPE_SE
	ds_load_b128 v[80:83], v45
	ds_load_b128 v[84:87], v0 offset:896
	ds_load_b128 v[88:91], v45 offset:4608
	s_wait_dscnt 0x1
	;;#ASMSTART
	v_dot2_f32_f16 v65, v80, v84, v65
	;;#ASMEND
	;;#ASMSTART
	v_dot2_f32_f16 v65, v81, v85, v65
	;;#ASMEND
	;;#ASMSTART
	v_dot2_f32_f16 v65, v82, v86, v65
	;;#ASMEND
	;;#ASMSTART
	v_dot2_f32_f16 v65, v83, v87, v65
	;;#ASMEND
	s_wait_dscnt 0x0
	;;#ASMSTART
	v_dot2_f32_f16 v66, v88, v84, v66
	;;#ASMEND
	;;#ASMSTART
	v_dot2_f32_f16 v66, v89, v85, v66
	;;#ASMEND
	;;#ASMSTART
	v_dot2_f32_f16 v66, v90, v86, v66
	;;#ASMEND
	;;#ASMSTART
	v_dot2_f32_f16 v66, v91, v87, v66
	;;#ASMEND
	ds_load_b128 v[80:83], v45 offset:16
	ds_load_b128 v[84:87], v0 offset:912
	ds_load_b128 v[88:91], v45 offset:4624
	s_wait_dscnt 0x1
	;;#ASMSTART
	v_dot2_f32_f16 v65, v80, v84, v65
	;;#ASMEND
	;;#ASMSTART
	v_dot2_f32_f16 v65, v81, v85, v65
	;;#ASMEND
	;;#ASMSTART
	v_dot2_f32_f16 v65, v82, v86, v65
	;;#ASMEND
	;;#ASMSTART
	v_dot2_f32_f16 v65, v83, v87, v65
	;;#ASMEND
	s_wait_dscnt 0x0
	;;#ASMSTART
	v_dot2_f32_f16 v66, v88, v84, v66
	;;#ASMEND
	;;#ASMSTART
	v_dot2_f32_f16 v66, v89, v85, v66
	;;#ASMEND
	;;#ASMSTART
	v_dot2_f32_f16 v66, v90, v86, v66
	;;#ASMEND
	;;#ASMSTART
	v_dot2_f32_f16 v66, v91, v87, v66
	;;#ASMEND
	ds_load_b128 v[80:83], v45 offset:32
	;; [unrolled: 29-line block ×7, first 2 shown]
	ds_load_b128 v[84:87], v0 offset:1008
	ds_load_b128 v[88:91], v45 offset:4720
	s_wait_dscnt 0x1
	;;#ASMSTART
	v_dot2_f32_f16 v65, v80, v84, v65
	;;#ASMEND
	;;#ASMSTART
	v_dot2_f32_f16 v65, v81, v85, v65
	;;#ASMEND
	;; [unrolled: 3-line block ×4, first 2 shown]
	s_wait_dscnt 0x0
	;;#ASMSTART
	v_dot2_f32_f16 v66, v88, v84, v66
	;;#ASMEND
	;;#ASMSTART
	v_dot2_f32_f16 v66, v89, v85, v66
	;;#ASMEND
	;; [unrolled: 3-line block ×4, first 2 shown]
	s_wait_loadcnt 0x0
	s_barrier_signal -1
	s_barrier_wait -1
	global_inv scope:SCOPE_SE
	s_clause 0x3
	global_load_b128 v[80:83], v[22:23], off offset:1024
	global_load_b128 v[22:25], v[24:25], off offset:1024
	;; [unrolled: 1-line block ×4, first 2 shown]
	s_wait_loadcnt 0x3
	ds_store_b128 v40, v[80:83]
	s_wait_loadcnt 0x2
	ds_store_b128 v41, v[22:25]
	;; [unrolled: 2-line block ×4, first 2 shown]
	s_wait_dscnt 0x0
	s_barrier_signal -1
	s_barrier_wait -1
	global_inv scope:SCOPE_SE
	ds_load_b128 v[22:25], v45
	ds_load_b128 v[26:29], v0 offset:1024
	ds_load_b128 v[72:75], v45 offset:4608
	s_wait_dscnt 0x1
	;;#ASMSTART
	v_dot2_f32_f16 v65, v22, v26, v65
	;;#ASMEND
	;;#ASMSTART
	v_dot2_f32_f16 v65, v23, v27, v65
	;;#ASMEND
	;;#ASMSTART
	v_dot2_f32_f16 v65, v24, v28, v65
	;;#ASMEND
	;;#ASMSTART
	v_dot2_f32_f16 v65, v25, v29, v65
	;;#ASMEND
	s_wait_dscnt 0x0
	;;#ASMSTART
	v_dot2_f32_f16 v66, v72, v26, v66
	;;#ASMEND
	;;#ASMSTART
	v_dot2_f32_f16 v66, v73, v27, v66
	;;#ASMEND
	;;#ASMSTART
	v_dot2_f32_f16 v66, v74, v28, v66
	;;#ASMEND
	;;#ASMSTART
	v_dot2_f32_f16 v66, v75, v29, v66
	;;#ASMEND
	ds_load_b128 v[22:25], v45 offset:16
	ds_load_b128 v[26:29], v0 offset:1040
	ds_load_b128 v[72:75], v45 offset:4624
	s_wait_dscnt 0x1
	;;#ASMSTART
	v_dot2_f32_f16 v65, v22, v26, v65
	;;#ASMEND
	;;#ASMSTART
	v_dot2_f32_f16 v65, v23, v27, v65
	;;#ASMEND
	;;#ASMSTART
	v_dot2_f32_f16 v65, v24, v28, v65
	;;#ASMEND
	;;#ASMSTART
	v_dot2_f32_f16 v65, v25, v29, v65
	;;#ASMEND
	s_wait_dscnt 0x0
	;;#ASMSTART
	v_dot2_f32_f16 v66, v72, v26, v66
	;;#ASMEND
	;;#ASMSTART
	v_dot2_f32_f16 v66, v73, v27, v66
	;;#ASMEND
	;;#ASMSTART
	v_dot2_f32_f16 v66, v74, v28, v66
	;;#ASMEND
	;;#ASMSTART
	v_dot2_f32_f16 v66, v75, v29, v66
	;;#ASMEND
	ds_load_b128 v[22:25], v45 offset:32
	;; [unrolled: 29-line block ×7, first 2 shown]
	ds_load_b128 v[26:29], v0 offset:1136
	ds_load_b128 v[72:75], v45 offset:4720
	s_wait_dscnt 0x1
	;;#ASMSTART
	v_dot2_f32_f16 v65, v22, v26, v65
	;;#ASMEND
	;;#ASMSTART
	v_dot2_f32_f16 v65, v23, v27, v65
	;;#ASMEND
	;;#ASMSTART
	v_dot2_f32_f16 v65, v24, v28, v65
	;;#ASMEND
	;;#ASMSTART
	v_dot2_f32_f16 v65, v25, v29, v65
	;;#ASMEND
	s_wait_dscnt 0x0
	;;#ASMSTART
	v_dot2_f32_f16 v66, v72, v26, v66
	;;#ASMEND
	;;#ASMSTART
	v_dot2_f32_f16 v66, v73, v27, v66
	;;#ASMEND
	;; [unrolled: 3-line block ×4, first 2 shown]
	s_clause 0x1
	global_load_u16 v28, v[20:21], off
	global_load_u16 v29, v[20:21], off offset:64
	s_wait_loadcnt 0x0
	s_barrier_signal -1
	s_barrier_wait -1
	global_inv scope:SCOPE_SE
	s_clause 0x3
	global_load_b128 v[20:23], v[16:17], off
	global_load_b128 v[24:27], v[16:17], off offset:512
	global_load_b128 v[72:75], v[18:19], off
	global_load_b128 v[76:79], v[18:19], off offset:512
	v_cvt_f32_f16_e32 v16, v28
	v_cvt_f32_f16_e32 v17, v29
	s_delay_alu instid0(VALU_DEP_1) | instskip(NEXT) | instid1(VALU_DEP_1)
	v_dual_add_f32 v18, v65, v16 :: v_dual_add_f32 v17, v66, v17
	v_dual_add_f32 v16, 0x40051340, v18 :: v_dual_add_f32 v19, 0x40051340, v17
	s_delay_alu instid0(VALU_DEP_1) | instskip(SKIP_3) | instid1(VALU_DEP_1)
	v_max3_num_f32 v16, v64, v16, v19
	ds_bpermute_b32 v19, v71, v16
	s_wait_dscnt 0x0
	v_max_num_f32_e32 v19, v19, v19
	v_max_num_f32_e32 v16, v16, v19
	ds_bpermute_b32 v19, v70, v16
	s_wait_dscnt 0x0
	v_max_num_f32_e32 v19, v19, v19
	s_delay_alu instid0(VALU_DEP_1) | instskip(SKIP_3) | instid1(VALU_DEP_1)
	v_max_num_f32_e32 v16, v16, v19
	ds_bpermute_b32 v19, v69, v16
	s_wait_dscnt 0x0
	v_max_num_f32_e32 v19, v19, v19
	v_max_num_f32_e32 v16, v16, v19
	ds_bpermute_b32 v19, v68, v16
	s_wait_dscnt 0x0
	v_max_num_f32_e32 v19, v19, v19
	s_delay_alu instid0(VALU_DEP_1) | instskip(SKIP_3) | instid1(VALU_DEP_1)
	v_max_num_f32_e32 v16, v16, v19
	ds_bpermute_b32 v19, v67, v16
	s_wait_dscnt 0x0
	v_max_num_f32_e32 v19, v19, v19
	v_max_num_f32_e32 v16, v16, v19
	s_delay_alu instid0(VALU_DEP_1) | instskip(NEXT) | instid1(VALU_DEP_1)
	v_sub_f32_e32 v17, v17, v16
	v_mul_f32_e32 v29, 0x3fb8aa3b, v17
	v_cmp_ngt_f32_e32 vcc_lo, 0xc2ce8ed0, v17
	s_delay_alu instid0(VALU_DEP_2) | instskip(SKIP_1) | instid1(VALU_DEP_2)
	v_fma_f32 v67, 0x3fb8aa3b, v17, -v29
	v_rndne_f32_e32 v68, v29
	v_fmac_f32_e32 v67, 0x32a5705f, v17
	s_delay_alu instid0(VALU_DEP_2) | instskip(SKIP_1) | instid1(VALU_DEP_2)
	v_sub_f32_e32 v29, v29, v68
	v_cvt_i32_f32_e32 v68, v68
	v_add_f32_e32 v29, v29, v67
	s_delay_alu instid0(VALU_DEP_1) | instskip(NEXT) | instid1(TRANS32_DEP_1)
	v_exp_f32_e32 v29, v29
	v_ldexp_f32 v29, v29, v68
	s_wait_alu 0xfffd
	s_delay_alu instid0(VALU_DEP_1) | instskip(SKIP_1) | instid1(VALU_DEP_2)
	v_dual_cndmask_b32 v29, 0, v29 :: v_dual_sub_f32 v18, v18, v16
	v_cmp_nlt_f32_e32 vcc_lo, 0x42b17218, v17
	v_dual_sub_f32 v19, v64, v16 :: v_dual_mul_f32 v28, 0x3fb8aa3b, v18
	v_cmp_ngt_f32_e64 s3, 0xc2ce8ed0, v18
	s_delay_alu instid0(VALU_DEP_2) | instskip(SKIP_1) | instid1(VALU_DEP_2)
	v_fma_f32 v65, 0x3fb8aa3b, v18, -v28
	v_rndne_f32_e32 v66, v28
	v_fmac_f32_e32 v65, 0x32a5705f, v18
	s_delay_alu instid0(VALU_DEP_2) | instskip(SKIP_1) | instid1(VALU_DEP_2)
	v_sub_f32_e32 v28, v28, v66
	v_cvt_i32_f32_e32 v66, v66
	v_add_f32_e32 v28, v28, v65
	s_delay_alu instid0(VALU_DEP_1) | instskip(NEXT) | instid1(TRANS32_DEP_1)
	v_exp_f32_e32 v28, v28
	v_ldexp_f32 v28, v28, v66
	s_wait_alu 0xf1ff
	s_delay_alu instid0(VALU_DEP_1)
	v_cndmask_b32_e64 v28, 0, v28, s3
	v_cmp_nlt_f32_e64 s3, 0x42b17218, v18
	s_wait_alu 0xfffd
	v_cndmask_b32_e32 v18, 0x7f800000, v29, vcc_lo
	v_cmp_ngt_f32_e64 s2, 0xc2ce8ed0, v19
	v_cmp_nlt_f32_e32 vcc_lo, 0x42b17218, v19
	s_wait_alu 0xf1ff
	v_cndmask_b32_e64 v17, 0x7f800000, v28, s3
	v_mul_f32_e32 v64, 0x3fb8aa3b, v19
	v_cvt_f16_f32_e32 v29, v18
	s_delay_alu instid0(VALU_DEP_3) | instskip(NEXT) | instid1(VALU_DEP_3)
	v_cvt_f16_f32_e32 v28, v17
	v_fma_f32 v69, 0x3fb8aa3b, v19, -v64
	v_rndne_f32_e32 v70, v64
	ds_store_b16 v48, v28
	ds_store_b16 v48, v29 offset:64
	s_wait_loadcnt 0x3
	ds_store_b128 v47, v[20:23]
	s_wait_loadcnt 0x2
	ds_store_b128 v49, v[24:27]
	;; [unrolled: 2-line block ×4, first 2 shown]
	v_dual_fmac_f32 v69, 0x32a5705f, v19 :: v_dual_sub_f32 v64, v64, v70
	v_cvt_i32_f32_e32 v70, v70
	s_wait_dscnt 0x0
	s_barrier_signal -1
	s_barrier_wait -1
	v_add_f32_e32 v64, v64, v69
	global_inv scope:SCOPE_SE
	v_exp_f32_e32 v64, v64
	s_delay_alu instid0(TRANS32_DEP_1)
	v_ldexp_f32 v140, v64, v70
	ds_load_2addr_b64 v[20:23], v32 offset1:32
	ds_load_2addr_b64 v[24:27], v32 offset0:64 offset1:96
	ds_load_b128 v[64:67], v46
	ds_load_2addr_b64 v[68:71], v32 offset0:128 offset1:160
	ds_load_2addr_b64 v[72:75], v32 offset0:192 offset1:224
	ds_load_2addr_b64 v[76:79], v53 offset1:32
	ds_load_2addr_b64 v[80:83], v53 offset0:64 offset1:96
	ds_load_2addr_b64 v[84:87], v53 offset0:128 offset1:160
	ds_load_2addr_b64 v[88:91], v53 offset0:192 offset1:224
	ds_load_2addr_b64 v[92:95], v54 offset1:32
	ds_load_2addr_b64 v[96:99], v54 offset0:64 offset1:96
	;; [unrolled: 4-line block ×3, first 2 shown]
	ds_load_2addr_b64 v[116:119], v55 offset0:128 offset1:160
	ds_load_2addr_b64 v[120:123], v55 offset0:192 offset1:224
	s_wait_loadcnt_dscnt 0x0
	s_barrier_signal -1
	s_barrier_wait -1
	global_inv scope:SCOPE_SE
	s_clause 0x3
	global_load_b128 v[124:127], v[128:129], off
	global_load_b128 v[128:131], v[128:129], off offset:512
	global_load_b128 v[132:135], v[136:137], off
	global_load_b128 v[136:139], v[136:137], off offset:512
	v_cndmask_b32_e64 v28, 0, v140, s2
	v_lshrrev_b32_e32 v140, 16, v65
	v_and_b32_e32 v65, 0xffff, v65
	v_lshrrev_b32_e32 v141, 16, v66
	v_and_b32_e32 v66, 0xffff, v66
	s_wait_alu 0xfffd
	v_cndmask_b32_e32 v19, 0x7f800000, v28, vcc_lo
	v_mul_u32_u24_e32 v140, 0x10001, v140
	v_mul_u32_u24_e32 v65, 0x10001, v65
	v_mul_u32_u24_e32 v158, 0x10001, v141
	v_mul_u32_u24_e32 v66, 0x10001, v66
	v_cvt_f16_f32_e32 v28, v19
	v_lshrrev_b32_e32 v164, 16, v67
	v_and_b32_e32 v67, 0xffff, v67
	s_or_b32 s2, s10, 24
	s_wait_loadcnt 0x3
	ds_store_b128 v47, v[124:127]
	s_wait_loadcnt 0x2
	ds_store_b128 v49, v[128:131]
	;; [unrolled: 2-line block ×4, first 2 shown]
	v_and_b32_e32 v28, 0xffff, v28
	s_wait_dscnt 0x0
	s_barrier_signal -1
	s_barrier_wait -1
	global_inv scope:SCOPE_SE
	v_mul_u32_u24_e32 v28, 0x10001, v28
	v_mul_u32_u24_e32 v67, 0x10001, v67
	;; [unrolled: 1-line block ×3, first 2 shown]
	s_wait_alu 0xfffe
	s_ashr_i32 s3, s2, 31
	v_pk_mul_f16 v29, v61, v28
	v_pk_mul_f16 v61, v63, v28
	v_lshrrev_b32_e32 v63, 16, v64
	v_and_b32_e32 v64, 0xffff, v64
	v_pk_mul_f16 v58, v58, v28
	v_pk_mul_f16 v59, v59, v28
	;; [unrolled: 1-line block ×4, first 2 shown]
	v_mul_u32_u24_e32 v64, 0x10001, v64
	v_mul_u32_u24_e32 v63, 0x10001, v63
	s_wait_alu 0xfffe
	s_mul_u64 s[2:3], s[2:3], s[14:15]
	s_wait_alu 0xfffe
	s_lshl_b64 s[2:3], s[2:3], 2
	v_pk_mul_f16 v20, v20, v64
	v_pk_mul_f16 v21, v21, v64
	v_pk_fma_f16 v22, v22, v64, v29
	v_pk_fma_f16 v23, v23, v64, v61
	;; [unrolled: 1-line block ×44, first 2 shown]
	ds_load_2addr_b64 v[20:23], v32 offset1:32
	ds_load_2addr_b64 v[24:27], v32 offset0:64 offset1:96
	ds_load_b128 v[56:59], v46 offset:16
	ds_load_2addr_b64 v[60:63], v32 offset0:128 offset1:160
	ds_load_2addr_b64 v[68:71], v32 offset0:192 offset1:224
	ds_load_2addr_b64 v[72:75], v53 offset1:32
	ds_load_2addr_b64 v[76:79], v53 offset0:64 offset1:96
	ds_load_2addr_b64 v[80:83], v53 offset0:128 offset1:160
	ds_load_2addr_b64 v[84:87], v53 offset0:192 offset1:224
	ds_load_2addr_b64 v[88:91], v54 offset1:32
	ds_load_2addr_b64 v[92:95], v54 offset0:64 offset1:96
	;; [unrolled: 4-line block ×3, first 2 shown]
	ds_load_2addr_b64 v[132:135], v55 offset0:128 offset1:160
	ds_load_2addr_b64 v[136:139], v55 offset0:192 offset1:224
	s_wait_loadcnt_dscnt 0x0
	s_barrier_signal -1
	s_barrier_wait -1
	global_inv scope:SCOPE_SE
	s_clause 0x3
	global_load_b128 v[140:143], v[144:145], off
	global_load_b128 v[144:147], v[144:145], off offset:512
	global_load_b128 v[148:151], v[152:153], off
	global_load_b128 v[152:155], v[152:153], off offset:512
	v_pk_fma_f16 v64, v102, v158, v64
	v_pk_fma_f16 v65, v103, v158, v65
	v_pk_fma_f16 v100, v100, v158, v159
	v_pk_fma_f16 v66, v101, v158, v66
	v_pk_fma_f16 v101, v112, v67, v160
	v_pk_fma_f16 v64, v110, v67, v64
	v_pk_fma_f16 v65, v111, v67, v65
	v_pk_fma_f16 v100, v108, v67, v100
	v_pk_fma_f16 v66, v109, v67, v66
	v_lshrrev_b32_e32 v108, 16, v56
	v_and_b32_e32 v56, 0xffff, v56
	v_pk_fma_f16 v102, v113, v67, v161
	v_pk_fma_f16 v103, v114, v67, v162
	;; [unrolled: 1-line block ×7, first 2 shown]
	v_mul_u32_u24_e32 v56, 0x10001, v56
	v_pk_fma_f16 v67, v120, v164, v101
	v_pk_fma_f16 v101, v121, v164, v102
	;; [unrolled: 1-line block ×4, first 2 shown]
	v_lshrrev_b32_e32 v109, 16, v57
	v_and_b32_e32 v57, 0xffff, v57
	v_mul_u32_u24_e32 v108, 0x10001, v108
	v_pk_fma_f16 v20, v20, v56, v100
	v_pk_fma_f16 v21, v21, v56, v66
	;; [unrolled: 1-line block ×4, first 2 shown]
	v_mul_u32_u24_e32 v57, 0x10001, v57
	v_pk_fma_f16 v24, v24, v56, v67
	v_pk_fma_f16 v25, v25, v56, v101
	;; [unrolled: 1-line block ×8, first 2 shown]
	v_lshrrev_b32_e32 v110, 16, v58
	v_and_b32_e32 v58, 0xffff, v58
	v_mul_u32_u24_e32 v109, 0x10001, v109
	v_pk_fma_f16 v24, v68, v108, v24
	v_pk_fma_f16 v25, v69, v108, v25
	v_pk_fma_f16 v26, v70, v108, v26
	v_pk_fma_f16 v27, v71, v108, v27
	v_pk_fma_f16 v20, v72, v57, v20
	v_pk_fma_f16 v21, v73, v57, v21
	v_pk_fma_f16 v22, v74, v57, v22
	v_pk_fma_f16 v23, v75, v57, v23
	s_wait_alu 0xfffe
	s_add_nc_u64 s[2:3], s[8:9], s[2:3]
	v_mul_u32_u24_e32 v58, 0x10001, v58
	s_wait_alu 0xfffe
	v_add_co_u32 v28, vcc_lo, s2, v12
	s_wait_alu 0xfffd
	v_add_co_ci_u32_e64 v29, null, s3, v13, vcc_lo
	v_add_co_u32 v156, vcc_lo, s2, v14
	v_pk_fma_f16 v24, v76, v57, v24
	v_pk_fma_f16 v25, v77, v57, v25
	;; [unrolled: 1-line block ×8, first 2 shown]
	s_wait_alu 0xfffd
	v_add_co_ci_u32_e64 v157, null, s3, v15, vcc_lo
	v_add_co_u32 v28, vcc_lo, v28, v44
	s_wait_alu 0xfffd
	v_add_co_ci_u32_e64 v29, null, 0, v29, vcc_lo
	v_add_co_u32 v156, vcc_lo, v156, v44
	v_mul_u32_u24_e32 v158, 0x10001, v110
	v_pk_fma_f16 v24, v84, v109, v24
	v_pk_fma_f16 v25, v85, v109, v25
	;; [unrolled: 1-line block ×8, first 2 shown]
	s_wait_alu 0xfffd
	v_add_co_ci_u32_e64 v157, null, 0, v157, vcc_lo
	v_pk_fma_f16 v56, v92, v58, v24
	v_pk_fma_f16 v57, v93, v58, v25
	v_pk_fma_f16 v159, v94, v58, v26
	v_pk_fma_f16 v58, v95, v58, v27
	v_pk_fma_f16 v160, v96, v158, v20
	v_pk_fma_f16 v161, v97, v158, v21
	v_pk_fma_f16 v162, v98, v158, v22
	v_pk_fma_f16 v163, v99, v158, v23
	s_wait_loadcnt 0x3
	ds_store_b128 v47, v[140:143]
	s_wait_loadcnt 0x2
	ds_store_b128 v49, v[144:147]
	;; [unrolled: 2-line block ×4, first 2 shown]
	s_wait_dscnt 0x0
	s_barrier_signal -1
	s_barrier_wait -1
	global_inv scope:SCOPE_SE
	ds_load_2addr_b64 v[20:23], v32 offset1:32
	ds_load_2addr_b64 v[24:27], v32 offset0:64 offset1:96
	ds_load_b128 v[60:63], v46 offset:32
	ds_load_2addr_b64 v[64:67], v32 offset0:128 offset1:160
	ds_load_2addr_b64 v[68:71], v32 offset0:192 offset1:224
	ds_load_2addr_b64 v[72:75], v53 offset1:32
	ds_load_2addr_b64 v[76:79], v53 offset0:64 offset1:96
	ds_load_2addr_b64 v[80:83], v53 offset0:128 offset1:160
	ds_load_2addr_b64 v[84:87], v53 offset0:192 offset1:224
	ds_load_2addr_b64 v[88:91], v54 offset1:32
	ds_load_2addr_b64 v[92:95], v54 offset0:64 offset1:96
	;; [unrolled: 4-line block ×3, first 2 shown]
	ds_load_2addr_b64 v[116:119], v55 offset0:128 offset1:160
	ds_load_2addr_b64 v[120:123], v55 offset0:192 offset1:224
	s_wait_loadcnt_dscnt 0x0
	s_barrier_signal -1
	s_barrier_wait -1
	global_inv scope:SCOPE_SE
	s_clause 0x3
	global_load_b128 v[140:143], v[28:29], off
	global_load_b128 v[144:147], v[28:29], off offset:512
	global_load_b128 v[148:151], v[156:157], off
	global_load_b128 v[152:155], v[156:157], off offset:512
	v_lshrrev_b32_e32 v164, 16, v59
	v_and_b32_e32 v59, 0xffff, v59
	v_pk_fma_f16 v56, v104, v158, v56
	v_pk_fma_f16 v57, v105, v158, v57
	;; [unrolled: 1-line block ×3, first 2 shown]
	v_mul_u32_u24_e32 v164, 0x10001, v164
	v_mul_u32_u24_e32 v59, 0x10001, v59
	v_pk_fma_f16 v58, v107, v158, v58
	s_or_b32 s2, s10, 32
	s_wait_loadcnt 0x3
	ds_store_b128 v47, v[140:143]
	s_wait_loadcnt 0x2
	ds_store_b128 v49, v[144:147]
	;; [unrolled: 2-line block ×4, first 2 shown]
	v_pk_fma_f16 v105, v124, v59, v160
	v_pk_fma_f16 v106, v125, v59, v161
	;; [unrolled: 1-line block ×12, first 2 shown]
	v_lshrrev_b32_e32 v124, 16, v60
	v_and_b32_e32 v60, 0xffff, v60
	v_pk_fma_f16 v56, v136, v164, v56
	v_pk_fma_f16 v57, v137, v164, v57
	;; [unrolled: 1-line block ×4, first 2 shown]
	v_mul_u32_u24_e32 v60, 0x10001, v60
	v_lshrrev_b32_e32 v125, 16, v61
	v_and_b32_e32 v61, 0xffff, v61
	v_mul_u32_u24_e32 v124, 0x10001, v124
	s_wait_alu 0xfffe
	s_ashr_i32 s3, s2, 31
	v_pk_fma_f16 v20, v20, v60, v59
	v_pk_fma_f16 v21, v21, v60, v105
	;; [unrolled: 1-line block ×4, first 2 shown]
	v_mul_u32_u24_e32 v61, 0x10001, v61
	v_pk_fma_f16 v24, v24, v60, v56
	v_pk_fma_f16 v25, v25, v60, v57
	;; [unrolled: 1-line block ×8, first 2 shown]
	s_wait_alu 0xfffe
	s_mul_u64 s[2:3], s[2:3], s[14:15]
	v_lshrrev_b32_e32 v126, 16, v62
	s_wait_alu 0xfffe
	s_lshl_b64 s[2:3], s[2:3], 2
	v_and_b32_e32 v62, 0xffff, v62
	v_mul_u32_u24_e32 v125, 0x10001, v125
	v_pk_fma_f16 v24, v68, v124, v24
	v_pk_fma_f16 v25, v69, v124, v25
	v_pk_fma_f16 v26, v70, v124, v26
	v_pk_fma_f16 v27, v71, v124, v27
	v_pk_fma_f16 v20, v72, v61, v20
	v_pk_fma_f16 v21, v73, v61, v21
	v_pk_fma_f16 v22, v74, v61, v22
	v_pk_fma_f16 v23, v75, v61, v23
	s_wait_alu 0xfffe
	s_add_nc_u64 s[2:3], s[8:9], s[2:3]
	v_mul_u32_u24_e32 v62, 0x10001, v62
	s_wait_alu 0xfffe
	v_add_co_u32 v28, vcc_lo, s2, v12
	s_wait_alu 0xfffd
	v_add_co_ci_u32_e64 v29, null, s3, v13, vcc_lo
	v_add_co_u32 v156, vcc_lo, s2, v14
	v_pk_fma_f16 v24, v76, v61, v24
	v_pk_fma_f16 v25, v77, v61, v25
	;; [unrolled: 1-line block ×8, first 2 shown]
	s_wait_alu 0xfffd
	v_add_co_ci_u32_e64 v157, null, s3, v15, vcc_lo
	v_add_co_u32 v28, vcc_lo, v28, v44
	s_wait_alu 0xfffd
	v_add_co_ci_u32_e64 v29, null, 0, v29, vcc_lo
	v_add_co_u32 v156, vcc_lo, v156, v44
	v_mul_u32_u24_e32 v158, 0x10001, v126
	v_pk_fma_f16 v24, v84, v125, v24
	v_pk_fma_f16 v25, v85, v125, v25
	;; [unrolled: 1-line block ×8, first 2 shown]
	s_wait_alu 0xfffd
	v_add_co_ci_u32_e64 v157, null, 0, v157, vcc_lo
	v_pk_fma_f16 v60, v92, v62, v24
	v_pk_fma_f16 v61, v93, v62, v25
	;; [unrolled: 1-line block ×8, first 2 shown]
	s_wait_dscnt 0x0
	s_barrier_signal -1
	s_barrier_wait -1
	global_inv scope:SCOPE_SE
	ds_load_2addr_b64 v[20:23], v32 offset1:32
	ds_load_2addr_b64 v[24:27], v32 offset0:64 offset1:96
	ds_load_b128 v[56:59], v46 offset:48
	ds_load_2addr_b64 v[64:67], v32 offset0:128 offset1:160
	ds_load_2addr_b64 v[68:71], v32 offset0:192 offset1:224
	ds_load_2addr_b64 v[72:75], v53 offset1:32
	ds_load_2addr_b64 v[76:79], v53 offset0:64 offset1:96
	ds_load_2addr_b64 v[80:83], v53 offset0:128 offset1:160
	ds_load_2addr_b64 v[84:87], v53 offset0:192 offset1:224
	ds_load_2addr_b64 v[88:91], v54 offset1:32
	ds_load_2addr_b64 v[92:95], v54 offset0:64 offset1:96
	ds_load_2addr_b64 v[96:99], v54 offset0:128 offset1:160
	ds_load_2addr_b64 v[104:107], v54 offset0:192 offset1:224
	ds_load_2addr_b64 v[124:127], v55 offset1:32
	ds_load_2addr_b64 v[128:131], v55 offset0:64 offset1:96
	ds_load_2addr_b64 v[132:135], v55 offset0:128 offset1:160
	ds_load_2addr_b64 v[136:139], v55 offset0:192 offset1:224
	s_wait_loadcnt_dscnt 0x0
	s_barrier_signal -1
	s_barrier_wait -1
	global_inv scope:SCOPE_SE
	s_clause 0x3
	global_load_b128 v[140:143], v[28:29], off
	global_load_b128 v[144:147], v[28:29], off offset:512
	global_load_b128 v[148:151], v[156:157], off
	global_load_b128 v[152:155], v[156:157], off offset:512
	v_lshrrev_b32_e32 v164, 16, v63
	v_and_b32_e32 v63, 0xffff, v63
	v_pk_fma_f16 v60, v100, v158, v60
	v_pk_fma_f16 v61, v101, v158, v61
	;; [unrolled: 1-line block ×3, first 2 shown]
	v_mul_u32_u24_e32 v164, 0x10001, v164
	v_mul_u32_u24_e32 v63, 0x10001, v63
	v_pk_fma_f16 v62, v103, v158, v62
	s_or_b32 s2, s10, 40
	s_wait_loadcnt 0x3
	ds_store_b128 v47, v[140:143]
	s_wait_loadcnt 0x2
	ds_store_b128 v49, v[144:147]
	;; [unrolled: 2-line block ×4, first 2 shown]
	v_pk_fma_f16 v101, v108, v63, v160
	v_pk_fma_f16 v102, v109, v63, v161
	;; [unrolled: 1-line block ×12, first 2 shown]
	v_lshrrev_b32_e32 v108, 16, v56
	v_and_b32_e32 v56, 0xffff, v56
	v_pk_fma_f16 v60, v120, v164, v60
	v_pk_fma_f16 v61, v121, v164, v61
	;; [unrolled: 1-line block ×4, first 2 shown]
	v_mul_u32_u24_e32 v56, 0x10001, v56
	v_lshrrev_b32_e32 v109, 16, v57
	v_and_b32_e32 v57, 0xffff, v57
	v_mul_u32_u24_e32 v108, 0x10001, v108
	s_wait_alu 0xfffe
	s_ashr_i32 s3, s2, 31
	v_pk_fma_f16 v20, v20, v56, v63
	v_pk_fma_f16 v21, v21, v56, v101
	v_pk_fma_f16 v22, v22, v56, v102
	v_pk_fma_f16 v23, v23, v56, v103
	v_mul_u32_u24_e32 v57, 0x10001, v57
	v_pk_fma_f16 v24, v24, v56, v60
	v_pk_fma_f16 v25, v25, v56, v61
	;; [unrolled: 1-line block ×8, first 2 shown]
	s_wait_alu 0xfffe
	s_mul_u64 s[2:3], s[2:3], s[14:15]
	v_lshrrev_b32_e32 v110, 16, v58
	s_wait_alu 0xfffe
	s_lshl_b64 s[2:3], s[2:3], 2
	v_and_b32_e32 v58, 0xffff, v58
	v_mul_u32_u24_e32 v109, 0x10001, v109
	v_pk_fma_f16 v24, v68, v108, v24
	v_pk_fma_f16 v25, v69, v108, v25
	;; [unrolled: 1-line block ×8, first 2 shown]
	s_wait_alu 0xfffe
	s_add_nc_u64 s[2:3], s[8:9], s[2:3]
	v_mul_u32_u24_e32 v58, 0x10001, v58
	s_wait_alu 0xfffe
	v_add_co_u32 v28, vcc_lo, s2, v12
	s_wait_alu 0xfffd
	v_add_co_ci_u32_e64 v29, null, s3, v13, vcc_lo
	v_add_co_u32 v156, vcc_lo, s2, v14
	v_pk_fma_f16 v24, v76, v57, v24
	v_pk_fma_f16 v25, v77, v57, v25
	;; [unrolled: 1-line block ×8, first 2 shown]
	s_wait_alu 0xfffd
	v_add_co_ci_u32_e64 v157, null, s3, v15, vcc_lo
	v_add_co_u32 v28, vcc_lo, v28, v44
	s_wait_alu 0xfffd
	v_add_co_ci_u32_e64 v29, null, 0, v29, vcc_lo
	v_add_co_u32 v156, vcc_lo, v156, v44
	v_mul_u32_u24_e32 v158, 0x10001, v110
	v_pk_fma_f16 v24, v84, v109, v24
	v_pk_fma_f16 v25, v85, v109, v25
	;; [unrolled: 1-line block ×8, first 2 shown]
	s_wait_alu 0xfffd
	v_add_co_ci_u32_e64 v157, null, 0, v157, vcc_lo
	v_pk_fma_f16 v56, v92, v58, v24
	v_pk_fma_f16 v57, v93, v58, v25
	v_pk_fma_f16 v159, v94, v58, v26
	v_pk_fma_f16 v58, v95, v58, v27
	v_pk_fma_f16 v160, v96, v158, v20
	v_pk_fma_f16 v161, v97, v158, v21
	v_pk_fma_f16 v162, v98, v158, v22
	v_pk_fma_f16 v163, v99, v158, v23
	s_wait_dscnt 0x0
	s_barrier_signal -1
	s_barrier_wait -1
	global_inv scope:SCOPE_SE
	ds_load_2addr_b64 v[20:23], v32 offset1:32
	ds_load_2addr_b64 v[24:27], v32 offset0:64 offset1:96
	ds_load_b128 v[60:63], v46 offset:64
	ds_load_2addr_b64 v[64:67], v32 offset0:128 offset1:160
	ds_load_2addr_b64 v[68:71], v32 offset0:192 offset1:224
	ds_load_2addr_b64 v[72:75], v53 offset1:32
	ds_load_2addr_b64 v[76:79], v53 offset0:64 offset1:96
	ds_load_2addr_b64 v[80:83], v53 offset0:128 offset1:160
	ds_load_2addr_b64 v[84:87], v53 offset0:192 offset1:224
	ds_load_2addr_b64 v[88:91], v54 offset1:32
	ds_load_2addr_b64 v[92:95], v54 offset0:64 offset1:96
	;; [unrolled: 4-line block ×3, first 2 shown]
	ds_load_2addr_b64 v[116:119], v55 offset0:128 offset1:160
	ds_load_2addr_b64 v[120:123], v55 offset0:192 offset1:224
	s_wait_loadcnt_dscnt 0x0
	s_barrier_signal -1
	s_barrier_wait -1
	global_inv scope:SCOPE_SE
	s_clause 0x3
	global_load_b128 v[140:143], v[28:29], off
	global_load_b128 v[144:147], v[28:29], off offset:512
	global_load_b128 v[148:151], v[156:157], off
	global_load_b128 v[152:155], v[156:157], off offset:512
	v_lshrrev_b32_e32 v164, 16, v59
	v_and_b32_e32 v59, 0xffff, v59
	v_pk_fma_f16 v56, v104, v158, v56
	v_pk_fma_f16 v57, v105, v158, v57
	;; [unrolled: 1-line block ×3, first 2 shown]
	v_mul_u32_u24_e32 v164, 0x10001, v164
	v_mul_u32_u24_e32 v59, 0x10001, v59
	v_pk_fma_f16 v58, v107, v158, v58
	s_or_b32 s2, s10, 48
	s_wait_loadcnt 0x3
	ds_store_b128 v47, v[140:143]
	s_wait_loadcnt 0x2
	ds_store_b128 v49, v[144:147]
	s_wait_loadcnt 0x1
	ds_store_b128 v50, v[148:151]
	s_wait_loadcnt 0x0
	ds_store_b128 v51, v[152:155]
	v_pk_fma_f16 v105, v124, v59, v160
	v_pk_fma_f16 v106, v125, v59, v161
	;; [unrolled: 1-line block ×12, first 2 shown]
	v_lshrrev_b32_e32 v124, 16, v60
	v_and_b32_e32 v60, 0xffff, v60
	v_pk_fma_f16 v56, v136, v164, v56
	v_pk_fma_f16 v57, v137, v164, v57
	;; [unrolled: 1-line block ×4, first 2 shown]
	v_mul_u32_u24_e32 v60, 0x10001, v60
	v_lshrrev_b32_e32 v125, 16, v61
	v_and_b32_e32 v61, 0xffff, v61
	v_mul_u32_u24_e32 v124, 0x10001, v124
	s_wait_alu 0xfffe
	s_ashr_i32 s3, s2, 31
	v_pk_fma_f16 v20, v20, v60, v59
	v_pk_fma_f16 v21, v21, v60, v105
	;; [unrolled: 1-line block ×4, first 2 shown]
	v_mul_u32_u24_e32 v61, 0x10001, v61
	v_pk_fma_f16 v24, v24, v60, v56
	v_pk_fma_f16 v25, v25, v60, v57
	v_pk_fma_f16 v26, v26, v60, v104
	v_pk_fma_f16 v27, v27, v60, v58
	v_pk_fma_f16 v20, v64, v124, v20
	v_pk_fma_f16 v21, v65, v124, v21
	v_pk_fma_f16 v22, v66, v124, v22
	v_pk_fma_f16 v23, v67, v124, v23
	s_wait_alu 0xfffe
	s_mul_u64 s[2:3], s[2:3], s[14:15]
	v_lshrrev_b32_e32 v126, 16, v62
	s_wait_alu 0xfffe
	s_lshl_b64 s[2:3], s[2:3], 2
	v_and_b32_e32 v62, 0xffff, v62
	v_mul_u32_u24_e32 v125, 0x10001, v125
	v_pk_fma_f16 v24, v68, v124, v24
	v_pk_fma_f16 v25, v69, v124, v25
	;; [unrolled: 1-line block ×8, first 2 shown]
	s_wait_alu 0xfffe
	s_add_nc_u64 s[2:3], s[8:9], s[2:3]
	v_mul_u32_u24_e32 v62, 0x10001, v62
	s_wait_alu 0xfffe
	v_add_co_u32 v28, vcc_lo, s2, v12
	s_wait_alu 0xfffd
	v_add_co_ci_u32_e64 v29, null, s3, v13, vcc_lo
	v_add_co_u32 v156, vcc_lo, s2, v14
	v_pk_fma_f16 v24, v76, v61, v24
	v_pk_fma_f16 v25, v77, v61, v25
	;; [unrolled: 1-line block ×8, first 2 shown]
	s_wait_alu 0xfffd
	v_add_co_ci_u32_e64 v157, null, s3, v15, vcc_lo
	v_add_co_u32 v28, vcc_lo, v28, v44
	s_wait_alu 0xfffd
	v_add_co_ci_u32_e64 v29, null, 0, v29, vcc_lo
	v_add_co_u32 v156, vcc_lo, v156, v44
	v_mul_u32_u24_e32 v158, 0x10001, v126
	v_pk_fma_f16 v24, v84, v125, v24
	v_pk_fma_f16 v25, v85, v125, v25
	;; [unrolled: 1-line block ×8, first 2 shown]
	s_wait_alu 0xfffd
	v_add_co_ci_u32_e64 v157, null, 0, v157, vcc_lo
	v_pk_fma_f16 v60, v92, v62, v24
	v_pk_fma_f16 v61, v93, v62, v25
	;; [unrolled: 1-line block ×8, first 2 shown]
	s_wait_dscnt 0x0
	s_barrier_signal -1
	s_barrier_wait -1
	global_inv scope:SCOPE_SE
	ds_load_2addr_b64 v[20:23], v32 offset1:32
	ds_load_2addr_b64 v[24:27], v32 offset0:64 offset1:96
	ds_load_b128 v[56:59], v46 offset:80
	ds_load_2addr_b64 v[64:67], v32 offset0:128 offset1:160
	ds_load_2addr_b64 v[68:71], v32 offset0:192 offset1:224
	ds_load_2addr_b64 v[72:75], v53 offset1:32
	ds_load_2addr_b64 v[76:79], v53 offset0:64 offset1:96
	ds_load_2addr_b64 v[80:83], v53 offset0:128 offset1:160
	ds_load_2addr_b64 v[84:87], v53 offset0:192 offset1:224
	ds_load_2addr_b64 v[88:91], v54 offset1:32
	ds_load_2addr_b64 v[92:95], v54 offset0:64 offset1:96
	;; [unrolled: 4-line block ×3, first 2 shown]
	ds_load_2addr_b64 v[132:135], v55 offset0:128 offset1:160
	ds_load_2addr_b64 v[136:139], v55 offset0:192 offset1:224
	s_wait_loadcnt_dscnt 0x0
	s_barrier_signal -1
	s_barrier_wait -1
	global_inv scope:SCOPE_SE
	s_clause 0x3
	global_load_b128 v[140:143], v[28:29], off
	global_load_b128 v[144:147], v[28:29], off offset:512
	global_load_b128 v[148:151], v[156:157], off
	global_load_b128 v[152:155], v[156:157], off offset:512
	v_lshrrev_b32_e32 v164, 16, v63
	v_and_b32_e32 v63, 0xffff, v63
	v_pk_fma_f16 v60, v100, v158, v60
	v_pk_fma_f16 v61, v101, v158, v61
	;; [unrolled: 1-line block ×3, first 2 shown]
	v_mul_u32_u24_e32 v164, 0x10001, v164
	v_mul_u32_u24_e32 v63, 0x10001, v63
	v_pk_fma_f16 v62, v103, v158, v62
	s_or_b32 s2, s10, 56
	s_wait_loadcnt 0x3
	ds_store_b128 v47, v[140:143]
	s_wait_loadcnt 0x2
	ds_store_b128 v49, v[144:147]
	;; [unrolled: 2-line block ×4, first 2 shown]
	v_pk_fma_f16 v101, v108, v63, v160
	v_pk_fma_f16 v102, v109, v63, v161
	;; [unrolled: 1-line block ×12, first 2 shown]
	v_and_b32_e32 v108, 0xffff, v56
	v_pk_fma_f16 v60, v120, v164, v60
	v_pk_fma_f16 v61, v121, v164, v61
	;; [unrolled: 1-line block ×4, first 2 shown]
	v_lshrrev_b32_e32 v56, 16, v56
	v_mul_u32_u24_e32 v108, 0x10001, v108
	s_wait_alu 0xfffe
	s_ashr_i32 s3, s2, 31
	v_and_b32_e32 v109, 0xffff, v57
	s_wait_alu 0xfffe
	s_mul_u64 s[2:3], s[2:3], s[14:15]
	v_mul_u32_u24_e32 v56, 0x10001, v56
	v_pk_fma_f16 v20, v20, v108, v63
	v_pk_fma_f16 v21, v21, v108, v101
	v_pk_fma_f16 v22, v22, v108, v102
	v_pk_fma_f16 v23, v23, v108, v103
	v_pk_fma_f16 v24, v24, v108, v60
	v_pk_fma_f16 v25, v25, v108, v61
	v_pk_fma_f16 v26, v26, v108, v100
	v_pk_fma_f16 v27, v27, v108, v62
	s_wait_alu 0xfffe
	s_lshl_b64 s[2:3], s[2:3], 2
	v_lshrrev_b32_e32 v57, 16, v57
	v_mul_u32_u24_e32 v109, 0x10001, v109
	v_pk_fma_f16 v20, v64, v56, v20
	v_pk_fma_f16 v21, v65, v56, v21
	v_pk_fma_f16 v22, v66, v56, v22
	v_pk_fma_f16 v23, v67, v56, v23
	v_pk_fma_f16 v24, v68, v56, v24
	v_pk_fma_f16 v25, v69, v56, v25
	v_pk_fma_f16 v26, v70, v56, v26
	v_pk_fma_f16 v27, v71, v56, v27
	s_wait_alu 0xfffe
	s_add_nc_u64 s[2:3], s[8:9], s[2:3]
	v_and_b32_e32 v110, 0xffff, v58
	s_wait_alu 0xfffe
	v_add_co_u32 v28, vcc_lo, s2, v12
	s_wait_alu 0xfffd
	v_add_co_ci_u32_e64 v29, null, s3, v13, vcc_lo
	v_add_co_u32 v156, vcc_lo, s2, v14
	v_mul_u32_u24_e32 v57, 0x10001, v57
	v_pk_fma_f16 v20, v72, v109, v20
	v_pk_fma_f16 v21, v73, v109, v21
	;; [unrolled: 1-line block ×8, first 2 shown]
	s_wait_alu 0xfffd
	v_add_co_ci_u32_e64 v157, null, s3, v15, vcc_lo
	v_add_co_u32 v28, vcc_lo, v28, v44
	s_wait_alu 0xfffd
	v_add_co_ci_u32_e64 v29, null, 0, v29, vcc_lo
	v_add_co_u32 v156, vcc_lo, v156, v44
	v_mul_u32_u24_e32 v110, 0x10001, v110
	v_pk_fma_f16 v20, v80, v57, v20
	v_pk_fma_f16 v21, v81, v57, v21
	;; [unrolled: 1-line block ×8, first 2 shown]
	s_wait_alu 0xfffd
	v_add_co_ci_u32_e64 v157, null, 0, v157, vcc_lo
	v_pk_fma_f16 v56, v88, v110, v20
	v_pk_fma_f16 v57, v89, v110, v21
	;; [unrolled: 1-line block ×8, first 2 shown]
	s_wait_dscnt 0x0
	s_barrier_signal -1
	s_barrier_wait -1
	global_inv scope:SCOPE_SE
	ds_load_2addr_b64 v[20:23], v32 offset1:32
	ds_load_2addr_b64 v[24:27], v32 offset0:64 offset1:96
	ds_load_b128 v[60:63], v46 offset:96
	ds_load_2addr_b64 v[64:67], v32 offset0:128 offset1:160
	ds_load_2addr_b64 v[68:71], v32 offset0:192 offset1:224
	ds_load_2addr_b64 v[72:75], v53 offset1:32
	ds_load_2addr_b64 v[76:79], v53 offset0:64 offset1:96
	ds_load_2addr_b64 v[80:83], v53 offset0:128 offset1:160
	ds_load_2addr_b64 v[84:87], v53 offset0:192 offset1:224
	ds_load_2addr_b64 v[88:91], v54 offset1:32
	ds_load_2addr_b64 v[92:95], v54 offset0:64 offset1:96
	;; [unrolled: 4-line block ×3, first 2 shown]
	ds_load_2addr_b64 v[120:123], v55 offset0:128 offset1:160
	ds_load_2addr_b64 v[140:143], v55 offset0:192 offset1:224
	s_wait_loadcnt_dscnt 0x0
	s_barrier_signal -1
	s_barrier_wait -1
	global_inv scope:SCOPE_SE
	s_clause 0x3
	global_load_b128 v[144:147], v[28:29], off
	global_load_b128 v[148:151], v[28:29], off offset:512
	global_load_b128 v[152:155], v[156:157], off
	global_load_b128 v[156:159], v[156:157], off offset:512
	v_dual_mov_b32 v28, v39 :: v_dual_add_f32 v39, v17, v18
	v_lshrrev_b32_e32 v17, 16, v58
	v_and_b32_e32 v18, 0xffff, v59
	s_wait_loadcnt 0x3
	ds_store_b128 v47, v[144:147]
	s_wait_loadcnt 0x2
	ds_store_b128 v49, v[148:151]
	;; [unrolled: 2-line block ×4, first 2 shown]
	v_mul_u32_u24_e32 v17, 0x10001, v17
	v_fmac_f32_e32 v39, v28, v19
	v_lshrrev_b32_e32 v19, 16, v59
	v_mul_u32_u24_e32 v18, 0x10001, v18
	s_wait_dscnt 0x0
	v_pk_fma_f16 v28, v96, v17, v56
	v_pk_fma_f16 v29, v97, v17, v57
	;; [unrolled: 1-line block ×8, first 2 shown]
	v_mul_u32_u24_e32 v19, 0x10001, v19
	v_pk_fma_f16 v28, v124, v18, v28
	v_pk_fma_f16 v29, v125, v18, v29
	;; [unrolled: 1-line block ×16, first 2 shown]
	v_lshrrev_b32_e32 v19, 16, v60
	v_and_b32_e32 v60, 0xffff, v60
	v_lshrrev_b32_e32 v96, 16, v61
	v_and_b32_e32 v61, 0xffff, v61
	v_lshrrev_b32_e32 v97, 16, v62
	v_mul_u32_u24_e32 v19, 0x10001, v19
	v_mul_u32_u24_e32 v60, 0x10001, v60
	v_and_b32_e32 v62, 0xffff, v62
	v_mul_u32_u24_e32 v61, 0x10001, v61
	v_mul_u32_u24_e32 v96, 0x10001, v96
	v_lshrrev_b32_e32 v98, 16, v63
	v_pk_fma_f16 v18, v20, v60, v18
	v_pk_fma_f16 v20, v21, v60, v28
	;; [unrolled: 1-line block ×24, first 2 shown]
	v_mul_u32_u24_e32 v62, 0x10001, v62
	v_pk_fma_f16 v18, v80, v96, v18
	v_pk_fma_f16 v19, v81, v96, v19
	v_pk_fma_f16 v20, v82, v96, v20
	v_pk_fma_f16 v21, v83, v96, v21
	v_pk_fma_f16 v22, v84, v96, v22
	v_pk_fma_f16 v23, v85, v96, v23
	v_pk_fma_f16 v24, v86, v96, v24
	v_pk_fma_f16 v17, v87, v96, v17
	v_and_b32_e32 v63, 0xffff, v63
	v_mul_u32_u24_e32 v97, 0x10001, v97
	v_pk_fma_f16 v18, v88, v62, v18
	v_pk_fma_f16 v19, v89, v62, v19
	v_pk_fma_f16 v20, v90, v62, v20
	v_pk_fma_f16 v21, v91, v62, v21
	v_pk_fma_f16 v22, v92, v62, v22
	v_pk_fma_f16 v23, v93, v62, v23
	v_pk_fma_f16 v24, v94, v62, v24
	v_pk_fma_f16 v17, v95, v62, v17
	v_mul_u32_u24_e32 v63, 0x10001, v63
	v_pk_fma_f16 v18, v100, v97, v18
	v_pk_fma_f16 v19, v101, v97, v19
	v_pk_fma_f16 v20, v102, v97, v20
	v_pk_fma_f16 v21, v103, v97, v21
	v_pk_fma_f16 v22, v108, v97, v22
	v_pk_fma_f16 v23, v109, v97, v23
	v_pk_fma_f16 v24, v110, v97, v24
	v_pk_fma_f16 v17, v111, v97, v17
	;; [unrolled: 9-line block ×3, first 2 shown]
	v_pk_fma_f16 v29, v120, v98, v18
	v_pk_fma_f16 v112, v121, v98, v19
	;; [unrolled: 1-line block ×8, first 2 shown]
	s_barrier_signal -1
	s_barrier_wait -1
	global_inv scope:SCOPE_SE
	ds_load_2addr_b64 v[17:20], v32 offset1:32
	ds_load_2addr_b64 v[21:24], v32 offset0:64 offset1:96
	ds_load_b128 v[25:28], v46 offset:112
	ds_load_2addr_b64 v[56:59], v32 offset0:128 offset1:160
	ds_load_2addr_b64 v[60:63], v32 offset0:192 offset1:224
	ds_load_2addr_b64 v[64:67], v53 offset1:32
	ds_load_2addr_b64 v[68:71], v53 offset0:64 offset1:96
	ds_load_2addr_b64 v[72:75], v53 offset0:128 offset1:160
	ds_load_2addr_b64 v[76:79], v53 offset0:192 offset1:224
	ds_load_2addr_b64 v[80:83], v54 offset1:32
	ds_load_2addr_b64 v[84:87], v54 offset0:64 offset1:96
	;; [unrolled: 4-line block ×3, first 2 shown]
	ds_load_2addr_b64 v[104:107], v55 offset0:128 offset1:160
	ds_load_2addr_b64 v[108:111], v55 offset0:192 offset1:224
	s_wait_loadcnt_dscnt 0x0
	s_barrier_signal -1
	s_barrier_wait -1
	global_inv scope:SCOPE_SE
	s_load_b32 s2, s[24:25], 0x4
	v_lshrrev_b32_e32 v119, 16, v25
	v_and_b32_e32 v25, 0xffff, v25
	v_lshrrev_b32_e32 v120, 16, v26
	v_and_b32_e32 v26, 0xffff, v26
	v_lshrrev_b32_e32 v121, 16, v27
	v_mul_u32_u24_e32 v119, 0x10001, v119
	v_mul_u32_u24_e32 v25, 0x10001, v25
	v_and_b32_e32 v27, 0xffff, v27
	v_mul_u32_u24_e32 v26, 0x10001, v26
	v_mul_u32_u24_e32 v120, 0x10001, v120
	v_lshrrev_b32_e32 v122, 16, v28
	v_pk_fma_f16 v17, v17, v25, v29
	v_pk_fma_f16 v18, v18, v25, v112
	;; [unrolled: 1-line block ×24, first 2 shown]
	v_mul_u32_u24_e32 v27, 0x10001, v27
	v_pk_fma_f16 v17, v72, v120, v17
	v_pk_fma_f16 v18, v73, v120, v18
	;; [unrolled: 1-line block ×8, first 2 shown]
	v_and_b32_e32 v28, 0xffff, v28
	v_mul_u32_u24_e32 v121, 0x10001, v121
	v_pk_fma_f16 v17, v80, v27, v17
	v_pk_fma_f16 v18, v81, v27, v18
	v_pk_fma_f16 v19, v82, v27, v19
	v_pk_fma_f16 v20, v83, v27, v20
	v_pk_fma_f16 v21, v84, v27, v21
	v_pk_fma_f16 v22, v85, v27, v22
	v_pk_fma_f16 v23, v86, v27, v23
	v_pk_fma_f16 v24, v87, v27, v24
	v_mul_u32_u24_e32 v28, 0x10001, v28
	v_pk_fma_f16 v17, v88, v121, v17
	v_pk_fma_f16 v18, v89, v121, v18
	v_pk_fma_f16 v19, v90, v121, v19
	v_pk_fma_f16 v20, v91, v121, v20
	v_pk_fma_f16 v21, v92, v121, v21
	v_pk_fma_f16 v22, v93, v121, v22
	v_pk_fma_f16 v23, v94, v121, v23
	v_pk_fma_f16 v24, v95, v121, v24
	;; [unrolled: 9-line block ×3, first 2 shown]
	s_wait_kmcnt 0x0
	s_lshl_b32 s2, s2, 6
	v_pk_fma_f16 v60, v104, v122, v17
	v_pk_fma_f16 v62, v105, v122, v18
	;; [unrolled: 1-line block ×8, first 2 shown]
	s_wait_alu 0xfffe
	s_add_co_i32 s10, s2, s10
	s_wait_alu 0xfffe
	s_cmp_ge_i32 s10, s30
	s_cbranch_scc0 .LBB20_11
; %bb.12:
	v_dual_mov_b32 v3, 32 :: v_dual_mov_b32 v4, v33
.LBB20_13:
	s_delay_alu instid0(VALU_DEP_1)
	v_cmp_lt_i32_e32 vcc_lo, v38, v3
	s_cmp_lg_u64 s[12:13], 0
	s_cselect_b32 s2, -1, 0
	s_cmp_eq_u32 s4, 0
	s_wait_alu 0xfffd
	v_cndmask_b32_e32 v0, v4, v38, vcc_lo
	v_cmp_lt_i32_e32 vcc_lo, v37, v3
	s_cselect_b32 s3, -1, 0
	s_wait_alu 0xfffe
	s_and_b32 s2, s3, s2
	s_wait_alu 0xfffd
	v_cndmask_b32_e32 v5, v4, v37, vcc_lo
	v_cmp_lt_i32_e32 vcc_lo, v36, v3
	s_delay_alu instid0(VALU_DEP_2)
	v_lshlrev_b32_e32 v5, 2, v5
	v_lshlrev_b32_e32 v0, 2, v0
	s_wait_alu 0xfffd
	v_cndmask_b32_e32 v6, v4, v36, vcc_lo
	v_cmp_lt_i32_e32 vcc_lo, v35, v3
	ds_bpermute_b32 v0, v0, v39
	v_lshlrev_b32_e32 v6, 2, v6
	s_wait_dscnt 0x0
	v_add_f32_e32 v0, v39, v0
	ds_bpermute_b32 v5, v5, v0
	s_wait_dscnt 0x0
	v_add_f32_e32 v0, v0, v5
	ds_bpermute_b32 v5, v6, v0
	s_wait_alu 0xfffd
	v_cndmask_b32_e32 v6, v4, v35, vcc_lo
	v_cmp_lt_i32_e32 vcc_lo, v34, v3
	s_delay_alu instid0(VALU_DEP_2)
	v_lshlrev_b32_e32 v6, 2, v6
	s_wait_alu 0xfffd
	v_cndmask_b32_e32 v3, v4, v34, vcc_lo
	s_wait_alu 0xfffe
	s_and_b32 vcc_lo, exec_lo, s2
	s_wait_dscnt 0x0
	s_delay_alu instid0(VALU_DEP_1)
	v_dual_add_f32 v0, v0, v5 :: v_dual_lshlrev_b32 v3, 2, v3
	ds_bpermute_b32 v5, v6, v0
	s_wait_dscnt 0x0
	v_add_f32_e32 v0, v0, v5
	ds_bpermute_b32 v4, v3, v0
	v_add_nc_u32_e32 v3, s33, v31
	s_wait_dscnt 0x0
	v_add_f32_e32 v17, v0, v4
	s_wait_alu 0xfffe
	s_cbranch_vccz .LBB20_15
; %bb.14:
	v_ashrrev_i32_e32 v4, 31, v3
	s_delay_alu instid0(VALU_DEP_1) | instskip(NEXT) | instid1(VALU_DEP_1)
	v_lshlrev_b64_e32 v[4:5], 2, v[3:4]
	v_add_co_u32 v4, vcc_lo, s12, v4
	s_wait_alu 0xfffd
	s_delay_alu instid0(VALU_DEP_2) | instskip(SKIP_4) | instid1(VALU_DEP_1)
	v_add_co_ci_u32_e64 v5, null, s13, v5, vcc_lo
	global_load_b32 v0, v[4:5], off
	v_max_num_f32_e32 v4, v16, v16
	s_wait_loadcnt 0x0
	v_max_num_f32_e32 v5, v0, v0
	v_max_num_f32_e32 v4, v4, v5
	s_delay_alu instid0(VALU_DEP_1) | instskip(NEXT) | instid1(VALU_DEP_1)
	v_sub_f32_e32 v0, v0, v4
	v_mul_f32_e32 v9, 0x3fb8aa3b, v0
	v_sub_f32_e32 v5, v16, v4
	v_mov_b32_e32 v16, v4
	s_delay_alu instid0(VALU_DEP_3) | instskip(NEXT) | instid1(VALU_DEP_3)
	v_rndne_f32_e32 v11, v9
	v_mul_f32_e32 v6, 0x3fb8aa3b, v5
	v_fma_f32 v10, 0x3fb8aa3b, v0, -v9
	v_cmp_ngt_f32_e32 vcc_lo, 0xc2ce8ed0, v5
	s_delay_alu instid0(VALU_DEP_3) | instskip(SKIP_1) | instid1(VALU_DEP_2)
	v_fma_f32 v7, 0x3fb8aa3b, v5, -v6
	v_rndne_f32_e32 v8, v6
	v_dual_fmac_f32 v10, 0x32a5705f, v0 :: v_dual_fmac_f32 v7, 0x32a5705f, v5
	s_delay_alu instid0(VALU_DEP_2) | instskip(SKIP_1) | instid1(VALU_DEP_2)
	v_sub_f32_e32 v6, v6, v8
	v_cvt_i32_f32_e32 v8, v8
	v_add_f32_e32 v6, v6, v7
	v_sub_f32_e32 v7, v9, v11
	s_delay_alu instid0(VALU_DEP_2) | instskip(NEXT) | instid1(VALU_DEP_1)
	v_exp_f32_e32 v6, v6
	v_add_f32_e32 v7, v7, v10
	s_delay_alu instid0(VALU_DEP_1) | instskip(NEXT) | instid1(TRANS32_DEP_2)
	v_exp_f32_e32 v7, v7
	v_ldexp_f32 v6, v6, v8
	v_cvt_i32_f32_e32 v8, v11
	s_wait_alu 0xfffd
	s_delay_alu instid0(VALU_DEP_2)
	v_cndmask_b32_e32 v6, 0, v6, vcc_lo
	v_cmp_nlt_f32_e32 vcc_lo, 0x42b17218, v5
	s_delay_alu instid0(TRANS32_DEP_1) | instid1(VALU_DEP_3)
	v_ldexp_f32 v7, v7, v8
	s_wait_alu 0xfffd
	s_delay_alu instid0(VALU_DEP_3) | instskip(SKIP_3) | instid1(VALU_DEP_3)
	v_cndmask_b32_e32 v5, 0x7f800000, v6, vcc_lo
	v_cmp_ngt_f32_e32 vcc_lo, 0xc2ce8ed0, v0
	s_wait_alu 0xfffd
	v_cndmask_b32_e32 v6, 0, v7, vcc_lo
	v_cvt_f16_f32_e32 v7, v5
	v_cmp_nlt_f32_e32 vcc_lo, 0x42b17218, v0
	s_wait_alu 0xfffd
	s_delay_alu instid0(VALU_DEP_3) | instskip(NEXT) | instid1(VALU_DEP_3)
	v_cndmask_b32_e32 v0, 0x7f800000, v6, vcc_lo
	v_and_b32_e32 v6, 0xffff, v7
	s_delay_alu instid0(VALU_DEP_2) | instskip(NEXT) | instid1(VALU_DEP_2)
	v_fmac_f32_e32 v0, v17, v5
	v_mul_u32_u24_e32 v5, 0x10001, v6
	s_delay_alu instid0(VALU_DEP_2) | instskip(NEXT) | instid1(VALU_DEP_2)
	v_mov_b32_e32 v17, v0
	v_pk_mul_f16 v60, v60, v5
	v_pk_mul_f16 v62, v62, v5
	;; [unrolled: 1-line block ×8, first 2 shown]
.LBB20_15:
	s_delay_alu instid0(VALU_DEP_1)
	v_div_scale_f32 v4, null, v17, v17, 1.0
	s_load_b32 s1, s[0:1], 0xd4
	v_mad_co_u64_u32 v[0:1], null, s28, s22, v[1:2]
	v_rcp_f32_e32 v5, v4
	v_div_scale_f32 v6, vcc_lo, 1.0, v17, 1.0
	v_cmp_eq_u32_e64 s0, 0, v2
	v_lshrrev_b32_e32 v2, 16, v62
	v_lshrrev_b32_e32 v10, 16, v63
	v_lshrrev_b32_e32 v12, 16, v61
	v_cvt_f32_f16_e32 v7, v62
	v_cvt_f32_f16_e32 v8, v60
	v_cvt_f32_f16_e32 v20, v2
	s_delay_alu instid0(TRANS32_DEP_1)
	v_fma_f32 v1, -v4, v5, 1.0
	v_cvt_f32_f16_e32 v10, v10
	v_cvt_f32_f16_e32 v11, v63
	v_lshrrev_b32_e32 v18, 16, v59
	v_cvt_f32_f16_e32 v15, v61
	v_dual_fmac_f32 v5, v1, v5 :: v_dual_mov_b32 v14, 0
	v_mad_co_u64_u32 v[0:1], null, v0, s23, v[3:4]
	v_lshrrev_b32_e32 v3, 16, v60
	s_delay_alu instid0(VALU_DEP_3)
	v_mul_f32_e32 v9, v6, v5
	s_wait_kmcnt 0x0
	s_cmp_lg_u32 s1, 1
	v_lshrrev_b32_e32 v19, 16, v58
	v_cvt_f32_f16_e32 v29, v57
	v_cvt_f32_f16_e32 v21, v3
	v_mad_co_u64_u32 v[0:1], null, s1, v0, s[4:5]
	v_fma_f32 v1, -v4, v9, v6
	s_cselect_b32 s1, -1, 0
	v_mov_b32_e32 v2, v14
	s_wait_alu 0xfffe
	s_and_b32 s0, s0, s1
	v_fmac_f32_e32 v9, v1, v5
	s_delay_alu instid0(VALU_DEP_4) | instskip(NEXT) | instid1(VALU_DEP_2)
	v_lshl_add_u32 v13, v0, 9, v30
	v_fma_f32 v3, -v4, v9, v6
	v_cvt_f32_f16_e32 v6, v12
	s_wait_alu 0xfffd
	s_delay_alu instid0(VALU_DEP_2) | instskip(SKIP_2) | instid1(VALU_DEP_3)
	v_div_fmas_f32 v5, v3, v5, v9
	v_lshlrev_b64_e32 v[3:4], 2, v[13:14]
	v_add_nc_u32_e32 v9, 0x100, v13
	v_div_fixup_f32 v5, v5, v17, 1.0
	s_delay_alu instid0(VALU_DEP_3) | instskip(SKIP_1) | instid1(VALU_DEP_4)
	v_add_co_u32 v22, vcc_lo, s16, v3
	s_wait_alu 0xfffd
	v_add_co_ci_u32_e64 v23, null, s17, v4, vcc_lo
	s_delay_alu instid0(VALU_DEP_3) | instskip(SKIP_2) | instid1(VALU_DEP_3)
	v_cndmask_b32_e64 v28, v5, 1.0, s1
	v_add_nc_u32_e32 v1, 0x80, v13
	v_add_nc_u32_e32 v13, 0x180, v13
	v_mul_f32_e32 v3, v28, v7
	s_delay_alu instid0(VALU_DEP_3)
	v_lshlrev_b64_e32 v[1:2], 2, v[1:2]
	v_mul_f32_e32 v7, v28, v11
	v_mul_f32_e32 v6, v28, v6
	v_cvt_f32_f16_e32 v11, v18
	v_mul_f32_e32 v4, v28, v20
	v_mul_f32_e32 v5, v28, v15
	v_add_co_u32 v24, vcc_lo, s16, v1
	v_mul_f32_e32 v1, v28, v8
	v_mul_f32_e32 v8, v28, v10
	v_mov_b32_e32 v10, v14
	v_cvt_f32_f16_e32 v15, v59
	v_cvt_f32_f16_e32 v20, v19
	v_mul_f32_e32 v12, v28, v11
	v_lshlrev_b64_e32 v[13:14], 2, v[13:14]
	v_lshlrev_b64_e32 v[18:19], 2, v[9:10]
	v_mul_f32_e32 v11, v28, v15
	v_mul_f32_e32 v10, v28, v20
	v_lshrrev_b32_e32 v15, 16, v56
	v_lshrrev_b32_e32 v20, 16, v57
	s_wait_alu 0xfffd
	v_add_co_ci_u32_e64 v25, null, s17, v2, vcc_lo
	v_add_co_u32 v26, vcc_lo, s16, v18
	v_mul_f32_e32 v2, v28, v21
	v_cvt_f32_f16_e32 v21, v58
	s_wait_alu 0xfffd
	v_add_co_ci_u32_e64 v27, null, s17, v19, vcc_lo
	v_cvt_f32_f16_e32 v15, v15
	v_cvt_f32_f16_e32 v18, v56
	;; [unrolled: 1-line block ×3, first 2 shown]
	v_add_co_u32 v13, vcc_lo, s16, v13
	v_mul_f32_e32 v9, v28, v21
	v_mul_f32_e32 v21, v28, v15
	;; [unrolled: 1-line block ×5, first 2 shown]
	s_wait_alu 0xfffd
	v_add_co_ci_u32_e64 v14, null, s17, v14, vcc_lo
	s_clause 0x3
	global_store_b128 v[22:23], v[1:4], off
	global_store_b128 v[24:25], v[5:8], off
	;; [unrolled: 1-line block ×4, first 2 shown]
	s_wait_alu 0xfffe
	s_and_saveexec_b32 s1, s0
	s_cbranch_execz .LBB20_17
; %bb.16:
	v_ashrrev_i32_e32 v1, 31, v0
	s_delay_alu instid0(VALU_DEP_1) | instskip(NEXT) | instid1(VALU_DEP_1)
	v_lshlrev_b64_e32 v[0:1], 3, v[0:1]
	v_add_co_u32 v0, vcc_lo, s18, v0
	s_wait_alu 0xfffd
	s_delay_alu instid0(VALU_DEP_2)
	v_add_co_ci_u32_e64 v1, null, s19, v1, vcc_lo
	global_store_b64 v[0:1], v[16:17], off
.LBB20_17:
	s_nop 0
	s_sendmsg sendmsg(MSG_DEALLOC_VGPRS)
	s_endpgm
	.section	.rodata,"a",@progbits
	.p2align	6, 0x0
	.amdhsa_kernel _ZL15flash_attn_tileILi576ELi512ELi1ELi4ELb0EEvPKcS1_S1_S1_S1_PKiPfP15HIP_vector_typeIfLj2EEffffjfiS5_IjLj3EEiiiiiiiiiiiliiliiiiil
		.amdhsa_group_segment_fixed_size 14336
		.amdhsa_private_segment_fixed_size 0
		.amdhsa_kernarg_size 464
		.amdhsa_user_sgpr_count 2
		.amdhsa_user_sgpr_dispatch_ptr 0
		.amdhsa_user_sgpr_queue_ptr 0
		.amdhsa_user_sgpr_kernarg_segment_ptr 1
		.amdhsa_user_sgpr_dispatch_id 0
		.amdhsa_user_sgpr_private_segment_size 0
		.amdhsa_wavefront_size32 1
		.amdhsa_uses_dynamic_stack 0
		.amdhsa_enable_private_segment 0
		.amdhsa_system_sgpr_workgroup_id_x 1
		.amdhsa_system_sgpr_workgroup_id_y 1
		.amdhsa_system_sgpr_workgroup_id_z 1
		.amdhsa_system_sgpr_workgroup_info 0
		.amdhsa_system_vgpr_workitem_id 1
		.amdhsa_next_free_vgpr 166
		.amdhsa_next_free_sgpr 42
		.amdhsa_reserve_vcc 1
		.amdhsa_float_round_mode_32 0
		.amdhsa_float_round_mode_16_64 0
		.amdhsa_float_denorm_mode_32 3
		.amdhsa_float_denorm_mode_16_64 3
		.amdhsa_fp16_overflow 0
		.amdhsa_workgroup_processor_mode 1
		.amdhsa_memory_ordered 1
		.amdhsa_forward_progress 1
		.amdhsa_inst_pref_size 127
		.amdhsa_round_robin_scheduling 0
		.amdhsa_exception_fp_ieee_invalid_op 0
		.amdhsa_exception_fp_denorm_src 0
		.amdhsa_exception_fp_ieee_div_zero 0
		.amdhsa_exception_fp_ieee_overflow 0
		.amdhsa_exception_fp_ieee_underflow 0
		.amdhsa_exception_fp_ieee_inexact 0
		.amdhsa_exception_int_div_zero 0
	.end_amdhsa_kernel
	.section	.text._ZL15flash_attn_tileILi576ELi512ELi1ELi4ELb0EEvPKcS1_S1_S1_S1_PKiPfP15HIP_vector_typeIfLj2EEffffjfiS5_IjLj3EEiiiiiiiiiiiliiliiiiil,"axG",@progbits,_ZL15flash_attn_tileILi576ELi512ELi1ELi4ELb0EEvPKcS1_S1_S1_S1_PKiPfP15HIP_vector_typeIfLj2EEffffjfiS5_IjLj3EEiiiiiiiiiiiliiliiiiil,comdat
.Lfunc_end20:
	.size	_ZL15flash_attn_tileILi576ELi512ELi1ELi4ELb0EEvPKcS1_S1_S1_S1_PKiPfP15HIP_vector_typeIfLj2EEffffjfiS5_IjLj3EEiiiiiiiiiiiliiliiiiil, .Lfunc_end20-_ZL15flash_attn_tileILi576ELi512ELi1ELi4ELb0EEvPKcS1_S1_S1_S1_PKiPfP15HIP_vector_typeIfLj2EEffffjfiS5_IjLj3EEiiiiiiiiiiiliiliiiiil
                                        ; -- End function
	.set _ZL15flash_attn_tileILi576ELi512ELi1ELi4ELb0EEvPKcS1_S1_S1_S1_PKiPfP15HIP_vector_typeIfLj2EEffffjfiS5_IjLj3EEiiiiiiiiiiiliiliiiiil.num_vgpr, 166
	.set _ZL15flash_attn_tileILi576ELi512ELi1ELi4ELb0EEvPKcS1_S1_S1_S1_PKiPfP15HIP_vector_typeIfLj2EEffffjfiS5_IjLj3EEiiiiiiiiiiiliiliiiiil.num_agpr, 0
	.set _ZL15flash_attn_tileILi576ELi512ELi1ELi4ELb0EEvPKcS1_S1_S1_S1_PKiPfP15HIP_vector_typeIfLj2EEffffjfiS5_IjLj3EEiiiiiiiiiiiliiliiiiil.numbered_sgpr, 42
	.set _ZL15flash_attn_tileILi576ELi512ELi1ELi4ELb0EEvPKcS1_S1_S1_S1_PKiPfP15HIP_vector_typeIfLj2EEffffjfiS5_IjLj3EEiiiiiiiiiiiliiliiiiil.num_named_barrier, 0
	.set _ZL15flash_attn_tileILi576ELi512ELi1ELi4ELb0EEvPKcS1_S1_S1_S1_PKiPfP15HIP_vector_typeIfLj2EEffffjfiS5_IjLj3EEiiiiiiiiiiiliiliiiiil.private_seg_size, 0
	.set _ZL15flash_attn_tileILi576ELi512ELi1ELi4ELb0EEvPKcS1_S1_S1_S1_PKiPfP15HIP_vector_typeIfLj2EEffffjfiS5_IjLj3EEiiiiiiiiiiiliiliiiiil.uses_vcc, 1
	.set _ZL15flash_attn_tileILi576ELi512ELi1ELi4ELb0EEvPKcS1_S1_S1_S1_PKiPfP15HIP_vector_typeIfLj2EEffffjfiS5_IjLj3EEiiiiiiiiiiiliiliiiiil.uses_flat_scratch, 0
	.set _ZL15flash_attn_tileILi576ELi512ELi1ELi4ELb0EEvPKcS1_S1_S1_S1_PKiPfP15HIP_vector_typeIfLj2EEffffjfiS5_IjLj3EEiiiiiiiiiiiliiliiiiil.has_dyn_sized_stack, 0
	.set _ZL15flash_attn_tileILi576ELi512ELi1ELi4ELb0EEvPKcS1_S1_S1_S1_PKiPfP15HIP_vector_typeIfLj2EEffffjfiS5_IjLj3EEiiiiiiiiiiiliiliiiiil.has_recursion, 0
	.set _ZL15flash_attn_tileILi576ELi512ELi1ELi4ELb0EEvPKcS1_S1_S1_S1_PKiPfP15HIP_vector_typeIfLj2EEffffjfiS5_IjLj3EEiiiiiiiiiiiliiliiiiil.has_indirect_call, 0
	.section	.AMDGPU.csdata,"",@progbits
; Kernel info:
; codeLenInByte = 16236
; TotalNumSgprs: 44
; NumVgprs: 166
; ScratchSize: 0
; MemoryBound: 0
; FloatMode: 240
; IeeeMode: 1
; LDSByteSize: 14336 bytes/workgroup (compile time only)
; SGPRBlocks: 0
; VGPRBlocks: 20
; NumSGPRsForWavesPerEU: 44
; NumVGPRsForWavesPerEU: 166
; Occupancy: 9
; WaveLimiterHint : 1
; COMPUTE_PGM_RSRC2:SCRATCH_EN: 0
; COMPUTE_PGM_RSRC2:USER_SGPR: 2
; COMPUTE_PGM_RSRC2:TRAP_HANDLER: 0
; COMPUTE_PGM_RSRC2:TGID_X_EN: 1
; COMPUTE_PGM_RSRC2:TGID_Y_EN: 1
; COMPUTE_PGM_RSRC2:TGID_Z_EN: 1
; COMPUTE_PGM_RSRC2:TIDIG_COMP_CNT: 1
	.section	.text._ZL33flash_attn_stream_k_fixup_uniformILi512ELi1ELi4EEvPfPK15HIP_vector_typeIfLj2EEiiiiiiS1_IjLj3EES5_S5_,"axG",@progbits,_ZL33flash_attn_stream_k_fixup_uniformILi512ELi1ELi4EEvPfPK15HIP_vector_typeIfLj2EEiiiiiiS1_IjLj3EES5_S5_,comdat
	.globl	_ZL33flash_attn_stream_k_fixup_uniformILi512ELi1ELi4EEvPfPK15HIP_vector_typeIfLj2EEiiiiiiS1_IjLj3EES5_S5_ ; -- Begin function _ZL33flash_attn_stream_k_fixup_uniformILi512ELi1ELi4EEvPfPK15HIP_vector_typeIfLj2EEiiiiiiS1_IjLj3EES5_S5_
	.p2align	8
	.type	_ZL33flash_attn_stream_k_fixup_uniformILi512ELi1ELi4EEvPfPK15HIP_vector_typeIfLj2EEiiiiiiS1_IjLj3EES5_S5_,@function
_ZL33flash_attn_stream_k_fixup_uniformILi512ELi1ELi4EEvPfPK15HIP_vector_typeIfLj2EEiiiiiiS1_IjLj3EES5_S5_: ; @_ZL33flash_attn_stream_k_fixup_uniformILi512ELi1ELi4EEvPfPK15HIP_vector_typeIfLj2EEiiiiiiS1_IjLj3EES5_S5_
; %bb.0:
	s_clause 0x1
	s_load_b256 s[4:11], s[0:1], 0x1c
	s_load_b128 s[16:19], s[0:1], 0x3c
	s_wait_kmcnt 0x0
	s_mul_hi_u32 s2, s7, ttmp9
	s_delay_alu instid0(SALU_CYCLE_1) | instskip(NEXT) | instid1(SALU_CYCLE_1)
	s_add_co_i32 s2, ttmp9, s2
	s_lshr_b32 s12, s2, s8
	s_delay_alu instid0(SALU_CYCLE_1) | instskip(SKIP_2) | instid1(SALU_CYCLE_1)
	s_mul_i32 s2, s12, s9
	s_load_b64 s[8:9], s[0:1], 0x10
	s_sub_co_i32 s2, ttmp9, s2
	s_mul_hi_u32 s3, s2, s10
	s_and_b32 s10, ttmp7, 0xffff
	s_add_co_i32 s3, s2, s3
	s_delay_alu instid0(SALU_CYCLE_1) | instskip(NEXT) | instid1(SALU_CYCLE_1)
	s_lshr_b32 s11, s3, s11
	s_mul_i32 s3, s11, s16
	s_delay_alu instid0(SALU_CYCLE_1) | instskip(NEXT) | instid1(SALU_CYCLE_1)
	s_sub_co_i32 s2, s2, s3
	s_mul_hi_u32 s3, s2, s17
	s_delay_alu instid0(SALU_CYCLE_1) | instskip(NEXT) | instid1(SALU_CYCLE_1)
	s_add_co_i32 s3, s2, s3
	s_lshr_b32 s3, s3, s18
	s_delay_alu instid0(SALU_CYCLE_1)
	s_mul_i32 s7, s3, s19
	s_lshl_b32 s14, s3, 2
	s_sub_co_i32 s13, s2, s7
	s_lshr_b32 s7, ttmp7, 16
	s_add_co_i32 s13, s13, s10
	s_wait_kmcnt 0x0
	s_cmp_lt_i32 s13, s8
	s_cselect_b32 s2, -1, 0
	s_add_co_i32 s14, s14, s7
	s_delay_alu instid0(SALU_CYCLE_1) | instskip(SKIP_1) | instid1(SALU_CYCLE_1)
	s_cmp_lt_i32 s14, s5
	s_cselect_b32 s3, -1, 0
	s_and_b32 s2, s2, s3
	s_delay_alu instid0(SALU_CYCLE_1)
	s_and_not1_b32 vcc_lo, exec_lo, s2
	s_cbranch_vccnz .LBB21_6
; %bb.1:
	s_mul_i32 s12, s12, s8
	s_mul_i32 s11, s11, s5
	s_add_co_i32 s5, s13, s12
	s_load_b128 s[0:3], s[0:1], 0x0
	s_add_co_i32 s8, s14, s11
	s_mul_i32 s5, s5, s9
	s_delay_alu instid0(SALU_CYCLE_1) | instskip(NEXT) | instid1(SALU_CYCLE_1)
	s_add_co_i32 s8, s8, s5
	v_lshl_or_b32 v1, s8, 9, v0
	s_mul_i32 s8, s6, ttmp9
	s_wait_alu 0xfffe
	s_add_co_i32 s9, s8, s6
	s_delay_alu instid0(VALU_DEP_1) | instskip(SKIP_2) | instid1(VALU_DEP_1)
	v_ashrrev_i32_e32 v2, 31, v1
	s_wait_alu 0xfffe
	s_add_co_i32 s5, s9, -2
	v_lshlrev_b64_e32 v[1:2], 2, v[1:2]
	s_wait_kmcnt 0x0
	s_delay_alu instid0(VALU_DEP_1) | instskip(NEXT) | instid1(VALU_DEP_1)
	v_add_co_u32 v1, vcc_lo, s0, v1
	v_add_co_ci_u32_e64 v2, null, s1, v2, vcc_lo
	s_add_co_i32 s0, s10, s9
	s_wait_alu 0xfffe
	s_lshl_b32 s0, s0, 2
	global_load_b32 v5, v[1:2], off
	s_wait_alu 0xfffe
	s_add_co_i32 s0, s0, s7
	s_wait_alu 0xfffe
	s_add_co_i32 s0, s0, -4
	s_wait_alu 0xfffe
	s_ashr_i32 s1, s0, 31
	s_wait_alu 0xfffe
	s_lshl_b64 s[0:1], s[0:1], 3
	s_cmp_lt_i32 s5, s8
	s_wait_alu 0xfffe
	s_add_nc_u64 s[0:1], s[2:3], s[0:1]
	s_load_b32 s11, s[0:1], 0x4
	s_cbranch_scc1 .LBB21_4
; %bb.2:
	s_load_b32 s0, s[0:1], 0x0
	s_add_co_i32 s1, ttmp9, 1
	s_lshl_b32 s5, s7, 9
	s_wait_alu 0xfffe
	s_mul_i32 s1, s6, s1
	s_lshl_b32 s6, s10, 11
	s_wait_alu 0xfffe
	s_lshl_b32 s1, s1, 11
	s_add_co_i32 s5, s5, s6
	s_lshl_b32 s12, s4, 4
	s_wait_alu 0xfffe
	s_add_co_i32 s5, s5, s1
	s_add_co_i32 s1, s10, s4
	v_or_b32_e32 v0, s5, v0
	s_wait_alu 0xfffe
	s_add_co_i32 s1, s1, s9
	s_ashr_i32 s13, s12, 31
	s_wait_alu 0xfffe
	s_lshl_b32 s1, s1, 2
	s_wait_kmcnt 0x0
	v_dual_mov_b32 v6, s11 :: v_dual_add_nc_u32 v3, 0xfffff000, v0
	s_lshl_b64 s[4:5], s[12:13], 2
	s_wait_alu 0xfffe
	s_add_co_i32 s6, s7, s1
	s_add_nc_u64 s[4:5], s[2:3], s[4:5]
	s_add_co_i32 s1, s9, -1
	s_add_co_i32 s6, s6, -8
.LBB21_3:                               ; =>This Inner Loop Header: Depth=1
	v_ashrrev_i32_e32 v4, 31, v3
	s_ashr_i32 s7, s6, 31
	v_mov_b32_e32 v10, v6
	s_lshl_b64 s[10:11], s[6:7], 3
	s_wait_loadcnt 0x0
	v_mov_b32_e32 v9, v5
	v_lshlrev_b64_e32 v[7:8], 2, v[3:4]
	s_wait_alu 0xfffe
	s_add_nc_u64 s[10:11], s[2:3], s[10:11]
	v_max_num_f32_e64 v4, s0, s0
	s_load_b64 s[10:11], s[10:11], 0x0
	v_add_nc_u32_e32 v3, 0xfffff800, v3
	v_add_co_u32 v7, vcc_lo, s4, v7
	s_wait_alu 0xfffd
	v_add_co_ci_u32_e64 v8, null, s5, v8, vcc_lo
	v_readfirstlane_b32 s7, v4
	global_load_b32 v0, v[7:8], off
	s_wait_kmcnt 0x0
	v_max_num_f32_e64 v4, s10, s10
	s_delay_alu instid0(VALU_DEP_1) | instskip(SKIP_1) | instid1(SALU_CYCLE_3)
	v_readfirstlane_b32 s9, v4
	s_max_num_f32 s7, s7, s9
	s_sub_f32 s0, s0, s7
	s_sub_f32 s9, s10, s7
	s_wait_alu 0xfffe
	s_delay_alu instid0(SALU_CYCLE_1) | instskip(NEXT) | instid1(SALU_CYCLE_1)
	s_mul_f32 s10, s0, 0x3fb8aa3b
	s_mul_f32 s12, s9, 0x3fb8aa3b
	s_wait_alu 0xfffe
	s_delay_alu instid0(SALU_CYCLE_1)
	s_xor_b32 s13, s10, 0x80000000
	s_rndne_f32 s14, s10
	s_fmamk_f32 s13, s0, 0x3fb8aa3b, s13
	s_cmp_nlt_f32 s0, 0xc2ce8ed0
	s_rndne_f32 s15, s12
	s_wait_alu 0xfffe
	s_sub_f32 s10, s10, s14
	s_fmamk_f32 s13, s0, 0x32a5705f, s13
	s_cvt_i32_f32 s14, s14
	s_cselect_b32 vcc_lo, -1, 0
	s_cmp_ngt_f32 s0, 0x42b17218
	s_wait_alu 0xfffe
	s_add_f32 s10, s10, s13
	s_sub_f32 s13, s12, s15
	s_wait_alu 0xfffe
	s_delay_alu instid0(SALU_CYCLE_1) | instskip(SKIP_1) | instid1(TRANS32_DEP_1)
	v_s_exp_f32 s10, s10
	s_wait_alu 0xf1ff
	v_ldexp_f32 v4, s10, s14
	s_cvt_i32_f32 s10, s15
	s_delay_alu instid0(VALU_DEP_1) | instskip(SKIP_3) | instid1(VALU_DEP_1)
	v_cndmask_b32_e32 v4, 0, v4, vcc_lo
	s_cselect_b32 vcc_lo, -1, 0
	s_cmp_ge_f32 s0, 0xc1a00000
	s_wait_alu 0xfffe
	v_cndmask_b32_e32 v4, 0x7f800000, v4, vcc_lo
	s_cselect_b32 vcc_lo, -1, 0
	s_xor_b32 s0, s12, 0x80000000
	s_cmp_nlt_f32 s9, 0xc2ce8ed0
	s_wait_alu 0xfffe
	s_fmamk_f32 s0, s9, 0x3fb8aa3b, s0
	s_wait_alu 0xfffe
	s_delay_alu instid0(SALU_CYCLE_2) | instskip(SKIP_1) | instid1(SALU_CYCLE_2)
	s_fmamk_f32 s0, s9, 0x32a5705f, s0
	s_wait_alu 0xfffe
	s_add_f32 s0, s13, s0
	s_wait_alu 0xfffe
	s_delay_alu instid0(SALU_CYCLE_2) | instskip(SKIP_1) | instid1(TRANS32_DEP_1)
	v_s_exp_f32 s0, s0
	s_wait_alu 0xf1ff
	v_ldexp_f32 v7, s0, s10
	s_cselect_b32 s0, -1, 0
	s_cmp_ngt_f32 s9, 0x42b17218
	s_wait_alu 0xfffe
	s_delay_alu instid0(VALU_DEP_1) | instskip(SKIP_3) | instid1(VALU_DEP_1)
	v_cndmask_b32_e64 v7, 0, v7, s0
	s_cselect_b32 s0, -1, 0
	s_cmp_ge_f32 s9, 0xc1a00000
	s_wait_alu 0xfffe
	v_cndmask_b32_e64 v7, 0x7f800000, v7, s0
	s_cselect_b32 s0, -1, 0
	s_add_co_i32 s1, s1, -1
	s_add_co_i32 s6, s6, -4
	s_wait_alu 0xfffe
	s_cmp_le_i32 s1, s8
	v_cndmask_b32_e64 v7, 0, v7, s0
	s_mov_b32 s0, s7
	s_wait_loadcnt 0x0
	s_delay_alu instid0(VALU_DEP_1) | instskip(NEXT) | instid1(VALU_DEP_1)
	v_dual_mul_f32 v5, v0, v7 :: v_dual_cndmask_b32 v4, 0, v4
	v_dual_mul_f32 v8, s11, v7 :: v_dual_fmac_f32 v5, v9, v4
	s_delay_alu instid0(VALU_DEP_1) | instskip(NEXT) | instid1(VALU_DEP_1)
	v_mov_b32_e32 v6, v8
	v_fmac_f32_e32 v6, v10, v4
	s_cbranch_scc0 .LBB21_3
	s_branch .LBB21_5
.LBB21_4:
	s_wait_kmcnt 0x0
	v_mov_b32_e32 v6, s11
.LBB21_5:
	s_wait_loadcnt 0x0
	s_delay_alu instid0(VALU_DEP_1) | instskip(NEXT) | instid1(VALU_DEP_1)
	v_div_scale_f32 v0, null, v6, v6, v5
	v_rcp_f32_e32 v3, v0
	s_delay_alu instid0(TRANS32_DEP_1) | instskip(NEXT) | instid1(VALU_DEP_1)
	v_fma_f32 v4, -v0, v3, 1.0
	v_fmac_f32_e32 v3, v4, v3
	v_div_scale_f32 v4, vcc_lo, v5, v6, v5
	s_delay_alu instid0(VALU_DEP_1) | instskip(NEXT) | instid1(VALU_DEP_1)
	v_mul_f32_e32 v7, v4, v3
	v_fma_f32 v8, -v0, v7, v4
	s_delay_alu instid0(VALU_DEP_1) | instskip(NEXT) | instid1(VALU_DEP_1)
	v_fmac_f32_e32 v7, v8, v3
	v_fma_f32 v0, -v0, v7, v4
	s_wait_alu 0xfffd
	s_delay_alu instid0(VALU_DEP_1) | instskip(NEXT) | instid1(VALU_DEP_1)
	v_div_fmas_f32 v0, v0, v3, v7
	v_div_fixup_f32 v0, v0, v6, v5
	global_store_b32 v[1:2], v0, off
.LBB21_6:
	s_endpgm
	.section	.rodata,"a",@progbits
	.p2align	6, 0x0
	.amdhsa_kernel _ZL33flash_attn_stream_k_fixup_uniformILi512ELi1ELi4EEvPfPK15HIP_vector_typeIfLj2EEiiiiiiS1_IjLj3EES5_S5_
		.amdhsa_group_segment_fixed_size 0
		.amdhsa_private_segment_fixed_size 0
		.amdhsa_kernarg_size 76
		.amdhsa_user_sgpr_count 2
		.amdhsa_user_sgpr_dispatch_ptr 0
		.amdhsa_user_sgpr_queue_ptr 0
		.amdhsa_user_sgpr_kernarg_segment_ptr 1
		.amdhsa_user_sgpr_dispatch_id 0
		.amdhsa_user_sgpr_private_segment_size 0
		.amdhsa_wavefront_size32 1
		.amdhsa_uses_dynamic_stack 0
		.amdhsa_enable_private_segment 0
		.amdhsa_system_sgpr_workgroup_id_x 1
		.amdhsa_system_sgpr_workgroup_id_y 1
		.amdhsa_system_sgpr_workgroup_id_z 1
		.amdhsa_system_sgpr_workgroup_info 0
		.amdhsa_system_vgpr_workitem_id 0
		.amdhsa_next_free_vgpr 11
		.amdhsa_next_free_sgpr 20
		.amdhsa_reserve_vcc 1
		.amdhsa_float_round_mode_32 0
		.amdhsa_float_round_mode_16_64 0
		.amdhsa_float_denorm_mode_32 3
		.amdhsa_float_denorm_mode_16_64 3
		.amdhsa_fp16_overflow 0
		.amdhsa_workgroup_processor_mode 1
		.amdhsa_memory_ordered 1
		.amdhsa_forward_progress 1
		.amdhsa_inst_pref_size 9
		.amdhsa_round_robin_scheduling 0
		.amdhsa_exception_fp_ieee_invalid_op 0
		.amdhsa_exception_fp_denorm_src 0
		.amdhsa_exception_fp_ieee_div_zero 0
		.amdhsa_exception_fp_ieee_overflow 0
		.amdhsa_exception_fp_ieee_underflow 0
		.amdhsa_exception_fp_ieee_inexact 0
		.amdhsa_exception_int_div_zero 0
	.end_amdhsa_kernel
	.section	.text._ZL33flash_attn_stream_k_fixup_uniformILi512ELi1ELi4EEvPfPK15HIP_vector_typeIfLj2EEiiiiiiS1_IjLj3EES5_S5_,"axG",@progbits,_ZL33flash_attn_stream_k_fixup_uniformILi512ELi1ELi4EEvPfPK15HIP_vector_typeIfLj2EEiiiiiiS1_IjLj3EES5_S5_,comdat
.Lfunc_end21:
	.size	_ZL33flash_attn_stream_k_fixup_uniformILi512ELi1ELi4EEvPfPK15HIP_vector_typeIfLj2EEiiiiiiS1_IjLj3EES5_S5_, .Lfunc_end21-_ZL33flash_attn_stream_k_fixup_uniformILi512ELi1ELi4EEvPfPK15HIP_vector_typeIfLj2EEiiiiiiS1_IjLj3EES5_S5_
                                        ; -- End function
	.set _ZL33flash_attn_stream_k_fixup_uniformILi512ELi1ELi4EEvPfPK15HIP_vector_typeIfLj2EEiiiiiiS1_IjLj3EES5_S5_.num_vgpr, 11
	.set _ZL33flash_attn_stream_k_fixup_uniformILi512ELi1ELi4EEvPfPK15HIP_vector_typeIfLj2EEiiiiiiS1_IjLj3EES5_S5_.num_agpr, 0
	.set _ZL33flash_attn_stream_k_fixup_uniformILi512ELi1ELi4EEvPfPK15HIP_vector_typeIfLj2EEiiiiiiS1_IjLj3EES5_S5_.numbered_sgpr, 20
	.set _ZL33flash_attn_stream_k_fixup_uniformILi512ELi1ELi4EEvPfPK15HIP_vector_typeIfLj2EEiiiiiiS1_IjLj3EES5_S5_.num_named_barrier, 0
	.set _ZL33flash_attn_stream_k_fixup_uniformILi512ELi1ELi4EEvPfPK15HIP_vector_typeIfLj2EEiiiiiiS1_IjLj3EES5_S5_.private_seg_size, 0
	.set _ZL33flash_attn_stream_k_fixup_uniformILi512ELi1ELi4EEvPfPK15HIP_vector_typeIfLj2EEiiiiiiS1_IjLj3EES5_S5_.uses_vcc, 1
	.set _ZL33flash_attn_stream_k_fixup_uniformILi512ELi1ELi4EEvPfPK15HIP_vector_typeIfLj2EEiiiiiiS1_IjLj3EES5_S5_.uses_flat_scratch, 0
	.set _ZL33flash_attn_stream_k_fixup_uniformILi512ELi1ELi4EEvPfPK15HIP_vector_typeIfLj2EEiiiiiiS1_IjLj3EES5_S5_.has_dyn_sized_stack, 0
	.set _ZL33flash_attn_stream_k_fixup_uniformILi512ELi1ELi4EEvPfPK15HIP_vector_typeIfLj2EEiiiiiiS1_IjLj3EES5_S5_.has_recursion, 0
	.set _ZL33flash_attn_stream_k_fixup_uniformILi512ELi1ELi4EEvPfPK15HIP_vector_typeIfLj2EEiiiiiiS1_IjLj3EES5_S5_.has_indirect_call, 0
	.section	.AMDGPU.csdata,"",@progbits
; Kernel info:
; codeLenInByte = 1120
; TotalNumSgprs: 22
; NumVgprs: 11
; ScratchSize: 0
; MemoryBound: 0
; FloatMode: 240
; IeeeMode: 1
; LDSByteSize: 0 bytes/workgroup (compile time only)
; SGPRBlocks: 0
; VGPRBlocks: 1
; NumSGPRsForWavesPerEU: 22
; NumVGPRsForWavesPerEU: 11
; Occupancy: 16
; WaveLimiterHint : 0
; COMPUTE_PGM_RSRC2:SCRATCH_EN: 0
; COMPUTE_PGM_RSRC2:USER_SGPR: 2
; COMPUTE_PGM_RSRC2:TRAP_HANDLER: 0
; COMPUTE_PGM_RSRC2:TGID_X_EN: 1
; COMPUTE_PGM_RSRC2:TGID_Y_EN: 1
; COMPUTE_PGM_RSRC2:TGID_Z_EN: 1
; COMPUTE_PGM_RSRC2:TIDIG_COMP_CNT: 0
	.section	.text._ZL33flash_attn_stream_k_fixup_generalILi512ELi1ELi4EEvPfPK15HIP_vector_typeIfLj2EEiiiiS1_IjLj3EES5_S5_S5_,"axG",@progbits,_ZL33flash_attn_stream_k_fixup_generalILi512ELi1ELi4EEvPfPK15HIP_vector_typeIfLj2EEiiiiS1_IjLj3EES5_S5_S5_,comdat
	.globl	_ZL33flash_attn_stream_k_fixup_generalILi512ELi1ELi4EEvPfPK15HIP_vector_typeIfLj2EEiiiiS1_IjLj3EES5_S5_S5_ ; -- Begin function _ZL33flash_attn_stream_k_fixup_generalILi512ELi1ELi4EEvPfPK15HIP_vector_typeIfLj2EEiiiiS1_IjLj3EES5_S5_S5_
	.p2align	8
	.type	_ZL33flash_attn_stream_k_fixup_generalILi512ELi1ELi4EEvPfPK15HIP_vector_typeIfLj2EEiiiiS1_IjLj3EES5_S5_S5_,@function
_ZL33flash_attn_stream_k_fixup_generalILi512ELi1ELi4EEvPfPK15HIP_vector_typeIfLj2EEiiiiS1_IjLj3EES5_S5_S5_: ; @_ZL33flash_attn_stream_k_fixup_generalILi512ELi1ELi4EEvPfPK15HIP_vector_typeIfLj2EEiiiiS1_IjLj3EES5_S5_S5_
; %bb.0:
	s_clause 0x1
	s_load_b128 s[4:7], s[0:1], 0x10
	s_load_b32 s16, s[0:1], 0x50
	s_mov_b32 s2, ttmp9
	s_ashr_i32 s3, ttmp9, 31
	s_mov_b32 s17, 0
	s_delay_alu instid0(SALU_CYCLE_1) | instskip(SKIP_3) | instid1(SALU_CYCLE_1)
	s_mov_b32 s8, s17
	s_wait_kmcnt 0x0
	s_ashr_i32 s19, s7, 31
	s_mov_b32 s18, s7
	s_mul_u64 s[2:3], s[18:19], s[2:3]
	s_delay_alu instid0(SALU_CYCLE_1) | instskip(NEXT) | instid1(SALU_CYCLE_1)
	s_mov_b32 s9, s3
	s_cmp_lg_u64 s[8:9], 0
	s_cbranch_scc0 .LBB22_21
; %bb.1:
	s_add_nc_u64 s[8:9], s[16:17], 0
	s_mov_b32 s15, s17
	s_xor_b64 s[8:9], s[8:9], 0
	s_mov_b32 s23, s17
	s_cvt_f32_u32 s7, s8
	s_cvt_f32_u32 s10, s9
	s_sub_nc_u64 s[12:13], 0, s[8:9]
	s_delay_alu instid0(SALU_CYCLE_2) | instskip(NEXT) | instid1(SALU_CYCLE_3)
	s_fmamk_f32 s7, s10, 0x4f800000, s7
	v_s_rcp_f32 s7, s7
	s_delay_alu instid0(TRANS32_DEP_1) | instskip(SKIP_1) | instid1(SALU_CYCLE_2)
	s_mul_f32 s7, s7, 0x5f7ffffc
	s_wait_alu 0xfffe
	s_mul_f32 s10, s7, 0x2f800000
	s_delay_alu instid0(SALU_CYCLE_3) | instskip(NEXT) | instid1(SALU_CYCLE_3)
	s_trunc_f32 s10, s10
	s_fmamk_f32 s7, s10, 0xcf800000, s7
	s_cvt_u32_f32 s11, s10
	s_wait_alu 0xfffe
	s_delay_alu instid0(SALU_CYCLE_1) | instskip(NEXT) | instid1(SALU_CYCLE_3)
	s_cvt_u32_f32 s10, s7
	s_mul_u64 s[20:21], s[12:13], s[10:11]
	s_delay_alu instid0(SALU_CYCLE_1)
	s_mul_hi_u32 s25, s10, s21
	s_mul_i32 s24, s10, s21
	s_mul_hi_u32 s14, s10, s20
	s_mul_i32 s22, s11, s20
	s_add_nc_u64 s[14:15], s[14:15], s[24:25]
	s_mul_hi_u32 s7, s11, s20
	s_mul_hi_u32 s26, s11, s21
	s_add_co_u32 s14, s14, s22
	s_wait_alu 0xfffe
	s_add_co_ci_u32 s22, s15, s7
	s_mul_i32 s20, s11, s21
	s_add_co_ci_u32 s21, s26, 0
	s_delay_alu instid0(SALU_CYCLE_1)
	s_add_nc_u64 s[14:15], s[22:23], s[20:21]
	s_mov_b32 s21, s17
	s_add_co_u32 s10, s10, s14
	s_cselect_b32 s7, -1, 0
	s_wait_alu 0xfffe
	s_cmp_lg_u32 s7, 0
	s_add_co_ci_u32 s11, s11, s15
	s_mov_b32 s15, s17
	s_mul_u64 s[12:13], s[12:13], s[10:11]
	s_delay_alu instid0(SALU_CYCLE_1)
	s_mul_hi_u32 s23, s10, s13
	s_mul_i32 s22, s10, s13
	s_mul_hi_u32 s14, s10, s12
	s_mul_i32 s20, s11, s12
	s_add_nc_u64 s[14:15], s[14:15], s[22:23]
	s_mul_hi_u32 s7, s11, s12
	s_mul_hi_u32 s24, s11, s13
	s_mul_i32 s12, s11, s13
	s_add_co_u32 s13, s14, s20
	s_wait_alu 0xfffe
	s_add_co_ci_u32 s20, s15, s7
	s_add_co_ci_u32 s13, s24, 0
	s_mov_b32 s15, s17
	s_add_nc_u64 s[12:13], s[20:21], s[12:13]
	s_delay_alu instid0(SALU_CYCLE_1) | instskip(SKIP_1) | instid1(SALU_CYCLE_1)
	s_add_co_u32 s7, s10, s12
	s_cselect_b32 s10, -1, 0
	s_cmp_lg_u32 s10, 0
	s_add_co_ci_u32 s20, s11, s13
	s_ashr_i32 s10, s3, 31
	s_delay_alu instid0(SALU_CYCLE_1) | instskip(NEXT) | instid1(SALU_CYCLE_1)
	s_mov_b32 s11, s10
	s_add_nc_u64 s[12:13], s[2:3], s[10:11]
	s_delay_alu instid0(SALU_CYCLE_1) | instskip(NEXT) | instid1(SALU_CYCLE_1)
	s_xor_b64 s[12:13], s[12:13], s[10:11]
	s_mul_hi_u32 s23, s12, s20
	s_mul_i32 s22, s12, s20
	s_wait_alu 0xfffe
	s_mul_hi_u32 s14, s12, s7
	s_mul_hi_u32 s24, s13, s7
	s_mul_i32 s7, s13, s7
	s_add_nc_u64 s[14:15], s[14:15], s[22:23]
	s_mul_hi_u32 s3, s13, s20
	s_wait_alu 0xfffe
	s_add_co_u32 s7, s14, s7
	s_mul_i32 s22, s13, s20
	s_add_co_ci_u32 s20, s15, s24
	s_add_co_ci_u32 s23, s3, 0
	s_delay_alu instid0(SALU_CYCLE_1) | instskip(NEXT) | instid1(SALU_CYCLE_1)
	s_add_nc_u64 s[14:15], s[20:21], s[22:23]
	s_mul_u64 s[20:21], s[8:9], s[14:15]
	s_delay_alu instid0(SALU_CYCLE_1)
	s_sub_co_u32 s3, s12, s20
	s_cselect_b32 s7, -1, 0
	s_sub_co_i32 s12, s13, s21
	s_wait_alu 0xfffe
	s_cmp_lg_u32 s7, 0
	s_sub_co_ci_u32 s12, s12, s9
	s_sub_co_u32 s20, s3, s8
	s_cselect_b32 s22, -1, 0
	s_delay_alu instid0(SALU_CYCLE_1) | instskip(SKIP_2) | instid1(SALU_CYCLE_1)
	s_cmp_lg_u32 s22, 0
	s_add_nc_u64 s[22:23], s[14:15], 1
	s_sub_co_ci_u32 s12, s12, 0
	s_cmp_ge_u32 s12, s9
	s_cselect_b32 s24, -1, 0
	s_cmp_ge_u32 s20, s8
	s_cselect_b32 s20, -1, 0
	s_cmp_eq_u32 s12, s9
	s_cselect_b32 s12, s20, s24
	s_add_nc_u64 s[24:25], s[14:15], 2
	s_cmp_lg_u32 s12, 0
	s_cselect_b32 s12, s24, s22
	s_cselect_b32 s20, s25, s23
	s_cmp_lg_u32 s7, 0
	s_sub_co_ci_u32 s7, s13, s21
	s_wait_alu 0xfffe
	s_cmp_ge_u32 s7, s9
	s_cselect_b32 s13, -1, 0
	s_cmp_ge_u32 s3, s8
	s_cselect_b32 s3, -1, 0
	s_cmp_eq_u32 s7, s9
	s_cselect_b32 s3, s3, s13
	s_delay_alu instid0(SALU_CYCLE_1) | instskip(SKIP_4) | instid1(SALU_CYCLE_1)
	s_cmp_lg_u32 s3, 0
	s_mov_b32 s3, s17
	s_cselect_b32 s9, s20, s15
	s_cselect_b32 s8, s12, s14
	s_xor_b64 s[10:11], s[10:11], 0
	s_xor_b64 s[8:9], s[8:9], s[10:11]
	s_delay_alu instid0(SALU_CYCLE_1)
	s_sub_nc_u64 s[20:21], s[8:9], s[10:11]
	s_and_not1_b32 vcc_lo, exec_lo, s3
	s_cbranch_vccnz .LBB22_3
.LBB22_2:
	v_cvt_f32_u32_e32 v1, s16
	s_sub_co_i32 s7, 0, s16
	s_delay_alu instid0(VALU_DEP_1) | instskip(NEXT) | instid1(TRANS32_DEP_1)
	v_rcp_iflag_f32_e32 v1, v1
	v_mul_f32_e32 v1, 0x4f7ffffe, v1
	s_delay_alu instid0(VALU_DEP_1) | instskip(NEXT) | instid1(VALU_DEP_1)
	v_cvt_u32_f32_e32 v1, v1
	v_readfirstlane_b32 s3, v1
	s_wait_alu 0xfffe
	s_mul_i32 s7, s7, s3
	s_wait_alu 0xfffe
	s_mul_hi_u32 s7, s3, s7
	s_wait_alu 0xfffe
	s_add_co_i32 s3, s3, s7
	s_delay_alu instid0(SALU_CYCLE_1) | instskip(NEXT) | instid1(SALU_CYCLE_1)
	s_mul_hi_u32 s3, s2, s3
	s_mul_i32 s7, s3, s16
	s_wait_alu 0xfffe
	s_sub_co_i32 s2, s2, s7
	s_add_co_i32 s7, s3, 1
	s_sub_co_i32 s8, s2, s16
	s_cmp_ge_u32 s2, s16
	s_wait_alu 0xfffe
	s_cselect_b32 s3, s7, s3
	s_cselect_b32 s2, s8, s2
	s_add_co_i32 s7, s3, 1
	s_cmp_ge_u32 s2, s16
	s_wait_alu 0xfffe
	s_cselect_b32 s20, s7, s3
.LBB22_3:
	s_add_co_i32 s2, ttmp9, 1
	s_mov_b32 s8, 0
	s_ashr_i32 s3, s2, 31
	s_delay_alu instid0(SALU_CYCLE_1) | instskip(NEXT) | instid1(SALU_CYCLE_1)
	s_mul_u64 s[2:3], s[18:19], s[2:3]
	s_mov_b32 s9, s3
	s_delay_alu instid0(SALU_CYCLE_1)
	s_cmp_lg_u64 s[8:9], 0
	s_cbranch_scc0 .LBB22_22
; %bb.4:
	s_add_nc_u64 s[10:11], s[16:17], 0
	s_mov_b32 s23, s8
	s_xor_b64 s[10:11], s[10:11], 0
	s_mov_b32 s27, s8
	s_cvt_f32_u32 s7, s10
	s_cvt_f32_u32 s9, s11
	s_sub_nc_u64 s[14:15], 0, s[10:11]
	s_wait_alu 0xfffe
	s_delay_alu instid0(SALU_CYCLE_1) | instskip(SKIP_1) | instid1(SALU_CYCLE_2)
	s_fmamk_f32 s7, s9, 0x4f800000, s7
	s_wait_alu 0xfffe
	v_s_rcp_f32 s7, s7
	s_delay_alu instid0(TRANS32_DEP_1) | instskip(SKIP_1) | instid1(SALU_CYCLE_2)
	s_mul_f32 s7, s7, 0x5f7ffffc
	s_wait_alu 0xfffe
	s_mul_f32 s9, s7, 0x2f800000
	s_delay_alu instid0(SALU_CYCLE_3) | instskip(NEXT) | instid1(SALU_CYCLE_3)
	s_trunc_f32 s9, s9
	s_fmamk_f32 s7, s9, 0xcf800000, s7
	s_cvt_u32_f32 s13, s9
	s_wait_alu 0xfffe
	s_delay_alu instid0(SALU_CYCLE_1) | instskip(NEXT) | instid1(SALU_CYCLE_3)
	s_cvt_u32_f32 s12, s7
	s_mul_u64 s[24:25], s[14:15], s[12:13]
	s_delay_alu instid0(SALU_CYCLE_1)
	s_mul_hi_u32 s29, s12, s25
	s_mul_i32 s28, s12, s25
	s_mul_hi_u32 s22, s12, s24
	s_mul_i32 s9, s13, s24
	s_add_nc_u64 s[22:23], s[22:23], s[28:29]
	s_mul_hi_u32 s7, s13, s24
	s_mul_hi_u32 s21, s13, s25
	s_add_co_u32 s9, s22, s9
	s_wait_alu 0xfffe
	s_add_co_ci_u32 s26, s23, s7
	s_mul_i32 s24, s13, s25
	s_add_co_ci_u32 s25, s21, 0
	s_delay_alu instid0(SALU_CYCLE_1)
	s_add_nc_u64 s[22:23], s[26:27], s[24:25]
	s_mov_b32 s25, s8
	s_add_co_u32 s12, s12, s22
	s_cselect_b32 s7, -1, 0
	s_wait_alu 0xfffe
	s_cmp_lg_u32 s7, 0
	s_add_co_ci_u32 s13, s13, s23
	s_mov_b32 s23, s8
	s_mul_u64 s[14:15], s[14:15], s[12:13]
	s_delay_alu instid0(SALU_CYCLE_1)
	s_mul_hi_u32 s27, s12, s15
	s_mul_i32 s26, s12, s15
	s_mul_hi_u32 s22, s12, s14
	s_mul_i32 s9, s13, s14
	s_add_nc_u64 s[22:23], s[22:23], s[26:27]
	s_mul_hi_u32 s7, s13, s14
	s_mul_hi_u32 s21, s13, s15
	s_add_co_u32 s9, s22, s9
	s_wait_alu 0xfffe
	s_add_co_ci_u32 s24, s23, s7
	s_mul_i32 s14, s13, s15
	s_add_co_ci_u32 s15, s21, 0
	s_mov_b32 s23, s8
	s_add_nc_u64 s[14:15], s[24:25], s[14:15]
	s_delay_alu instid0(SALU_CYCLE_1) | instskip(SKIP_1) | instid1(SALU_CYCLE_1)
	s_add_co_u32 s7, s12, s14
	s_cselect_b32 s9, -1, 0
	s_cmp_lg_u32 s9, 0
	s_add_co_ci_u32 s9, s13, s15
	s_ashr_i32 s12, s3, 31
	s_delay_alu instid0(SALU_CYCLE_1) | instskip(NEXT) | instid1(SALU_CYCLE_1)
	s_mov_b32 s13, s12
	s_add_nc_u64 s[14:15], s[2:3], s[12:13]
	s_delay_alu instid0(SALU_CYCLE_1) | instskip(NEXT) | instid1(SALU_CYCLE_1)
	s_xor_b64 s[14:15], s[14:15], s[12:13]
	s_mul_hi_u32 s27, s14, s9
	s_mul_i32 s26, s14, s9
	s_wait_alu 0xfffe
	s_mul_hi_u32 s22, s14, s7
	s_mul_hi_u32 s21, s15, s7
	s_mul_i32 s7, s15, s7
	s_add_nc_u64 s[22:23], s[22:23], s[26:27]
	s_mul_hi_u32 s3, s15, s9
	s_wait_alu 0xfffe
	s_add_co_u32 s7, s22, s7
	s_add_co_ci_u32 s24, s23, s21
	s_mul_i32 s26, s15, s9
	s_add_co_ci_u32 s27, s3, 0
	s_delay_alu instid0(SALU_CYCLE_1) | instskip(NEXT) | instid1(SALU_CYCLE_1)
	s_add_nc_u64 s[22:23], s[24:25], s[26:27]
	s_mul_u64 s[24:25], s[10:11], s[22:23]
	s_add_nc_u64 s[26:27], s[22:23], 1
	s_sub_co_u32 s3, s14, s24
	s_cselect_b32 s7, -1, 0
	s_sub_co_i32 s9, s15, s25
	s_wait_alu 0xfffe
	s_cmp_lg_u32 s7, 0
	s_add_nc_u64 s[28:29], s[22:23], 2
	s_sub_co_ci_u32 s9, s9, s11
	s_sub_co_u32 s14, s3, s10
	s_cselect_b32 s21, -1, 0
	s_delay_alu instid0(SALU_CYCLE_1) | instskip(SKIP_1) | instid1(SALU_CYCLE_1)
	s_cmp_lg_u32 s21, 0
	s_sub_co_ci_u32 s9, s9, 0
	s_cmp_ge_u32 s9, s11
	s_cselect_b32 s21, -1, 0
	s_cmp_ge_u32 s14, s10
	s_cselect_b32 s14, -1, 0
	s_cmp_eq_u32 s9, s11
	s_cselect_b32 s9, s14, s21
	s_delay_alu instid0(SALU_CYCLE_1)
	s_cmp_lg_u32 s9, 0
	s_cselect_b32 s9, s28, s26
	s_cselect_b32 s14, s29, s27
	s_cmp_lg_u32 s7, 0
	s_sub_co_ci_u32 s7, s15, s25
	s_wait_alu 0xfffe
	s_cmp_ge_u32 s7, s11
	s_cselect_b32 s15, -1, 0
	s_cmp_ge_u32 s3, s10
	s_cselect_b32 s3, -1, 0
	s_cmp_eq_u32 s7, s11
	s_cselect_b32 s3, s3, s15
	s_delay_alu instid0(SALU_CYCLE_1) | instskip(SKIP_3) | instid1(SALU_CYCLE_1)
	s_cmp_lg_u32 s3, 0
	s_cselect_b32 s11, s14, s23
	s_cselect_b32 s10, s9, s22
	s_xor_b64 s[12:13], s[12:13], 0
	s_xor_b64 s[10:11], s[10:11], s[12:13]
	s_delay_alu instid0(SALU_CYCLE_1)
	s_sub_nc_u64 s[10:11], s[10:11], s[12:13]
	s_load_b96 s[12:14], s[0:1], 0x44
	s_and_not1_b32 vcc_lo, exec_lo, s8
	s_cbranch_vccnz .LBB22_6
.LBB22_5:
	v_cvt_f32_u32_e32 v1, s16
	s_sub_co_i32 s7, 0, s16
	s_delay_alu instid0(VALU_DEP_1) | instskip(NEXT) | instid1(TRANS32_DEP_1)
	v_rcp_iflag_f32_e32 v1, v1
	v_mul_f32_e32 v1, 0x4f7ffffe, v1
	s_delay_alu instid0(VALU_DEP_1) | instskip(NEXT) | instid1(VALU_DEP_1)
	v_cvt_u32_f32_e32 v1, v1
	v_readfirstlane_b32 s3, v1
	s_wait_alu 0xfffe
	s_mul_i32 s7, s7, s3
	s_wait_alu 0xfffe
	s_mul_hi_u32 s7, s3, s7
	s_wait_alu 0xfffe
	s_add_co_i32 s3, s3, s7
	s_delay_alu instid0(SALU_CYCLE_1) | instskip(NEXT) | instid1(SALU_CYCLE_1)
	s_mul_hi_u32 s3, s2, s3
	s_mul_i32 s7, s3, s16
	s_wait_alu 0xfffe
	s_sub_co_i32 s2, s2, s7
	s_add_co_i32 s7, s3, 1
	s_sub_co_i32 s8, s2, s16
	s_cmp_ge_u32 s2, s16
	s_wait_alu 0xfffe
	s_cselect_b32 s3, s7, s3
	s_cselect_b32 s2, s8, s2
	s_add_co_i32 s7, s3, 1
	s_cmp_ge_u32 s2, s16
	s_wait_alu 0xfffe
	s_cselect_b32 s10, s7, s3
.LBB22_6:
	s_mov_b32 s21, 0
	s_wait_kmcnt 0x0
	s_mov_b32 s22, s12
	s_mov_b32 s23, s21
	s_cmp_eq_u32 s20, s10
	s_mul_u64 s[2:3], s[20:21], s[22:23]
	s_cselect_b32 s7, -1, 0
	s_add_co_i32 s2, s3, s20
	s_mov_b32 s11, s21
	s_lshr_b32 s12, s2, s13
	s_mul_u64 s[2:3], s[10:11], s[22:23]
	s_mul_i32 s2, s12, s14
	s_delay_alu instid0(SALU_CYCLE_1) | instskip(SKIP_2) | instid1(SALU_CYCLE_1)
	s_cmp_eq_u32 s2, s20
	s_cselect_b32 s2, -1, 0
	s_add_co_i32 s3, s3, s10
	s_lshr_b32 s3, s3, s13
	s_delay_alu instid0(SALU_CYCLE_1)
	s_cmp_eq_u32 s12, s3
	s_mul_i32 s3, s3, s14
	s_cselect_b32 s8, -1, 0
	s_cmp_lg_u32 s3, s10
	s_cselect_b32 s3, -1, 0
	s_wait_alu 0xfffe
	s_or_b32 s2, s7, s2
	s_and_b32 s3, s8, s3
	s_delay_alu instid0(SALU_CYCLE_1) | instskip(NEXT) | instid1(SALU_CYCLE_1)
	s_or_b32 s2, s2, s3
	s_and_b32 vcc_lo, exec_lo, s2
	s_cbranch_vccnz .LBB22_24
; %bb.7:
	s_load_b256 s[24:31], s[0:1], 0x20
	s_mov_b32 s3, s21
	s_load_b32 s7, s[0:1], 0x40
	s_and_b32 s15, ttmp7, 0xffff
	s_wait_kmcnt 0x0
	s_mov_b32 s2, s24
	s_delay_alu instid0(SALU_CYCLE_1) | instskip(NEXT) | instid1(SALU_CYCLE_1)
	s_mul_u64 s[2:3], s[20:21], s[2:3]
	s_add_co_i32 s2, s3, s20
	s_delay_alu instid0(SALU_CYCLE_1) | instskip(NEXT) | instid1(SALU_CYCLE_1)
	s_lshr_b32 s2, s2, s25
	s_mul_i32 s3, s2, s26
	s_delay_alu instid0(SALU_CYCLE_1) | instskip(NEXT) | instid1(SALU_CYCLE_1)
	s_sub_co_i32 s8, s20, s3
	s_mul_hi_u32 s3, s8, s27
	s_delay_alu instid0(SALU_CYCLE_1) | instskip(NEXT) | instid1(SALU_CYCLE_1)
	s_add_co_i32 s3, s8, s3
	s_lshr_b32 s3, s3, s28
	s_delay_alu instid0(SALU_CYCLE_1) | instskip(NEXT) | instid1(SALU_CYCLE_1)
	s_mul_i32 s9, s3, s29
	s_sub_co_i32 s8, s8, s9
	s_delay_alu instid0(SALU_CYCLE_1) | instskip(NEXT) | instid1(SALU_CYCLE_1)
	s_mul_hi_u32 s9, s8, s30
	s_add_co_i32 s9, s8, s9
	s_delay_alu instid0(SALU_CYCLE_1)
	s_lshr_b32 s24, s9, s31
	s_mov_b32 s9, s21
	s_mul_i32 s7, s24, s7
	s_lshr_b32 s21, ttmp7, 16
	s_wait_alu 0xfffe
	s_sub_co_i32 s8, s8, s7
	s_lshl_b32 s24, s24, 2
	s_mul_u64 s[10:11], s[8:9], s[22:23]
	s_delay_alu instid0(SALU_CYCLE_1)
	s_add_co_i32 s7, s8, s11
	s_wait_alu 0xfffe
	s_lshr_b32 s7, s7, s13
	s_wait_alu 0xfffe
	s_add_co_i32 s7, s7, s15
	s_wait_alu 0xfffe
	s_cmp_lt_i32 s7, s4
	s_cselect_b32 s8, -1, 0
	s_add_co_i32 s24, s24, s21
	s_delay_alu instid0(SALU_CYCLE_1) | instskip(SKIP_1) | instid1(SALU_CYCLE_1)
	s_cmp_lt_i32 s24, s6
	s_cselect_b32 s9, -1, 0
	s_and_b32 s8, s8, s9
	s_delay_alu instid0(SALU_CYCLE_1)
	s_and_not1_b32 vcc_lo, exec_lo, s8
	s_cbranch_vccnz .LBB22_24
; %bb.8:
	s_mul_i32 s2, s2, s4
	s_load_b128 s[8:11], s[0:1], 0x0
	s_mul_i32 s3, s3, s6
	s_add_co_i32 s0, s7, s2
	s_add_co_i32 s1, s24, s3
	s_mul_i32 s0, s0, s5
	v_cvt_f32_u32_e32 v4, s16
	s_add_co_i32 s1, s1, s0
	s_add_co_i32 s34, ttmp9, -1
	v_lshl_or_b32 v1, s1, 9, v0
	s_add_nc_u64 s[0:1], s[16:17], 0
	v_rcp_iflag_f32_e32 v4, v4
	s_wait_alu 0xfffe
	s_xor_b64 s[6:7], s[0:1], 0
	s_add_co_i32 s0, s15, ttmp9
	v_ashrrev_i32_e32 v2, 31, v1
	s_wait_alu 0xfffe
	s_cvt_f32_u32 s1, s6
	s_cvt_f32_u32 s2, s7
	s_lshl_b32 s0, s0, 2
	v_lshl_or_b32 v0, s21, 9, v0
	v_lshlrev_b64_e32 v[1:2], 2, v[1:2]
	s_wait_alu 0xfffe
	s_add_co_i32 s0, s0, s21
	s_fmamk_f32 s2, s2, 0x4f800000, s1
	s_wait_alu 0xfffe
	s_ashr_i32 s1, s0, 31
	s_sub_nc_u64 s[30:31], 0, s[6:7]
	s_wait_alu 0xfffe
	s_lshl_b64 s[0:1], s[0:1], 3
	s_wait_kmcnt 0x0
	v_add_co_u32 v1, vcc_lo, s8, v1
	s_delay_alu instid0(VALU_DEP_1)
	v_add_co_ci_u32_e64 v2, null, s9, v2, vcc_lo
	v_s_rcp_f32 s2, s2
	s_wait_alu 0xfffe
	s_add_nc_u64 s[0:1], s[10:11], s[0:1]
	s_mov_b32 s8, 0
	global_load_b32 v3, v[1:2], off
	s_load_b64 s[26:27], s[0:1], 0x0
	v_mul_f32_e32 v4, 0x4f7ffffe, v4
	s_lshl_b32 s0, s16, 4
	s_mul_f32 s2, s2, 0x5f7ffffc
	s_wait_alu 0xfffe
	s_delay_alu instid0(SALU_CYCLE_2) | instskip(SKIP_1) | instid1(SALU_CYCLE_2)
	s_mul_f32 s1, s2, 0x2f800000
	s_wait_alu 0xfffe
	s_trunc_f32 s3, s1
	s_mov_b32 s1, s8
	s_wait_alu 0xfffe
	s_lshl_b64 s[0:1], s[0:1], 2
	s_fmamk_f32 s2, s3, 0xcf800000, s2
	s_cvt_u32_f32 s29, s3
	s_wait_alu 0xfffe
	s_add_nc_u64 s[24:25], s[10:11], s[0:1]
	s_cvt_u32_f32 s28, s2
	s_wait_kmcnt 0x0
	v_mov_b32_e32 v5, s27
	v_cvt_u32_f32_e32 v4, v4
.LBB22_9:                               ; =>This Inner Loop Header: Depth=1
	s_wait_alu 0xfffe
	s_ashr_i32 s35, s34, 31
	s_mov_b32 s2, -1
	s_wait_alu 0xfffe
	s_mul_u64 s[0:1], s[34:35], s[18:19]
                                        ; implicit-def: $sgpr38_sgpr39
	s_wait_alu 0xfffe
	s_mov_b32 s9, s1
	s_wait_alu 0xfffe
	s_cmp_lg_u64 s[8:9], 0
	s_cbranch_scc0 .LBB22_11
; %bb.10:                               ;   in Loop: Header=BB22_9 Depth=1
	s_mul_u64 s[2:3], s[30:31], s[28:29]
	s_mov_b32 s37, s8
	s_wait_alu 0xfffe
	s_mul_hi_u32 s5, s28, s3
	s_mul_i32 s4, s28, s3
	s_mul_hi_u32 s36, s28, s2
	s_mul_hi_u32 s9, s29, s2
	s_wait_alu 0xfffe
	s_add_nc_u64 s[4:5], s[36:37], s[4:5]
	s_mul_i32 s2, s29, s2
	s_mul_hi_u32 s17, s29, s3
	s_wait_alu 0xfffe
	s_add_co_u32 s2, s4, s2
	s_add_co_ci_u32 s2, s5, s9
	s_add_co_ci_u32 s5, s17, 0
	s_mul_i32 s4, s29, s3
	s_mov_b32 s3, s8
	s_mov_b32 s39, s8
	s_wait_alu 0xfffe
	s_add_nc_u64 s[2:3], s[2:3], s[4:5]
	s_wait_alu 0xfffe
	s_add_co_u32 s2, s28, s2
	s_cselect_b32 s4, -1, 0
	s_wait_alu 0xfffe
	s_cmp_lg_u32 s4, 0
	s_add_co_ci_u32 s3, s29, s3
	s_wait_alu 0xfffe
	s_mul_u64 s[4:5], s[30:31], s[2:3]
	s_wait_alu 0xfffe
	s_mul_hi_u32 s37, s2, s5
	s_mul_i32 s36, s2, s5
	s_mul_hi_u32 s38, s2, s4
	s_mul_hi_u32 s9, s3, s4
	s_mul_i32 s4, s3, s4
	s_wait_alu 0xfffe
	s_add_nc_u64 s[36:37], s[38:39], s[36:37]
	s_mul_hi_u32 s17, s3, s5
	s_wait_alu 0xfffe
	s_add_co_u32 s4, s36, s4
	s_add_co_ci_u32 s4, s37, s9
	s_add_co_ci_u32 s37, s17, 0
	s_mul_i32 s36, s3, s5
	s_mov_b32 s5, s8
	s_wait_alu 0xfffe
	s_add_nc_u64 s[4:5], s[4:5], s[36:37]
	s_mov_b32 s37, s8
	s_wait_alu 0xfffe
	s_add_co_u32 s9, s2, s4
	s_cselect_b32 s2, -1, 0
	s_wait_alu 0xfffe
	s_cmp_lg_u32 s2, 0
	s_add_co_ci_u32 s17, s3, s5
	s_ashr_i32 s2, s1, 31
	s_wait_alu 0xfffe
	s_mov_b32 s3, s2
	s_wait_alu 0xfffe
	s_add_nc_u64 s[4:5], s[0:1], s[2:3]
	s_wait_alu 0xfffe
	s_xor_b64 s[4:5], s[4:5], s[2:3]
	s_wait_alu 0xfffe
	s_mul_hi_u32 s39, s4, s17
	s_mul_i32 s38, s4, s17
	s_mul_hi_u32 s36, s4, s9
	s_mul_i32 s27, s5, s9
	s_wait_alu 0xfffe
	s_add_nc_u64 s[36:37], s[36:37], s[38:39]
	s_mul_hi_u32 s9, s5, s9
	s_mul_hi_u32 s1, s5, s17
	s_wait_alu 0xfffe
	s_add_co_u32 s27, s36, s27
	s_add_co_ci_u32 s36, s37, s9
	s_add_co_ci_u32 s39, s1, 0
	s_mul_i32 s38, s5, s17
	s_mov_b32 s37, s8
	s_wait_alu 0xfffe
	s_add_nc_u64 s[36:37], s[36:37], s[38:39]
	s_wait_alu 0xfffe
	s_mul_u64 s[38:39], s[6:7], s[36:37]
	s_add_nc_u64 s[40:41], s[36:37], 1
	s_wait_alu 0xfffe
	s_sub_co_u32 s1, s4, s38
	s_cselect_b32 s4, -1, 0
	s_sub_co_i32 s9, s5, s39
	s_wait_alu 0xfffe
	s_cmp_lg_u32 s4, 0
	s_add_nc_u64 s[42:43], s[36:37], 2
	s_sub_co_ci_u32 s9, s9, s7
	s_sub_co_u32 s17, s1, s6
	s_cselect_b32 s27, -1, 0
	s_wait_alu 0xfffe
	s_cmp_lg_u32 s27, 0
	s_sub_co_ci_u32 s9, s9, 0
	s_wait_alu 0xfffe
	s_cmp_ge_u32 s9, s7
	s_cselect_b32 s27, -1, 0
	s_cmp_ge_u32 s17, s6
	s_cselect_b32 s17, -1, 0
	s_cmp_eq_u32 s9, s7
	s_wait_alu 0xfffe
	s_cselect_b32 s9, s17, s27
	s_wait_alu 0xfffe
	s_cmp_lg_u32 s9, 0
	s_cselect_b32 s9, s42, s40
	s_cselect_b32 s17, s43, s41
	s_cmp_lg_u32 s4, 0
	s_sub_co_ci_u32 s4, s5, s39
	s_wait_alu 0xfffe
	s_cmp_ge_u32 s4, s7
	s_cselect_b32 s5, -1, 0
	s_cmp_ge_u32 s1, s6
	s_cselect_b32 s1, -1, 0
	s_cmp_eq_u32 s4, s7
	s_wait_alu 0xfffe
	s_cselect_b32 s1, s1, s5
	s_wait_alu 0xfffe
	s_cmp_lg_u32 s1, 0
	s_cselect_b32 s5, s17, s37
	s_cselect_b32 s4, s9, s36
	s_xor_b64 s[2:3], s[2:3], 0
	s_wait_alu 0xfffe
	s_xor_b64 s[4:5], s[4:5], s[2:3]
	s_wait_alu 0xfffe
	s_sub_nc_u64 s[38:39], s[4:5], s[2:3]
	s_mov_b32 s2, 0
.LBB22_11:                              ;   in Loop: Header=BB22_9 Depth=1
	s_wait_alu 0xfffe
	s_and_not1_b32 vcc_lo, exec_lo, s2
	s_wait_alu 0xfffe
	s_cbranch_vccnz .LBB22_13
; %bb.12:                               ;   in Loop: Header=BB22_9 Depth=1
	v_readfirstlane_b32 s1, v4
	s_sub_co_i32 s2, 0, s16
	s_wait_alu 0xfffe
	s_mul_i32 s2, s2, s1
	s_wait_alu 0xfffe
	s_mul_hi_u32 s2, s1, s2
	s_wait_alu 0xfffe
	s_add_co_i32 s1, s1, s2
	s_wait_alu 0xfffe
	s_mul_hi_u32 s1, s0, s1
	s_wait_alu 0xfffe
	s_mul_i32 s2, s1, s16
	s_wait_alu 0xfffe
	s_sub_co_i32 s0, s0, s2
	s_add_co_i32 s2, s1, 1
	s_wait_alu 0xfffe
	s_sub_co_i32 s3, s0, s16
	s_cmp_ge_u32 s0, s16
	s_cselect_b32 s1, s2, s1
	s_wait_alu 0xfffe
	s_cselect_b32 s0, s3, s0
	s_add_co_i32 s2, s1, 1
	s_wait_alu 0xfffe
	s_cmp_ge_u32 s0, s16
	s_cselect_b32 s38, s2, s1
.LBB22_13:                              ;   in Loop: Header=BB22_9 Depth=1
	v_readfirstlane_b32 s9, v0
	s_wait_alu 0xfffe
	s_cmp_lg_u32 s20, s38
	s_mov_b32 s0, -1
                                        ; implicit-def: $sgpr27
                                        ; implicit-def: $vgpr6
                                        ; implicit-def: $vgpr7
                                        ; implicit-def: $sgpr17
                                        ; implicit-def: $sgpr33
	s_cbranch_scc1 .LBB22_16
; %bb.14:                               ;   in Loop: Header=BB22_9 Depth=1
	s_wait_alu 0xfffe
	s_and_not1_b32 vcc_lo, exec_lo, s0
	s_wait_alu 0xfffe
	s_cbranch_vccz .LBB22_19
.LBB22_15:                              ;   in Loop: Header=BB22_9 Depth=1
	s_and_not1_b32 vcc_lo, exec_lo, s27
	s_wait_alu 0xfffe
	s_cbranch_vccnz .LBB22_20
	s_branch .LBB22_23
.LBB22_16:                              ;   in Loop: Header=BB22_9 Depth=1
	s_add_co_i32 s40, s34, s15
	s_mov_b32 s1, s8
	s_wait_alu 0xfffe
	s_add_co_i32 s0, s40, s16
	v_max_num_f32_e64 v6, s26, s26
	s_wait_alu 0xfffe
	s_lshl_b32 s0, s0, 2
	s_mov_b32 s39, s8
	s_wait_alu 0xfffe
	s_add_co_i32 s0, s0, s21
	s_mul_u64 s[42:43], s[38:39], s[22:23]
	s_wait_alu 0xfffe
	s_lshl_b64 s[0:1], s[0:1], 3
	s_mov_b32 s33, s20
	s_wait_alu 0xfffe
	s_add_nc_u64 s[0:1], s[10:11], s[0:1]
	s_load_b64 s[36:37], s[0:1], 0x0
	v_readfirstlane_b32 s0, v6
	s_wait_kmcnt 0x0
	v_max_num_f32_e64 v7, s36, s36
	s_delay_alu instid0(VALU_DEP_1) | instskip(SKIP_2) | instid1(SALU_CYCLE_2)
	v_readfirstlane_b32 s1, v7
	s_max_num_f32 s9, s0, s1
	s_wait_alu 0xfffe
	s_sub_f32 s35, s26, s9
	s_sub_f32 s36, s36, s9
	s_wait_alu 0xfffe
	s_delay_alu instid0(SALU_CYCLE_1)
	s_cmp_nlt_f32 s35, 0xc2ce8ed0
	s_cselect_b32 s0, -1, 0
	s_cmp_ngt_f32 s35, 0x42b17218
	s_cselect_b32 s1, -1, 0
	s_cmp_ge_f32 s35, 0xc1a00000
	s_cselect_b32 s2, -1, 0
	s_cmp_nlt_f32 s36, 0xc2ce8ed0
	s_cselect_b32 s3, -1, 0
	s_cmp_ngt_f32 s36, 0x42b17218
	s_cselect_b32 s4, -1, 0
	s_cmp_ge_f32 s36, 0xc1a00000
	s_cselect_b32 s5, -1, 0
	s_add_co_i32 s17, s43, s38
	s_wait_alu 0xfffe
	s_lshr_b32 s17, s17, s13
	s_wait_alu 0xfffe
	s_mul_i32 s27, s17, s14
	s_wait_alu 0xfffe
	s_cmp_eq_u32 s27, s38
	s_cselect_b32 s27, -1, 0
	s_cmp_lt_u32 s17, s12
	s_cselect_b32 s17, -1, 0
	s_wait_alu 0xfffe
	s_or_b32 s17, s17, s27
	s_mov_b32 s27, -1
	s_wait_alu 0xfffe
	s_and_b32 vcc_lo, exec_lo, s17
	s_mov_b32 s17, s34
	s_wait_alu 0xfffe
	s_cbranch_vccnz .LBB22_18
; %bb.17:                               ;   in Loop: Header=BB22_9 Depth=1
	s_add_co_i32 s17, s34, -1
	s_mov_b32 s27, 0
	s_mov_b32 s33, s38
.LBB22_18:                              ;   in Loop: Header=BB22_9 Depth=1
	v_lshl_add_u32 v6, s40, 11, v0
	s_mul_f32 s38, s36, 0x3fb8aa3b
	s_mul_f32 s39, s35, 0x3fb8aa3b
	s_wait_alu 0xfffe
	s_delay_alu instid0(SALU_CYCLE_1)
	s_xor_b32 s40, s38, 0x80000000
	v_ashrrev_i32_e32 v7, 31, v6
	s_rndne_f32 s41, s38
	s_wait_alu 0xfffe
	s_fmamk_f32 s40, s36, 0x3fb8aa3b, s40
	s_xor_b32 s42, s39, 0x80000000
	s_rndne_f32 s43, s39
	v_lshlrev_b64_e32 v[6:7], 2, v[6:7]
	s_sub_f32 s38, s38, s41
	s_wait_alu 0xfffe
	s_fmamk_f32 s36, s36, 0x32a5705f, s40
	s_fmamk_f32 s40, s35, 0x3fb8aa3b, s42
	s_sub_f32 s39, s39, s43
	v_add_co_u32 v6, vcc_lo, s24, v6
	s_wait_alu 0xfffd
	v_add_co_ci_u32_e64 v7, null, s25, v7, vcc_lo
	s_wait_alu 0xfffe
	s_add_f32 s36, s38, s36
	s_fmamk_f32 s35, s35, 0x32a5705f, s40
	s_cvt_i32_f32 s38, s41
	global_load_b32 v6, v[6:7], off
	s_wait_alu 0xfffe
	v_s_exp_f32 s36, s36
	s_add_f32 s35, s39, s35
	s_wait_alu 0xfffe
	s_delay_alu instid0(SALU_CYCLE_2) | instskip(NEXT) | instid1(TRANS32_DEP_2)
	v_s_exp_f32 s35, s35
	v_ldexp_f32 v7, s36, s38
	s_cvt_i32_f32 s36, s43
	s_wait_alu 0xf1fe
	s_delay_alu instid0(TRANS32_DEP_1) | instid1(SALU_CYCLE_2)
	v_ldexp_f32 v8, s35, s36
	s_delay_alu instid0(VALU_DEP_2) | instskip(NEXT) | instid1(VALU_DEP_2)
	v_cndmask_b32_e64 v7, 0, v7, s3
	v_cndmask_b32_e64 v8, 0, v8, s0
	s_delay_alu instid0(VALU_DEP_2) | instskip(NEXT) | instid1(VALU_DEP_2)
	v_cndmask_b32_e64 v7, 0x7f800000, v7, s4
	v_cndmask_b32_e64 v8, 0x7f800000, v8, s1
	;; [unrolled: 3-line block ×3, first 2 shown]
	s_wait_loadcnt 0x0
	s_delay_alu instid0(VALU_DEP_2) | instskip(SKIP_1) | instid1(VALU_DEP_1)
	v_mul_f32_e32 v6, v6, v7
	v_mul_f32_e32 v7, s37, v7
	v_fmac_f32_e32 v7, v5, v8
	s_delay_alu instid0(VALU_DEP_3)
	v_fmac_f32_e32 v6, v3, v8
	s_cbranch_execnz .LBB22_15
.LBB22_19:                              ;   in Loop: Header=BB22_9 Depth=1
	s_wait_loadcnt 0x0
	v_dual_mov_b32 v7, v5 :: v_dual_mov_b32 v6, v3
	s_add_co_i32 s17, s34, -1
	s_mov_b32 s33, s20
	s_mov_b32 s9, s26
	s_cbranch_execz .LBB22_23
.LBB22_20:                              ;   in Loop: Header=BB22_9 Depth=1
	v_mov_b32_e32 v5, v7
	s_wait_loadcnt 0x0
	v_mov_b32_e32 v3, v6
	s_mov_b32 s20, s33
	s_wait_alu 0xfffe
	s_mov_b32 s34, s17
	s_mov_b32 s26, s9
	s_branch .LBB22_9
.LBB22_21:
                                        ; implicit-def: $sgpr20_sgpr21
	s_branch .LBB22_2
.LBB22_22:
                                        ; implicit-def: $sgpr10_sgpr11
	s_load_b96 s[12:14], s[0:1], 0x44
	s_branch .LBB22_5
.LBB22_23:
	v_div_scale_f32 v0, null, v7, v7, v6
	s_wait_loadcnt 0x0
	s_delay_alu instid0(VALU_DEP_1) | instskip(NEXT) | instid1(TRANS32_DEP_1)
	v_rcp_f32_e32 v3, v0
	v_fma_f32 v4, -v0, v3, 1.0
	s_delay_alu instid0(VALU_DEP_1) | instskip(SKIP_1) | instid1(VALU_DEP_1)
	v_fmac_f32_e32 v3, v4, v3
	v_div_scale_f32 v4, vcc_lo, v6, v7, v6
	v_mul_f32_e32 v5, v4, v3
	s_delay_alu instid0(VALU_DEP_1) | instskip(NEXT) | instid1(VALU_DEP_1)
	v_fma_f32 v8, -v0, v5, v4
	v_fmac_f32_e32 v5, v8, v3
	s_delay_alu instid0(VALU_DEP_1) | instskip(SKIP_1) | instid1(VALU_DEP_1)
	v_fma_f32 v0, -v0, v5, v4
	s_wait_alu 0xfffd
	v_div_fmas_f32 v0, v0, v3, v5
	s_delay_alu instid0(VALU_DEP_1)
	v_div_fixup_f32 v0, v0, v7, v6
	global_store_b32 v[1:2], v0, off
.LBB22_24:
	s_endpgm
	.section	.rodata,"a",@progbits
	.p2align	6, 0x0
	.amdhsa_kernel _ZL33flash_attn_stream_k_fixup_generalILi512ELi1ELi4EEvPfPK15HIP_vector_typeIfLj2EEiiiiS1_IjLj3EES5_S5_S5_
		.amdhsa_group_segment_fixed_size 0
		.amdhsa_private_segment_fixed_size 0
		.amdhsa_kernarg_size 336
		.amdhsa_user_sgpr_count 2
		.amdhsa_user_sgpr_dispatch_ptr 0
		.amdhsa_user_sgpr_queue_ptr 0
		.amdhsa_user_sgpr_kernarg_segment_ptr 1
		.amdhsa_user_sgpr_dispatch_id 0
		.amdhsa_user_sgpr_private_segment_size 0
		.amdhsa_wavefront_size32 1
		.amdhsa_uses_dynamic_stack 0
		.amdhsa_enable_private_segment 0
		.amdhsa_system_sgpr_workgroup_id_x 1
		.amdhsa_system_sgpr_workgroup_id_y 1
		.amdhsa_system_sgpr_workgroup_id_z 1
		.amdhsa_system_sgpr_workgroup_info 0
		.amdhsa_system_vgpr_workitem_id 0
		.amdhsa_next_free_vgpr 9
		.amdhsa_next_free_sgpr 44
		.amdhsa_reserve_vcc 1
		.amdhsa_float_round_mode_32 0
		.amdhsa_float_round_mode_16_64 0
		.amdhsa_float_denorm_mode_32 3
		.amdhsa_float_denorm_mode_16_64 3
		.amdhsa_fp16_overflow 0
		.amdhsa_workgroup_processor_mode 1
		.amdhsa_memory_ordered 1
		.amdhsa_forward_progress 1
		.amdhsa_inst_pref_size 28
		.amdhsa_round_robin_scheduling 0
		.amdhsa_exception_fp_ieee_invalid_op 0
		.amdhsa_exception_fp_denorm_src 0
		.amdhsa_exception_fp_ieee_div_zero 0
		.amdhsa_exception_fp_ieee_overflow 0
		.amdhsa_exception_fp_ieee_underflow 0
		.amdhsa_exception_fp_ieee_inexact 0
		.amdhsa_exception_int_div_zero 0
	.end_amdhsa_kernel
	.section	.text._ZL33flash_attn_stream_k_fixup_generalILi512ELi1ELi4EEvPfPK15HIP_vector_typeIfLj2EEiiiiS1_IjLj3EES5_S5_S5_,"axG",@progbits,_ZL33flash_attn_stream_k_fixup_generalILi512ELi1ELi4EEvPfPK15HIP_vector_typeIfLj2EEiiiiS1_IjLj3EES5_S5_S5_,comdat
.Lfunc_end22:
	.size	_ZL33flash_attn_stream_k_fixup_generalILi512ELi1ELi4EEvPfPK15HIP_vector_typeIfLj2EEiiiiS1_IjLj3EES5_S5_S5_, .Lfunc_end22-_ZL33flash_attn_stream_k_fixup_generalILi512ELi1ELi4EEvPfPK15HIP_vector_typeIfLj2EEiiiiS1_IjLj3EES5_S5_S5_
                                        ; -- End function
	.set _ZL33flash_attn_stream_k_fixup_generalILi512ELi1ELi4EEvPfPK15HIP_vector_typeIfLj2EEiiiiS1_IjLj3EES5_S5_S5_.num_vgpr, 9
	.set _ZL33flash_attn_stream_k_fixup_generalILi512ELi1ELi4EEvPfPK15HIP_vector_typeIfLj2EEiiiiS1_IjLj3EES5_S5_S5_.num_agpr, 0
	.set _ZL33flash_attn_stream_k_fixup_generalILi512ELi1ELi4EEvPfPK15HIP_vector_typeIfLj2EEiiiiS1_IjLj3EES5_S5_S5_.numbered_sgpr, 44
	.set _ZL33flash_attn_stream_k_fixup_generalILi512ELi1ELi4EEvPfPK15HIP_vector_typeIfLj2EEiiiiS1_IjLj3EES5_S5_S5_.num_named_barrier, 0
	.set _ZL33flash_attn_stream_k_fixup_generalILi512ELi1ELi4EEvPfPK15HIP_vector_typeIfLj2EEiiiiS1_IjLj3EES5_S5_S5_.private_seg_size, 0
	.set _ZL33flash_attn_stream_k_fixup_generalILi512ELi1ELi4EEvPfPK15HIP_vector_typeIfLj2EEiiiiS1_IjLj3EES5_S5_S5_.uses_vcc, 1
	.set _ZL33flash_attn_stream_k_fixup_generalILi512ELi1ELi4EEvPfPK15HIP_vector_typeIfLj2EEiiiiS1_IjLj3EES5_S5_S5_.uses_flat_scratch, 0
	.set _ZL33flash_attn_stream_k_fixup_generalILi512ELi1ELi4EEvPfPK15HIP_vector_typeIfLj2EEiiiiS1_IjLj3EES5_S5_S5_.has_dyn_sized_stack, 0
	.set _ZL33flash_attn_stream_k_fixup_generalILi512ELi1ELi4EEvPfPK15HIP_vector_typeIfLj2EEiiiiS1_IjLj3EES5_S5_S5_.has_recursion, 0
	.set _ZL33flash_attn_stream_k_fixup_generalILi512ELi1ELi4EEvPfPK15HIP_vector_typeIfLj2EEiiiiS1_IjLj3EES5_S5_S5_.has_indirect_call, 0
	.section	.AMDGPU.csdata,"",@progbits
; Kernel info:
; codeLenInByte = 3556
; TotalNumSgprs: 46
; NumVgprs: 9
; ScratchSize: 0
; MemoryBound: 0
; FloatMode: 240
; IeeeMode: 1
; LDSByteSize: 0 bytes/workgroup (compile time only)
; SGPRBlocks: 0
; VGPRBlocks: 1
; NumSGPRsForWavesPerEU: 46
; NumVGPRsForWavesPerEU: 9
; Occupancy: 16
; WaveLimiterHint : 0
; COMPUTE_PGM_RSRC2:SCRATCH_EN: 0
; COMPUTE_PGM_RSRC2:USER_SGPR: 2
; COMPUTE_PGM_RSRC2:TRAP_HANDLER: 0
; COMPUTE_PGM_RSRC2:TGID_X_EN: 1
; COMPUTE_PGM_RSRC2:TGID_Y_EN: 1
; COMPUTE_PGM_RSRC2:TGID_Z_EN: 1
; COMPUTE_PGM_RSRC2:TIDIG_COMP_CNT: 0
	.section	.text._ZL15flash_attn_tileILi576ELi512ELi2ELi16ELb1EEvPKcS1_S1_S1_S1_PKiPfP15HIP_vector_typeIfLj2EEffffjfiS5_IjLj3EEiiiiiiiiiiiliiliiiiil,"axG",@progbits,_ZL15flash_attn_tileILi576ELi512ELi2ELi16ELb1EEvPKcS1_S1_S1_S1_PKiPfP15HIP_vector_typeIfLj2EEffffjfiS5_IjLj3EEiiiiiiiiiiiliiliiiiil,comdat
	.globl	_ZL15flash_attn_tileILi576ELi512ELi2ELi16ELb1EEvPKcS1_S1_S1_S1_PKiPfP15HIP_vector_typeIfLj2EEffffjfiS5_IjLj3EEiiiiiiiiiiiliiliiiiil ; -- Begin function _ZL15flash_attn_tileILi576ELi512ELi2ELi16ELb1EEvPKcS1_S1_S1_S1_PKiPfP15HIP_vector_typeIfLj2EEffffjfiS5_IjLj3EEiiiiiiiiiiiliiliiiiil
	.p2align	8
	.type	_ZL15flash_attn_tileILi576ELi512ELi2ELi16ELb1EEvPKcS1_S1_S1_S1_PKiPfP15HIP_vector_typeIfLj2EEffffjfiS5_IjLj3EEiiiiiiiiiiiliiliiiiil,@function
_ZL15flash_attn_tileILi576ELi512ELi2ELi16ELb1EEvPKcS1_S1_S1_S1_PKiPfP15HIP_vector_typeIfLj2EEffffjfiS5_IjLj3EEiiiiiiiiiiiliiliiiiil: ; @_ZL15flash_attn_tileILi576ELi512ELi2ELi16ELb1EEvPKcS1_S1_S1_S1_PKiPfP15HIP_vector_typeIfLj2EEffffjfiS5_IjLj3EEiiiiiiiiiiiliiliiiiil
; %bb.0:
	s_clause 0x1
	s_load_b128 s[20:23], s[0:1], 0x5c
	s_load_b64 s[30:31], s[0:1], 0x80
	s_lshr_b32 s5, ttmp7, 16
	s_mov_b32 s37, 0
	s_mov_b64 s[34:35], 0
	s_wait_kmcnt 0x0
	s_ashr_i32 s2, s23, 31
	s_delay_alu instid0(SALU_CYCLE_1) | instskip(NEXT) | instid1(SALU_CYCLE_1)
	s_lshr_b32 s2, s2, 28
	s_add_co_i32 s2, s23, s2
	s_delay_alu instid0(SALU_CYCLE_1) | instskip(NEXT) | instid1(SALU_CYCLE_1)
	s_ashr_i32 s2, s2, 4
	s_cvt_f32_u32 s3, s2
	s_sub_co_i32 s4, 0, s2
	s_delay_alu instid0(SALU_CYCLE_2) | instskip(NEXT) | instid1(TRANS32_DEP_1)
	v_rcp_iflag_f32_e32 v1, s3
	v_readfirstlane_b32 s3, v1
	s_mul_f32 s3, s3, 0x4f7ffffe
	s_wait_alu 0xfffe
	s_delay_alu instid0(SALU_CYCLE_2) | instskip(SKIP_1) | instid1(SALU_CYCLE_2)
	s_cvt_u32_f32 s3, s3
	s_wait_alu 0xfffe
	s_mul_i32 s4, s4, s3
	s_delay_alu instid0(SALU_CYCLE_1) | instskip(NEXT) | instid1(SALU_CYCLE_1)
	s_mul_hi_u32 s4, s3, s4
	s_add_co_i32 s3, s3, s4
	s_wait_alu 0xfffe
	s_mul_hi_u32 s3, s5, s3
	s_wait_alu 0xfffe
	s_mul_i32 s4, s3, s2
	s_add_co_i32 s6, s3, 1
	s_sub_co_i32 s4, s5, s4
	s_delay_alu instid0(SALU_CYCLE_1)
	s_sub_co_i32 s7, s4, s2
	s_cmp_ge_u32 s4, s2
	s_cselect_b32 s3, s6, s3
	s_cselect_b32 s4, s7, s4
	s_wait_alu 0xfffe
	s_add_co_i32 s6, s3, 1
	s_cmp_ge_u32 s4, s2
	s_cselect_b32 s28, s6, s3
	s_abs_i32 s2, s31
	s_abs_i32 s7, s23
	s_wait_alu 0xfffe
	s_cvt_f32_u32 s3, s2
	s_sub_co_i32 s4, 0, s2
	s_lshl_b32 s5, s5, 4
	s_mul_i32 s6, s28, s23
	s_wait_alu 0xfffe
	v_rcp_iflag_f32_e32 v1, s3
	s_sub_co_i32 s33, s5, s6
	s_delay_alu instid0(TRANS32_DEP_1) | instskip(SKIP_2) | instid1(SALU_CYCLE_2)
	v_readfirstlane_b32 s3, v1
	s_mul_f32 s3, s3, 0x4f7ffffe
	s_wait_alu 0xfffe
	s_cvt_u32_f32 s3, s3
	s_wait_alu 0xfffe
	s_delay_alu instid0(SALU_CYCLE_2) | instskip(NEXT) | instid1(SALU_CYCLE_1)
	s_mul_i32 s4, s4, s3
	s_mul_hi_u32 s4, s3, s4
	s_delay_alu instid0(SALU_CYCLE_1)
	s_add_co_i32 s3, s3, s4
	s_xor_b32 s4, s23, s31
	s_wait_alu 0xfffe
	s_mul_hi_u32 s3, s7, s3
	s_ashr_i32 s24, s4, 31
	s_wait_alu 0xfffe
	s_mul_i32 s5, s3, s2
	s_delay_alu instid0(SALU_CYCLE_1)
	s_sub_co_i32 s4, s7, s5
	s_add_co_i32 s5, s3, 1
	s_sub_co_i32 s6, s4, s2
	s_cmp_ge_u32 s4, s2
	s_cselect_b32 s3, s5, s3
	s_cselect_b32 s4, s6, s4
	s_wait_alu 0xfffe
	s_add_co_i32 s5, s3, 1
	s_cmp_ge_u32 s4, s2
	s_cselect_b32 s2, s5, s3
	s_load_b512 s[4:19], s[0:1], 0x0
	s_xor_b32 s2, s2, s24
	s_wait_alu 0xfffe
	s_sub_co_i32 s29, s2, s24
	s_load_b64 s[2:3], s[0:1], 0xb8
	s_abs_i32 s38, s29
	s_delay_alu instid0(SALU_CYCLE_1) | instskip(NEXT) | instid1(SALU_CYCLE_3)
	s_cvt_f32_u32 s24, s38
	v_rcp_iflag_f32_e32 v1, s24
	s_wait_kmcnt 0x0
	s_cmp_eq_u64 s[10:11], 0
	s_delay_alu instid0(TRANS32_DEP_1)
	v_readfirstlane_b32 s24, v1
	s_cbranch_scc1 .LBB23_2
; %bb.1:
	s_abs_i32 s2, s2
	s_wait_alu 0xfffe
	s_cvt_f32_u32 s25, s2
	s_sub_co_i32 s26, 0, s2
	s_wait_alu 0xfffe
	s_delay_alu instid0(SALU_CYCLE_1) | instskip(NEXT) | instid1(TRANS32_DEP_1)
	v_rcp_iflag_f32_e32 v1, s25
	v_readfirstlane_b32 s25, v1
	s_mul_f32 s25, s25, 0x4f7ffffe
	s_wait_alu 0xfffe
	s_delay_alu instid0(SALU_CYCLE_2) | instskip(SKIP_1) | instid1(SALU_CYCLE_2)
	s_cvt_u32_f32 s25, s25
	s_wait_alu 0xfffe
	s_mul_i32 s26, s26, s25
	s_delay_alu instid0(SALU_CYCLE_1)
	s_mul_hi_u32 s31, s25, s26
	s_load_b64 s[26:27], s[0:1], 0xc8
	s_add_co_i32 s25, s25, s31
	s_wait_alu 0xfffe
	s_mul_hi_u32 s25, s28, s25
	s_wait_alu 0xfffe
	s_mul_i32 s25, s25, s2
	s_wait_alu 0xfffe
	s_sub_co_i32 s25, s28, s25
	s_wait_alu 0xfffe
	s_sub_co_i32 s31, s25, s2
	s_cmp_ge_u32 s25, s2
	s_cselect_b32 s25, s31, s25
	s_wait_alu 0xfffe
	s_sub_co_i32 s31, s25, s2
	s_cmp_ge_u32 s25, s2
	s_cselect_b32 s34, s31, s25
	s_delay_alu instid0(SALU_CYCLE_1) | instskip(SKIP_2) | instid1(SALU_CYCLE_1)
	s_ashr_i32 s35, s34, 31
	s_wait_kmcnt 0x0
	s_mul_u64 s[26:27], s[26:27], s[34:35]
	s_add_nc_u64 s[34:35], s[10:11], s[26:27]
.LBB23_2:
	v_lshrrev_b32_e32 v1, 10, v0
	s_load_b96 s[40:42], s[0:1], 0x70
	v_bfe_u32 v3, v0, 10, 10
	v_and_b32_e32 v17, 0x3ff, v0
	s_delay_alu instid0(VALU_DEP_3) | instskip(NEXT) | instid1(VALU_DEP_3)
	v_bfe_u32 v1, v1, 2, 8
	v_lshlrev_b32_e32 v9, 2, v3
	s_delay_alu instid0(VALU_DEP_3) | instskip(SKIP_1) | instid1(VALU_DEP_4)
	v_lshlrev_b32_e32 v33, 3, v17
	v_mul_u32_u24_e32 v34, 0x1200, v3
	v_lshl_add_u32 v16, ttmp9, 1, v1
	s_delay_alu instid0(VALU_DEP_4) | instskip(NEXT) | instid1(VALU_DEP_2)
	v_and_b32_e32 v31, 12, v9
	v_mul_hi_u32 v1, s20, v16
	s_wait_kmcnt 0x0
	s_mul_i32 s20, s33, s41
	s_ashr_i32 s27, s41, 31
	s_delay_alu instid0(VALU_DEP_1) | instskip(SKIP_2) | instid1(SALU_CYCLE_1)
	v_add_nc_u32_e32 v1, v16, v1
	s_mov_b32 s26, s41
	s_ashr_i32 s41, s40, 31
	s_lshr_b64 s[10:11], s[40:41], 2
	s_delay_alu instid0(VALU_DEP_1)
	v_lshrrev_b32_e32 v1, s21, v1
	s_lshr_b32 s2, s41, 2
	s_mul_i32 s40, s28, s42
	s_wait_alu 0xfffe
	s_ashr_i32 s21, s20, 31
	s_ashr_i32 s41, s40, 31
	v_mul_lo_u32 v1, v1, s22
	s_add_nc_u64 s[4:5], s[4:5], s[40:41]
	s_wait_alu 0xfffe
	s_add_nc_u64 s[4:5], s[4:5], s[20:21]
	s_delay_alu instid0(VALU_DEP_1) | instskip(NEXT) | instid1(VALU_DEP_1)
	v_sub_nc_u32_e32 v2, v16, v1
	v_mad_co_u64_u32 v[4:5], null, s10, v2, 0
	s_lshr_b64 s[10:11], s[26:27], 2
	v_mov_b32_e32 v1, v5
	s_delay_alu instid0(VALU_DEP_1) | instskip(SKIP_2) | instid1(VALU_DEP_2)
	v_mad_co_u64_u32 v[5:6], null, s2, v2, v[1:2]
	s_wait_alu 0xfffe
	v_mad_co_u64_u32 v[6:7], null, s10, v31, 0
	v_lshlrev_b64_e32 v[0:1], 2, v[4:5]
	v_lshlrev_b32_e32 v4, 4, v17
	s_delay_alu instid0(VALU_DEP_3) | instskip(NEXT) | instid1(VALU_DEP_3)
	v_mad_i32_i24 v7, s27, v31, v7
	v_add_co_u32 v5, vcc_lo, s4, v0
	s_delay_alu instid0(VALU_DEP_1) | instskip(NEXT) | instid1(VALU_DEP_3)
	v_add_co_ci_u32_e64 v8, null, s5, v1, vcc_lo
	v_lshlrev_b64_e32 v[0:1], 2, v[6:7]
	s_delay_alu instid0(VALU_DEP_3) | instskip(SKIP_1) | instid1(VALU_DEP_3)
	v_add_co_u32 v4, vcc_lo, v5, v4
	s_wait_alu 0xfffd
	v_add_co_ci_u32_e64 v5, null, 0, v8, vcc_lo
	s_load_b32 s4, s[0:1], 0x40
	v_add_co_u32 v0, vcc_lo, v4, v0
	s_wait_alu 0xfffd
	v_add_co_ci_u32_e64 v1, null, v5, v1, vcc_lo
	v_mad_u32_u24 v8, 0x1200, v3, v33
	v_cmp_gt_u32_e32 vcc_lo, 16, v17
	s_clause 0x3
	global_load_b128 v[10:13], v[0:1], off
	global_load_b128 v[18:21], v[0:1], off offset:512
	global_load_b128 v[22:25], v[0:1], off offset:1024
	;; [unrolled: 1-line block ×3, first 2 shown]
	s_wait_loadcnt 0x3
	s_wait_kmcnt 0x0
	v_fma_mixlo_f16 v6, s4, v10, 0
	v_fma_mixlo_f16 v7, s4, v11, 0
	;; [unrolled: 1-line block ×4, first 2 shown]
	s_wait_loadcnt 0x2
	v_fma_mixlo_f16 v12, s4, v18, 0
	v_fma_mixlo_f16 v13, s4, v19, 0
	;; [unrolled: 1-line block ×4, first 2 shown]
	s_wait_loadcnt 0x1
	v_fma_mixlo_f16 v18, s4, v22, 0
	v_fma_mixlo_f16 v19, s4, v23, 0
	s_wait_loadcnt 0x0
	v_fma_mixlo_f16 v22, s4, v26, 0
	v_fma_mixlo_f16 v23, s4, v27, 0
	v_lshlrev_b32_e32 v7, 16, v7
	v_and_b32_e32 v6, 0xffff, v6
	v_lshlrev_b32_e32 v11, 16, v11
	v_and_b32_e32 v10, 0xffff, v10
	;; [unrolled: 2-line block ×3, first 2 shown]
	v_fma_mixlo_f16 v20, s4, v24, 0
	v_fma_mixlo_f16 v21, s4, v25, 0
	;; [unrolled: 1-line block ×4, first 2 shown]
	v_lshlrev_b32_e32 v15, 16, v15
	v_and_b32_e32 v14, 0xffff, v14
	v_lshlrev_b32_e32 v19, 16, v19
	v_and_b32_e32 v18, 0xffff, v18
	;; [unrolled: 2-line block ×3, first 2 shown]
	v_or_b32_e32 v6, v7, v6
	v_or3_b32 v7, v11, v10, 0
	v_or_b32_e32 v10, v13, v12
	v_lshlrev_b32_e32 v21, 16, v21
	v_and_b32_e32 v20, 0xffff, v20
	v_lshlrev_b32_e32 v25, 16, v25
	v_and_b32_e32 v24, 0xffff, v24
	v_or3_b32 v11, v15, v14, 0
	v_or_b32_e32 v12, v19, v18
	v_or_b32_e32 v14, v23, v22
	v_or3_b32 v6, 0, 0, v6
	v_or3_b32 v10, 0, 0, v10
	;; [unrolled: 1-line block ×6, first 2 shown]
	ds_store_2addr_b64 v8, v[6:7], v[10:11] offset1:32
	ds_store_2addr_b64 v8, v[12:13], v[14:15] offset0:64 offset1:96
	s_and_saveexec_b32 s2, vcc_lo
	s_cbranch_execz .LBB23_4
; %bb.3:
	global_load_b128 v[10:13], v[0:1], off offset:2048
	s_wait_loadcnt 0x0
	v_fma_mixlo_f16 v0, s4, v11, 0
	v_fma_mixlo_f16 v1, s4, v10, 0
	;; [unrolled: 1-line block ×4, first 2 shown]
	s_delay_alu instid0(VALU_DEP_4) | instskip(NEXT) | instid1(VALU_DEP_4)
	v_lshlrev_b32_e32 v0, 16, v0
	v_and_b32_e32 v1, 0xffff, v1
	s_delay_alu instid0(VALU_DEP_4) | instskip(NEXT) | instid1(VALU_DEP_4)
	v_and_b32_e32 v6, 0xffff, v6
	v_lshlrev_b32_e32 v7, 16, v7
	s_delay_alu instid0(VALU_DEP_3) | instskip(NEXT) | instid1(VALU_DEP_2)
	v_or_b32_e32 v0, v0, v1
	v_or3_b32 v1, v7, v6, 0
	v_add_nc_u32_e32 v6, v33, v34
	s_delay_alu instid0(VALU_DEP_3)
	v_or3_b32 v0, 0, 0, v0
	ds_store_b64 v6, v[0:1] offset:1024
.LBB23_4:
	s_wait_alu 0xfffe
	s_or_b32 exec_lo, exec_lo, s2
	v_or_b32_e32 v8, 1, v9
	s_delay_alu instid0(VALU_DEP_1) | instskip(SKIP_1) | instid1(VALU_DEP_2)
	v_and_b32_e32 v6, 13, v8
	v_mad_u32_u24 v30, 0x480, v8, v33
	v_mad_co_u64_u32 v[0:1], null, s10, v6, 0
	s_delay_alu instid0(VALU_DEP_1) | instskip(NEXT) | instid1(VALU_DEP_1)
	v_mad_co_u64_u32 v[6:7], null, s11, v6, v[1:2]
	v_mov_b32_e32 v1, v6
	v_mul_u32_u24_e32 v6, 0x480, v8
	s_delay_alu instid0(VALU_DEP_2) | instskip(NEXT) | instid1(VALU_DEP_2)
	v_lshlrev_b64_e32 v[0:1], 2, v[0:1]
	v_add_nc_u32_e32 v6, v33, v6
	s_delay_alu instid0(VALU_DEP_2) | instskip(SKIP_1) | instid1(VALU_DEP_3)
	v_add_co_u32 v0, s2, v4, v0
	s_wait_alu 0xf1ff
	v_add_co_ci_u32_e64 v1, null, v5, v1, s2
	s_clause 0x3
	global_load_b128 v[10:13], v[0:1], off
	global_load_b128 v[18:21], v[0:1], off offset:512
	global_load_b128 v[22:25], v[0:1], off offset:1024
	;; [unrolled: 1-line block ×3, first 2 shown]
	s_wait_loadcnt 0x3
	v_fma_mixlo_f16 v7, s4, v10, 0
	v_fma_mixlo_f16 v8, s4, v11, 0
	;; [unrolled: 1-line block ×4, first 2 shown]
	s_wait_loadcnt 0x2
	v_fma_mixlo_f16 v12, s4, v18, 0
	v_fma_mixlo_f16 v13, s4, v19, 0
	;; [unrolled: 1-line block ×4, first 2 shown]
	s_wait_loadcnt 0x1
	v_fma_mixlo_f16 v18, s4, v22, 0
	v_fma_mixlo_f16 v19, s4, v23, 0
	s_wait_loadcnt 0x0
	v_fma_mixlo_f16 v22, s4, v26, 0
	v_fma_mixlo_f16 v23, s4, v27, 0
	v_lshlrev_b32_e32 v8, 16, v8
	v_and_b32_e32 v7, 0xffff, v7
	v_lshlrev_b32_e32 v11, 16, v11
	v_and_b32_e32 v10, 0xffff, v10
	;; [unrolled: 2-line block ×3, first 2 shown]
	v_fma_mixlo_f16 v20, s4, v24, 0
	v_fma_mixlo_f16 v21, s4, v25, 0
	v_fma_mixlo_f16 v24, s4, v28, 0
	v_fma_mixlo_f16 v25, s4, v29, 0
	v_lshlrev_b32_e32 v15, 16, v15
	v_and_b32_e32 v14, 0xffff, v14
	v_lshlrev_b32_e32 v19, 16, v19
	v_and_b32_e32 v18, 0xffff, v18
	;; [unrolled: 2-line block ×3, first 2 shown]
	v_or_b32_e32 v7, v8, v7
	v_or3_b32 v8, v11, v10, 0
	v_or_b32_e32 v10, v13, v12
	v_lshlrev_b32_e32 v21, 16, v21
	v_and_b32_e32 v20, 0xffff, v20
	v_lshlrev_b32_e32 v25, 16, v25
	v_and_b32_e32 v24, 0xffff, v24
	v_or3_b32 v11, v15, v14, 0
	v_or_b32_e32 v12, v19, v18
	v_or_b32_e32 v14, v23, v22
	v_or3_b32 v7, 0, 0, v7
	v_or3_b32 v10, 0, 0, v10
	;; [unrolled: 1-line block ×6, first 2 shown]
	ds_store_2addr_b64 v30, v[7:8], v[10:11] offset1:32
	ds_store_2addr_b64 v30, v[12:13], v[14:15] offset0:64 offset1:96
	s_and_saveexec_b32 s2, vcc_lo
	s_cbranch_execz .LBB23_6
; %bb.5:
	global_load_b128 v[10:13], v[0:1], off offset:2048
	s_wait_loadcnt 0x0
	v_fma_mixlo_f16 v0, s4, v11, 0
	v_fma_mixlo_f16 v1, s4, v10, 0
	;; [unrolled: 1-line block ×4, first 2 shown]
	s_delay_alu instid0(VALU_DEP_4) | instskip(NEXT) | instid1(VALU_DEP_4)
	v_lshlrev_b32_e32 v0, 16, v0
	v_and_b32_e32 v1, 0xffff, v1
	s_delay_alu instid0(VALU_DEP_4) | instskip(NEXT) | instid1(VALU_DEP_4)
	v_and_b32_e32 v7, 0xffff, v7
	v_lshlrev_b32_e32 v8, 16, v8
	s_delay_alu instid0(VALU_DEP_3) | instskip(NEXT) | instid1(VALU_DEP_2)
	v_or_b32_e32 v0, v0, v1
	v_or3_b32 v1, v8, v7, 0
	s_delay_alu instid0(VALU_DEP_2)
	v_or3_b32 v0, 0, 0, v0
	ds_store_b64 v6, v[0:1] offset:1024
.LBB23_6:
	s_wait_alu 0xfffe
	s_or_b32 exec_lo, exec_lo, s2
	v_or_b32_e32 v0, 2, v9
	s_delay_alu instid0(VALU_DEP_1) | instskip(NEXT) | instid1(VALU_DEP_1)
	v_and_b32_e32 v7, 14, v0
	v_mad_co_u64_u32 v[0:1], null, s10, v7, 0
	s_delay_alu instid0(VALU_DEP_1) | instskip(NEXT) | instid1(VALU_DEP_1)
	v_mad_co_u64_u32 v[7:8], null, s11, v7, v[1:2]
	v_mov_b32_e32 v1, v7
	s_delay_alu instid0(VALU_DEP_1) | instskip(NEXT) | instid1(VALU_DEP_1)
	v_lshlrev_b64_e32 v[0:1], 2, v[0:1]
	v_add_co_u32 v0, s2, v4, v0
	s_wait_alu 0xf1ff
	s_delay_alu instid0(VALU_DEP_2)
	v_add_co_ci_u32_e64 v1, null, v5, v1, s2
	s_clause 0x3
	global_load_b128 v[10:13], v[0:1], off
	global_load_b128 v[18:21], v[0:1], off offset:512
	global_load_b128 v[22:25], v[0:1], off offset:1024
	global_load_b128 v[26:29], v[0:1], off offset:1536
	s_wait_loadcnt 0x3
	v_fma_mixlo_f16 v7, s4, v10, 0
	v_fma_mixlo_f16 v8, s4, v11, 0
	;; [unrolled: 1-line block ×4, first 2 shown]
	s_wait_loadcnt 0x2
	v_fma_mixlo_f16 v12, s4, v18, 0
	v_fma_mixlo_f16 v13, s4, v19, 0
	;; [unrolled: 1-line block ×4, first 2 shown]
	s_wait_loadcnt 0x1
	v_fma_mixlo_f16 v18, s4, v22, 0
	v_fma_mixlo_f16 v19, s4, v23, 0
	s_wait_loadcnt 0x0
	v_fma_mixlo_f16 v22, s4, v26, 0
	v_fma_mixlo_f16 v23, s4, v27, 0
	v_lshlrev_b32_e32 v8, 16, v8
	v_and_b32_e32 v7, 0xffff, v7
	v_lshlrev_b32_e32 v11, 16, v11
	v_and_b32_e32 v10, 0xffff, v10
	v_lshlrev_b32_e32 v13, 16, v13
	v_and_b32_e32 v12, 0xffff, v12
	v_fma_mixlo_f16 v20, s4, v24, 0
	v_fma_mixlo_f16 v21, s4, v25, 0
	;; [unrolled: 1-line block ×4, first 2 shown]
	v_lshlrev_b32_e32 v15, 16, v15
	v_and_b32_e32 v14, 0xffff, v14
	v_lshlrev_b32_e32 v19, 16, v19
	v_and_b32_e32 v18, 0xffff, v18
	;; [unrolled: 2-line block ×3, first 2 shown]
	v_or_b32_e32 v7, v8, v7
	v_or3_b32 v8, v11, v10, 0
	v_or_b32_e32 v10, v13, v12
	v_lshlrev_b32_e32 v21, 16, v21
	v_and_b32_e32 v20, 0xffff, v20
	v_lshlrev_b32_e32 v25, 16, v25
	v_and_b32_e32 v24, 0xffff, v24
	v_or3_b32 v11, v15, v14, 0
	v_or_b32_e32 v12, v19, v18
	v_or_b32_e32 v14, v23, v22
	v_or3_b32 v7, 0, 0, v7
	v_or3_b32 v10, 0, 0, v10
	;; [unrolled: 1-line block ×6, first 2 shown]
	ds_store_2addr_b64 v6, v[7:8], v[10:11] offset0:144 offset1:176
	ds_store_2addr_b64 v6, v[12:13], v[14:15] offset0:208 offset1:240
	s_and_saveexec_b32 s2, vcc_lo
	s_cbranch_execz .LBB23_8
; %bb.7:
	global_load_b128 v[10:13], v[0:1], off offset:2048
	s_wait_loadcnt 0x0
	v_fma_mixlo_f16 v0, s4, v11, 0
	v_fma_mixlo_f16 v1, s4, v10, 0
	v_fma_mixlo_f16 v7, s4, v12, 0
	v_fma_mixlo_f16 v8, s4, v13, 0
	s_delay_alu instid0(VALU_DEP_4) | instskip(NEXT) | instid1(VALU_DEP_4)
	v_lshlrev_b32_e32 v0, 16, v0
	v_and_b32_e32 v1, 0xffff, v1
	s_delay_alu instid0(VALU_DEP_4) | instskip(NEXT) | instid1(VALU_DEP_4)
	v_and_b32_e32 v7, 0xffff, v7
	v_lshlrev_b32_e32 v8, 16, v8
	s_delay_alu instid0(VALU_DEP_3) | instskip(NEXT) | instid1(VALU_DEP_2)
	v_or_b32_e32 v0, v0, v1
	v_or3_b32 v1, v8, v7, 0
	s_delay_alu instid0(VALU_DEP_2)
	v_or3_b32 v0, 0, 0, v0
	ds_store_b64 v6, v[0:1] offset:2176
.LBB23_8:
	s_wait_alu 0xfffe
	s_or_b32 exec_lo, exec_lo, s2
	v_or_b32_e32 v0, 3, v9
	v_add_nc_u32_e32 v14, 0x800, v6
	s_delay_alu instid0(VALU_DEP_2) | instskip(NEXT) | instid1(VALU_DEP_1)
	v_and_b32_e32 v7, 15, v0
	v_mad_co_u64_u32 v[0:1], null, s10, v7, 0
	s_delay_alu instid0(VALU_DEP_1) | instskip(NEXT) | instid1(VALU_DEP_1)
	v_mad_co_u64_u32 v[7:8], null, s11, v7, v[1:2]
	v_mov_b32_e32 v1, v7
	s_delay_alu instid0(VALU_DEP_1) | instskip(NEXT) | instid1(VALU_DEP_1)
	v_lshlrev_b64_e32 v[0:1], 2, v[0:1]
	v_add_co_u32 v0, s2, v4, v0
	s_wait_alu 0xf1ff
	s_delay_alu instid0(VALU_DEP_2)
	v_add_co_ci_u32_e64 v1, null, v5, v1, s2
	s_clause 0x3
	global_load_b128 v[10:13], v[0:1], off
	global_load_b128 v[18:21], v[0:1], off offset:512
	global_load_b128 v[22:25], v[0:1], off offset:1024
	;; [unrolled: 1-line block ×3, first 2 shown]
	s_wait_loadcnt 0x3
	v_fma_mixlo_f16 v4, s4, v10, 0
	v_fma_mixlo_f16 v5, s4, v11, 0
	;; [unrolled: 1-line block ×4, first 2 shown]
	s_wait_loadcnt 0x2
	v_fma_mixlo_f16 v10, s4, v18, 0
	v_fma_mixlo_f16 v11, s4, v19, 0
	;; [unrolled: 1-line block ×4, first 2 shown]
	s_wait_loadcnt 0x1
	v_fma_mixlo_f16 v15, s4, v22, 0
	v_fma_mixlo_f16 v18, s4, v23, 0
	s_wait_loadcnt 0x0
	v_fma_mixlo_f16 v21, s4, v26, 0
	v_fma_mixlo_f16 v22, s4, v27, 0
	v_lshlrev_b32_e32 v5, 16, v5
	v_and_b32_e32 v4, 0xffff, v4
	v_lshlrev_b32_e32 v8, 16, v8
	v_and_b32_e32 v7, 0xffff, v7
	v_lshlrev_b32_e32 v11, 16, v11
	v_and_b32_e32 v10, 0xffff, v10
	v_fma_mixlo_f16 v19, s4, v24, 0
	v_fma_mixlo_f16 v20, s4, v25, 0
	;; [unrolled: 1-line block ×4, first 2 shown]
	v_lshlrev_b32_e32 v13, 16, v13
	v_and_b32_e32 v12, 0xffff, v12
	v_lshlrev_b32_e32 v18, 16, v18
	v_and_b32_e32 v15, 0xffff, v15
	;; [unrolled: 2-line block ×3, first 2 shown]
	v_or_b32_e32 v4, v5, v4
	v_or3_b32 v5, v8, v7, 0
	v_or_b32_e32 v7, v11, v10
	v_lshlrev_b32_e32 v20, 16, v20
	v_and_b32_e32 v19, 0xffff, v19
	v_lshlrev_b32_e32 v24, 16, v24
	v_and_b32_e32 v23, 0xffff, v23
	v_or3_b32 v8, v13, v12, 0
	v_or_b32_e32 v10, v18, v15
	v_or_b32_e32 v12, v22, v21
	v_or3_b32 v4, 0, 0, v4
	v_or3_b32 v7, 0, 0, v7
	;; [unrolled: 1-line block ×6, first 2 shown]
	ds_store_2addr_b64 v14, v[4:5], v[7:8] offset0:32 offset1:64
	ds_store_2addr_b64 v14, v[10:11], v[12:13] offset0:96 offset1:128
	s_and_saveexec_b32 s2, vcc_lo
	s_cbranch_execz .LBB23_10
; %bb.9:
	global_load_b128 v[10:13], v[0:1], off offset:2048
	s_wait_loadcnt 0x0
	v_fma_mixlo_f16 v0, s4, v11, 0
	v_fma_mixlo_f16 v1, s4, v10, 0
	;; [unrolled: 1-line block ×4, first 2 shown]
	s_delay_alu instid0(VALU_DEP_4) | instskip(NEXT) | instid1(VALU_DEP_4)
	v_lshlrev_b32_e32 v0, 16, v0
	v_and_b32_e32 v1, 0xffff, v1
	s_delay_alu instid0(VALU_DEP_4) | instskip(NEXT) | instid1(VALU_DEP_4)
	v_and_b32_e32 v4, 0xffff, v4
	v_lshlrev_b32_e32 v5, 16, v5
	s_delay_alu instid0(VALU_DEP_3) | instskip(NEXT) | instid1(VALU_DEP_2)
	v_or_b32_e32 v0, v0, v1
	v_or3_b32 v1, v5, v4, 0
	s_delay_alu instid0(VALU_DEP_2)
	v_or3_b32 v0, 0, 0, v0
	ds_store_b64 v6, v[0:1] offset:3328
.LBB23_10:
	s_wait_alu 0xfffe
	s_or_b32 exec_lo, exec_lo, s2
	s_cmp_eq_u64 s[14:15], 0
	s_wait_dscnt 0x0
	s_barrier_signal -1
	s_barrier_wait -1
	global_inv scope:SCOPE_SE
	s_cbranch_scc1 .LBB23_12
; %bb.11:
	s_load_b32 s2, s[0:1], 0xd0
	s_mov_b32 s5, 0
	s_wait_kmcnt 0x0
	s_mul_i32 s2, s2, s28
	s_wait_alu 0xfffe
	s_add_co_i32 s4, s2, ttmp9
	s_wait_alu 0xfffe
	s_lshl_b64 s[4:5], s[4:5], 2
	s_wait_alu 0xfffe
	s_add_nc_u64 s[4:5], s[14:15], s[4:5]
	s_load_b32 s30, s[4:5], 0x0
.LBB23_12:
	s_and_b32 s2, ttmp7, 0xffff
	v_lshlrev_b32_e32 v32, 2, v17
	v_mbcnt_lo_u32_b32 v36, -1, 0
	s_wait_alu 0xfffe
	s_lshl_b32 s4, s2, 7
	s_wait_kmcnt 0x0
	s_wait_alu 0xfffe
	s_cmp_lt_i32 s4, s30
	s_cbranch_scc1 .LBB23_15
; %bb.13:
	v_mbcnt_lo_u32_b32 v13, -1, 0
	v_mov_b32_e32 v35, 32
	s_delay_alu instid0(VALU_DEP_2)
	v_xor_b32_e32 v8, 16, v13
	v_xor_b32_e32 v7, 8, v13
	;; [unrolled: 1-line block ×5, first 2 shown]
	s_mov_b32 s11, 0
	s_cbranch_execz .LBB23_16
; %bb.14:
	v_dual_mov_b32 v67, 0 :: v_dual_mov_b32 v12, 0
	v_dual_mov_b32 v3, 0xfeffffff :: v_dual_mov_b32 v2, 0xfeffffff
	;; [unrolled: 1-line block ×20, first 2 shown]
	s_branch .LBB23_88
.LBB23_15:
                                        ; implicit-def: $vgpr13
                                        ; implicit-def: $vgpr35
                                        ; implicit-def: $vgpr8
                                        ; implicit-def: $vgpr7
                                        ; implicit-def: $vgpr6
                                        ; implicit-def: $vgpr5
                                        ; implicit-def: $vgpr4
	s_mov_b32 s11, 0
.LBB23_16:
	s_mul_f32 s5, s24, 0x4f7ffffe
	s_clause 0x1
	s_load_b128 s[24:27], s[0:1], 0x98
	s_load_b64 s[20:21], s[0:1], 0x8c
	s_sub_co_i32 s10, 0, s38
	s_abs_i32 s36, s33
	s_cvt_u32_f32 s5, s5
	s_mov_b32 s15, s37
	s_ashr_i32 s39, s33, 31
	v_lshrrev_b32_e32 v0, 3, v17
	s_wait_alu 0xfffe
	s_mul_i32 s10, s10, s5
	s_ashr_i32 s3, s3, 1
	s_wait_alu 0xfffe
	s_mul_hi_u32 s10, s5, s10
	v_dual_mov_b32 v35, 32 :: v_dual_and_b32 v12, 28, v32
	s_wait_alu 0xfffe
	s_add_co_i32 s14, s5, s10
	s_ashr_i32 s5, s29, 31
	s_mul_u64 s[14:15], s[36:37], s[14:15]
	s_wait_alu 0xfffe
	s_xor_b32 s5, s39, s5
	s_mul_i32 s10, s15, s38
	s_add_co_i32 s37, s15, 1
	s_wait_alu 0xfffe
	s_sub_co_i32 s10, s36, s10
	s_wait_kmcnt 0x0
	s_ashr_i32 s14, s26, 2
	s_ashr_i32 s20, s20, 2
	s_wait_alu 0xfffe
	s_sub_co_i32 s26, s10, s38
	s_cmp_ge_u32 s10, s38
	v_dual_mov_b32 v48, 0 :: v_dual_add_nc_u32 v1, v0, v9
	s_cselect_b32 s15, s37, s15
	s_wait_alu 0xfffe
	s_cselect_b32 s10, s26, s10
	s_add_co_i32 s26, s15, 1
	s_wait_alu 0xfffe
	s_cmp_ge_u32 s10, s38
	v_mul_lo_u32 v0, s20, v1
	s_cselect_b32 s10, s26, s15
	s_mov_b32 s29, s11
	s_wait_alu 0xfffe
	s_xor_b32 s10, s10, s5
	v_dual_mov_b32 v49, 0 :: v_dual_lshlrev_b32 v4, 2, v12
	s_mul_u64 s[24:25], s[24:25], s[28:29]
	s_wait_alu 0xfffe
	s_sub_co_i32 s5, s10, s5
	s_add_nc_u64 s[6:7], s[6:7], s[24:25]
	s_wait_alu 0xfffe
	s_mul_i32 s38, s5, s21
	s_mul_i32 s24, s5, s27
	s_lshl_b32 s5, s20, 5
	s_clause 0x1
	s_load_b32 s31, s[0:1], 0x54
	s_load_b64 s[40:41], s[0:1], 0xa8
	v_mad_u32_u24 v9, 0x90, v1, v4
	v_dual_mov_b32 v53, 0 :: v_dual_add_nc_u32 v4, s5, v0
	v_mul_lo_u32 v10, s14, v3
	v_dual_mov_b32 v88, 0xfeffffff :: v_dual_lshlrev_b32 v11, 10, v3
	s_delay_alu instid0(VALU_DEP_3) | instskip(SKIP_2) | instid1(VALU_DEP_3)
	v_dual_mov_b32 v51, 0 :: v_dual_add_nc_u32 v6, s5, v4
	v_mad_co_u64_u32 v[18:19], null, v2, s3, v[17:18]
	v_dual_mov_b32 v52, 0 :: v_dual_add_nc_u32 v37, 0x9000, v9
	v_dual_mov_b32 v57, 0 :: v_dual_add_nc_u32 v8, s5, v6
	v_lshl_add_u32 v2, s14, 3, v10
	v_ashrrev_i32_e32 v1, 31, v0
	v_dual_mov_b32 v55, 0 :: v_dual_add_nc_u32 v38, 0xa200, v9
	v_ashrrev_i32_e32 v5, 31, v4
	v_dual_mov_b32 v50, 0 :: v_dual_add_nc_u32 v39, 0xb400, v9
	;; [unrolled: 2-line block ×3, first 2 shown]
	v_ashrrev_i32_e32 v9, 31, v8
	v_lshl_add_u32 v13, v32, 2, v11
	v_dual_mov_b32 v61, 0 :: v_dual_add_nc_u32 v42, 0xd800, v11
	v_ashrrev_i32_e32 v11, 31, v10
	v_ashrrev_i32_e32 v3, 31, v2
	s_mov_b32 s10, 0x9000
	s_wait_kmcnt 0x0
	s_mul_u64 s[36:37], s[40:41], s[28:29]
	v_lshlrev_b64_e32 v[19:20], 2, v[0:1]
	v_lshlrev_b64_e32 v[21:22], 2, v[4:5]
	;; [unrolled: 1-line block ×6, first 2 shown]
	s_wait_alu 0xfffe
	v_mad_u32_u24 v41, 0x90, v17, s10
	v_dual_mov_b32 v54, 0 :: v_dual_add_nc_u32 v43, 0x9000, v13
	v_dual_mov_b32 v63, 0 :: v_dual_add_nc_u32 v44, 0x9200, v13
	;; [unrolled: 1-line block ×4, first 2 shown]
	v_dual_mov_b32 v60, 0 :: v_dual_lshlrev_b32 v47, 2, v12
	v_dual_mov_b32 v62, 0 :: v_dual_mov_b32 v71, 0
	v_dual_mov_b32 v58, 0 :: v_dual_mov_b32 v69, 0
	;; [unrolled: 1-line block ×11, first 2 shown]
	v_mov_b32_e32 v82, 0
	v_mov_b32_e32 v80, 0
	s_ashr_i32 s39, s38, 31
	s_add_nc_u64 s[8:9], s[8:9], s[36:37]
	s_ashr_i32 s25, s24, 31
	s_add_nc_u64 s[6:7], s[6:7], s[38:39]
	s_wait_alu 0xfffe
	s_add_nc_u64 s[8:9], s[8:9], s[24:25]
	s_ashr_i32 s21, s20, 31
	s_ashr_i32 s15, s14, 31
	s_add_nc_u64 s[24:25], s[0:1], 0xd0
	s_mov_b32 s3, 0xbbbac73d
.LBB23_17:                              ; =>This Loop Header: Depth=1
                                        ;     Child Loop BB23_19 Depth 2
	s_ashr_i32 s5, s4, 31
	v_dual_mov_b32 v100, 0 :: v_dual_mov_b32 v89, 0
	s_wait_alu 0xfffe
	s_mul_u64 s[26:27], s[4:5], s[20:21]
	v_dual_mov_b32 v98, 0 :: v_dual_mov_b32 v101, 0
	v_dual_mov_b32 v92, 0 :: v_dual_mov_b32 v99, 0
	v_dual_mov_b32 v94, 0 :: v_dual_mov_b32 v91, 0
	v_dual_mov_b32 v102, 0 :: v_dual_mov_b32 v95, 0
	v_dual_mov_b32 v96, 0 :: v_dual_mov_b32 v103, 0
	v_dual_mov_b32 v90, 0 :: v_dual_mov_b32 v97, 0
	v_dual_mov_b32 v93, 0 :: v_dual_mov_b32 v86, 0
	s_wait_alu 0xfffe
	s_lshl_b64 s[26:27], s[26:27], 2
	s_mov_b32 s29, s11
	s_wait_alu 0xfffe
	s_add_nc_u64 s[26:27], s[6:7], s[26:27]
	s_branch .LBB23_19
.LBB23_18:                              ;   in Loop: Header=BB23_19 Depth=2
	s_wait_alu 0xfffe
	s_and_not1_b32 vcc_lo, exec_lo, s10
	s_wait_alu 0xfffe
	s_cbranch_vccz .LBB23_21
.LBB23_19:                              ;   Parent Loop BB23_17 Depth=1
                                        ; =>  This Inner Loop Header: Depth=2
	s_lshr_b32 s10, s29, 1
	v_lshl_add_u32 v104, s29, 1, v34
	s_wait_alu 0xfffe
	s_lshl_b64 s[36:37], s[10:11], 2
	s_wait_alu 0xfffe
	s_add_nc_u64 s[36:37], s[26:27], s[36:37]
	s_wait_alu 0xfffe
	v_add_co_u32 v0, vcc_lo, s36, v19
	s_wait_alu 0xfffd
	v_add_co_ci_u32_e64 v1, null, s37, v20, vcc_lo
	v_add_co_u32 v2, vcc_lo, s36, v21
	s_wait_alu 0xfffd
	v_add_co_ci_u32_e64 v3, null, s37, v22, vcc_lo
	;; [unrolled: 3-line block ×8, first 2 shown]
	s_clause 0x3
	global_load_b128 v[0:3], v[0:1], off
	global_load_b128 v[4:7], v[4:5], off
	;; [unrolled: 1-line block ×4, first 2 shown]
	s_add_co_i32 s36, s29, 64
	s_wait_loadcnt 0x3
	ds_store_b128 v37, v[0:3]
	s_wait_loadcnt 0x2
	ds_store_b128 v38, v[4:7]
	;; [unrolled: 2-line block ×4, first 2 shown]
	s_wait_dscnt 0x0
	s_barrier_signal -1
	s_barrier_wait -1
	global_inv scope:SCOPE_SE
	ds_load_b128 v[0:3], v41
	ds_load_b128 v[4:7], v104
	ds_load_b128 v[8:11], v104 offset:1152
	ds_load_b128 v[12:15], v104 offset:2304
	;; [unrolled: 1-line block ×6, first 2 shown]
	s_wait_dscnt 0x6
	;;#ASMSTART
	v_dot2_f32_f16 v100, v0, v4, v100
	;;#ASMEND
	;;#ASMSTART
	v_dot2_f32_f16 v100, v1, v5, v100
	;;#ASMEND
	;;#ASMSTART
	v_dot2_f32_f16 v100, v2, v6, v100
	;;#ASMEND
	;;#ASMSTART
	v_dot2_f32_f16 v100, v3, v7, v100
	;;#ASMEND
	s_wait_dscnt 0x5
	;;#ASMSTART
	v_dot2_f32_f16 v98, v0, v8, v98
	;;#ASMEND
	;;#ASMSTART
	v_dot2_f32_f16 v98, v1, v9, v98
	;;#ASMEND
	;;#ASMSTART
	v_dot2_f32_f16 v98, v2, v10, v98
	;;#ASMEND
	;;#ASMSTART
	v_dot2_f32_f16 v98, v3, v11, v98
	;;#ASMEND
	;; [unrolled: 13-line block ×5, first 2 shown]
	;;#ASMSTART
	v_dot2_f32_f16 v99, v109, v8, v99
	;;#ASMEND
	;;#ASMSTART
	v_dot2_f32_f16 v99, v110, v9, v99
	;;#ASMEND
	;; [unrolled: 3-line block ×12, first 2 shown]
	s_wait_dscnt 0x1
	;;#ASMSTART
	v_dot2_f32_f16 v102, v113, v4, v102
	;;#ASMEND
	;;#ASMSTART
	v_dot2_f32_f16 v102, v114, v5, v102
	;;#ASMEND
	;; [unrolled: 3-line block ×16, first 2 shown]
	s_wait_dscnt 0x0
	;;#ASMSTART
	v_dot2_f32_f16 v103, v117, v4, v103
	;;#ASMEND
	;;#ASMSTART
	v_dot2_f32_f16 v103, v118, v5, v103
	;;#ASMEND
	;; [unrolled: 3-line block ×16, first 2 shown]
	ds_load_b128 v[0:3], v41 offset:16
	ds_load_b128 v[4:7], v104 offset:16
	;; [unrolled: 1-line block ×8, first 2 shown]
	s_wait_dscnt 0x6
	;;#ASMSTART
	v_dot2_f32_f16 v100, v0, v4, v100
	;;#ASMEND
	;;#ASMSTART
	v_dot2_f32_f16 v100, v1, v5, v100
	;;#ASMEND
	;;#ASMSTART
	v_dot2_f32_f16 v100, v2, v6, v100
	;;#ASMEND
	;;#ASMSTART
	v_dot2_f32_f16 v100, v3, v7, v100
	;;#ASMEND
	s_wait_dscnt 0x5
	;;#ASMSTART
	v_dot2_f32_f16 v98, v0, v8, v98
	;;#ASMEND
	;;#ASMSTART
	v_dot2_f32_f16 v98, v1, v9, v98
	;;#ASMEND
	;;#ASMSTART
	v_dot2_f32_f16 v98, v2, v10, v98
	;;#ASMEND
	;;#ASMSTART
	v_dot2_f32_f16 v98, v3, v11, v98
	;;#ASMEND
	;; [unrolled: 13-line block ×5, first 2 shown]
	;;#ASMSTART
	v_dot2_f32_f16 v99, v109, v8, v99
	;;#ASMEND
	;;#ASMSTART
	v_dot2_f32_f16 v99, v110, v9, v99
	;;#ASMEND
	;; [unrolled: 3-line block ×12, first 2 shown]
	s_wait_dscnt 0x1
	;;#ASMSTART
	v_dot2_f32_f16 v102, v113, v4, v102
	;;#ASMEND
	;;#ASMSTART
	v_dot2_f32_f16 v102, v114, v5, v102
	;;#ASMEND
	;; [unrolled: 3-line block ×16, first 2 shown]
	s_wait_dscnt 0x0
	;;#ASMSTART
	v_dot2_f32_f16 v103, v117, v4, v103
	;;#ASMEND
	;;#ASMSTART
	v_dot2_f32_f16 v103, v118, v5, v103
	;;#ASMEND
	;; [unrolled: 3-line block ×16, first 2 shown]
	ds_load_b128 v[0:3], v41 offset:32
	ds_load_b128 v[4:7], v104 offset:32
	;; [unrolled: 1-line block ×8, first 2 shown]
	s_wait_dscnt 0x6
	;;#ASMSTART
	v_dot2_f32_f16 v100, v0, v4, v100
	;;#ASMEND
	;;#ASMSTART
	v_dot2_f32_f16 v100, v1, v5, v100
	;;#ASMEND
	;;#ASMSTART
	v_dot2_f32_f16 v100, v2, v6, v100
	;;#ASMEND
	;;#ASMSTART
	v_dot2_f32_f16 v100, v3, v7, v100
	;;#ASMEND
	s_wait_dscnt 0x5
	;;#ASMSTART
	v_dot2_f32_f16 v98, v0, v8, v98
	;;#ASMEND
	;;#ASMSTART
	v_dot2_f32_f16 v98, v1, v9, v98
	;;#ASMEND
	;;#ASMSTART
	v_dot2_f32_f16 v98, v2, v10, v98
	;;#ASMEND
	;;#ASMSTART
	v_dot2_f32_f16 v98, v3, v11, v98
	;;#ASMEND
	;; [unrolled: 13-line block ×5, first 2 shown]
	;;#ASMSTART
	v_dot2_f32_f16 v99, v109, v8, v99
	;;#ASMEND
	;;#ASMSTART
	v_dot2_f32_f16 v99, v110, v9, v99
	;;#ASMEND
	;; [unrolled: 3-line block ×12, first 2 shown]
	s_wait_dscnt 0x1
	;;#ASMSTART
	v_dot2_f32_f16 v102, v113, v4, v102
	;;#ASMEND
	;;#ASMSTART
	v_dot2_f32_f16 v102, v114, v5, v102
	;;#ASMEND
	;; [unrolled: 3-line block ×16, first 2 shown]
	s_wait_dscnt 0x0
	;;#ASMSTART
	v_dot2_f32_f16 v103, v117, v4, v103
	;;#ASMEND
	;;#ASMSTART
	v_dot2_f32_f16 v103, v118, v5, v103
	;;#ASMEND
	;; [unrolled: 3-line block ×16, first 2 shown]
	ds_load_b128 v[0:3], v41 offset:48
	ds_load_b128 v[4:7], v104 offset:48
	;; [unrolled: 1-line block ×8, first 2 shown]
	s_wait_dscnt 0x6
	;;#ASMSTART
	v_dot2_f32_f16 v100, v0, v4, v100
	;;#ASMEND
	;;#ASMSTART
	v_dot2_f32_f16 v100, v1, v5, v100
	;;#ASMEND
	;;#ASMSTART
	v_dot2_f32_f16 v100, v2, v6, v100
	;;#ASMEND
	;;#ASMSTART
	v_dot2_f32_f16 v100, v3, v7, v100
	;;#ASMEND
	s_wait_dscnt 0x5
	;;#ASMSTART
	v_dot2_f32_f16 v98, v0, v8, v98
	;;#ASMEND
	;;#ASMSTART
	v_dot2_f32_f16 v98, v1, v9, v98
	;;#ASMEND
	;;#ASMSTART
	v_dot2_f32_f16 v98, v2, v10, v98
	;;#ASMEND
	;;#ASMSTART
	v_dot2_f32_f16 v98, v3, v11, v98
	;;#ASMEND
	;; [unrolled: 13-line block ×5, first 2 shown]
	;;#ASMSTART
	v_dot2_f32_f16 v99, v109, v8, v99
	;;#ASMEND
	;;#ASMSTART
	v_dot2_f32_f16 v99, v110, v9, v99
	;;#ASMEND
	;; [unrolled: 3-line block ×12, first 2 shown]
	s_wait_dscnt 0x1
	;;#ASMSTART
	v_dot2_f32_f16 v102, v113, v4, v102
	;;#ASMEND
	;;#ASMSTART
	v_dot2_f32_f16 v102, v114, v5, v102
	;;#ASMEND
	;; [unrolled: 3-line block ×16, first 2 shown]
	s_wait_dscnt 0x0
	;;#ASMSTART
	v_dot2_f32_f16 v103, v117, v4, v103
	;;#ASMEND
	;;#ASMSTART
	v_dot2_f32_f16 v103, v118, v5, v103
	;;#ASMEND
	;; [unrolled: 3-line block ×16, first 2 shown]
	ds_load_b128 v[0:3], v41 offset:64
	ds_load_b128 v[4:7], v104 offset:64
	;; [unrolled: 1-line block ×8, first 2 shown]
	s_wait_dscnt 0x6
	;;#ASMSTART
	v_dot2_f32_f16 v100, v0, v4, v100
	;;#ASMEND
	;;#ASMSTART
	v_dot2_f32_f16 v100, v1, v5, v100
	;;#ASMEND
	;;#ASMSTART
	v_dot2_f32_f16 v100, v2, v6, v100
	;;#ASMEND
	;;#ASMSTART
	v_dot2_f32_f16 v100, v3, v7, v100
	;;#ASMEND
	s_wait_dscnt 0x5
	;;#ASMSTART
	v_dot2_f32_f16 v98, v0, v8, v98
	;;#ASMEND
	;;#ASMSTART
	v_dot2_f32_f16 v98, v1, v9, v98
	;;#ASMEND
	;;#ASMSTART
	v_dot2_f32_f16 v98, v2, v10, v98
	;;#ASMEND
	;;#ASMSTART
	v_dot2_f32_f16 v98, v3, v11, v98
	;;#ASMEND
	;; [unrolled: 13-line block ×5, first 2 shown]
	;;#ASMSTART
	v_dot2_f32_f16 v99, v109, v8, v99
	;;#ASMEND
	;;#ASMSTART
	v_dot2_f32_f16 v99, v110, v9, v99
	;;#ASMEND
	;;#ASMSTART
	v_dot2_f32_f16 v99, v111, v10, v99
	;;#ASMEND
	;;#ASMSTART
	v_dot2_f32_f16 v99, v112, v11, v99
	;;#ASMEND
	;;#ASMSTART
	v_dot2_f32_f16 v94, v109, v12, v94
	;;#ASMEND
	;;#ASMSTART
	v_dot2_f32_f16 v94, v110, v13, v94
	;;#ASMEND
	;;#ASMSTART
	v_dot2_f32_f16 v94, v111, v14, v94
	;;#ASMEND
	;;#ASMSTART
	v_dot2_f32_f16 v94, v112, v15, v94
	;;#ASMEND
	;;#ASMSTART
	v_dot2_f32_f16 v91, v109, v105, v91
	;;#ASMEND
	;;#ASMSTART
	v_dot2_f32_f16 v91, v110, v106, v91
	;;#ASMEND
	;;#ASMSTART
	v_dot2_f32_f16 v91, v111, v107, v91
	;;#ASMEND
	;;#ASMSTART
	v_dot2_f32_f16 v91, v112, v108, v91
	;;#ASMEND
	s_wait_dscnt 0x1
	;;#ASMSTART
	v_dot2_f32_f16 v102, v113, v4, v102
	;;#ASMEND
	;;#ASMSTART
	v_dot2_f32_f16 v102, v114, v5, v102
	;;#ASMEND
	;; [unrolled: 3-line block ×16, first 2 shown]
	s_wait_dscnt 0x0
	;;#ASMSTART
	v_dot2_f32_f16 v103, v117, v4, v103
	;;#ASMEND
	;;#ASMSTART
	v_dot2_f32_f16 v103, v118, v5, v103
	;;#ASMEND
	;; [unrolled: 3-line block ×16, first 2 shown]
	ds_load_b128 v[12:15], v41 offset:80
	ds_load_b128 v[0:3], v104 offset:80
	;; [unrolled: 1-line block ×8, first 2 shown]
	s_wait_dscnt 0x6
	;;#ASMSTART
	v_dot2_f32_f16 v100, v12, v0, v100
	;;#ASMEND
	;;#ASMSTART
	v_dot2_f32_f16 v100, v13, v1, v100
	;;#ASMEND
	;;#ASMSTART
	v_dot2_f32_f16 v100, v14, v2, v100
	;;#ASMEND
	;;#ASMSTART
	v_dot2_f32_f16 v100, v15, v3, v100
	;;#ASMEND
	s_wait_dscnt 0x5
	;;#ASMSTART
	v_dot2_f32_f16 v98, v12, v4, v98
	;;#ASMEND
	;;#ASMSTART
	v_dot2_f32_f16 v98, v13, v5, v98
	;;#ASMEND
	;;#ASMSTART
	v_dot2_f32_f16 v98, v14, v6, v98
	;;#ASMEND
	;;#ASMSTART
	v_dot2_f32_f16 v98, v15, v7, v98
	;;#ASMEND
	;; [unrolled: 13-line block ×5, first 2 shown]
	;;#ASMSTART
	v_dot2_f32_f16 v99, v109, v4, v99
	;;#ASMEND
	;;#ASMSTART
	v_dot2_f32_f16 v99, v110, v5, v99
	;;#ASMEND
	;; [unrolled: 3-line block ×12, first 2 shown]
	s_wait_dscnt 0x1
	;;#ASMSTART
	v_dot2_f32_f16 v102, v113, v0, v102
	;;#ASMEND
	;;#ASMSTART
	v_dot2_f32_f16 v102, v114, v1, v102
	;;#ASMEND
	;; [unrolled: 3-line block ×16, first 2 shown]
	s_wait_dscnt 0x0
	;;#ASMSTART
	v_dot2_f32_f16 v103, v117, v0, v103
	;;#ASMEND
	;;#ASMSTART
	v_dot2_f32_f16 v103, v118, v1, v103
	;;#ASMEND
	;; [unrolled: 3-line block ×16, first 2 shown]
	ds_load_b128 v[0:3], v41 offset:96
	ds_load_b128 v[4:7], v104 offset:96
	;; [unrolled: 1-line block ×8, first 2 shown]
	s_wait_dscnt 0x6
	;;#ASMSTART
	v_dot2_f32_f16 v100, v0, v4, v100
	;;#ASMEND
	;;#ASMSTART
	v_dot2_f32_f16 v100, v1, v5, v100
	;;#ASMEND
	;;#ASMSTART
	v_dot2_f32_f16 v100, v2, v6, v100
	;;#ASMEND
	;;#ASMSTART
	v_dot2_f32_f16 v100, v3, v7, v100
	;;#ASMEND
	s_wait_dscnt 0x5
	;;#ASMSTART
	v_dot2_f32_f16 v98, v0, v8, v98
	;;#ASMEND
	;;#ASMSTART
	v_dot2_f32_f16 v98, v1, v9, v98
	;;#ASMEND
	;;#ASMSTART
	v_dot2_f32_f16 v98, v2, v10, v98
	;;#ASMEND
	;;#ASMSTART
	v_dot2_f32_f16 v98, v3, v11, v98
	;;#ASMEND
	;; [unrolled: 13-line block ×5, first 2 shown]
	;;#ASMSTART
	v_dot2_f32_f16 v99, v109, v8, v99
	;;#ASMEND
	;;#ASMSTART
	v_dot2_f32_f16 v99, v110, v9, v99
	;;#ASMEND
	;; [unrolled: 3-line block ×12, first 2 shown]
	s_wait_dscnt 0x1
	;;#ASMSTART
	v_dot2_f32_f16 v102, v113, v4, v102
	;;#ASMEND
	;;#ASMSTART
	v_dot2_f32_f16 v102, v114, v5, v102
	;;#ASMEND
	;; [unrolled: 3-line block ×16, first 2 shown]
	s_wait_dscnt 0x0
	;;#ASMSTART
	v_dot2_f32_f16 v103, v117, v4, v103
	;;#ASMEND
	;;#ASMSTART
	v_dot2_f32_f16 v103, v118, v5, v103
	;;#ASMEND
	;; [unrolled: 3-line block ×16, first 2 shown]
	ds_load_b128 v[0:3], v41 offset:112
	ds_load_b128 v[4:7], v104 offset:112
	;; [unrolled: 1-line block ×8, first 2 shown]
	s_wait_dscnt 0x6
	;;#ASMSTART
	v_dot2_f32_f16 v100, v0, v4, v100
	;;#ASMEND
	;;#ASMSTART
	v_dot2_f32_f16 v100, v1, v5, v100
	;;#ASMEND
	;;#ASMSTART
	v_dot2_f32_f16 v100, v2, v6, v100
	;;#ASMEND
	;;#ASMSTART
	v_dot2_f32_f16 v100, v3, v7, v100
	;;#ASMEND
	s_wait_dscnt 0x5
	;;#ASMSTART
	v_dot2_f32_f16 v98, v0, v8, v98
	;;#ASMEND
	;;#ASMSTART
	v_dot2_f32_f16 v98, v1, v9, v98
	;;#ASMEND
	;;#ASMSTART
	v_dot2_f32_f16 v98, v2, v10, v98
	;;#ASMEND
	;;#ASMSTART
	v_dot2_f32_f16 v98, v3, v11, v98
	;;#ASMEND
	;; [unrolled: 13-line block ×5, first 2 shown]
	;;#ASMSTART
	v_dot2_f32_f16 v99, v108, v8, v99
	;;#ASMEND
	;;#ASMSTART
	v_dot2_f32_f16 v99, v109, v9, v99
	;;#ASMEND
	;; [unrolled: 3-line block ×11, first 2 shown]
	s_wait_alu 0xfffe
	s_lshr_b32 s10, s36, 1
	;;#ASMSTART
	v_dot2_f32_f16 v91, v111, v107, v91
	;;#ASMEND
	s_wait_dscnt 0x1
	;;#ASMSTART
	v_dot2_f32_f16 v102, v112, v4, v102
	;;#ASMEND
	;;#ASMSTART
	v_dot2_f32_f16 v102, v113, v5, v102
	;;#ASMEND
	s_wait_alu 0xfffe
	s_lshl_b64 s[38:39], s[10:11], 2
	;;#ASMSTART
	v_dot2_f32_f16 v102, v114, v6, v102
	;;#ASMEND
	;;#ASMSTART
	v_dot2_f32_f16 v102, v115, v7, v102
	;;#ASMEND
	;; [unrolled: 3-line block ×3, first 2 shown]
	s_wait_alu 0xfffe
	s_add_nc_u64 s[38:39], s[26:27], s[38:39]
	;;#ASMSTART
	v_dot2_f32_f16 v96, v113, v9, v96
	;;#ASMEND
	;;#ASMSTART
	v_dot2_f32_f16 v96, v114, v10, v96
	;;#ASMEND
	s_wait_alu 0xfffe
	v_add_co_u32 v121, vcc_lo, s38, v19
	;;#ASMSTART
	v_dot2_f32_f16 v96, v115, v11, v96
	;;#ASMEND
	;;#ASMSTART
	v_dot2_f32_f16 v95, v112, v12, v95
	;;#ASMEND
	;; [unrolled: 3-line block ×3, first 2 shown]
	s_wait_alu 0xfffd
	v_add_co_ci_u32_e64 v122, null, s39, v20, vcc_lo
	v_add_co_u32 v123, vcc_lo, s38, v21
	;;#ASMSTART
	v_dot2_f32_f16 v95, v114, v14, v95
	;;#ASMEND
	;;#ASMSTART
	v_dot2_f32_f16 v95, v115, v15, v95
	;;#ASMEND
	;; [unrolled: 3-line block ×3, first 2 shown]
	s_wait_alu 0xfffd
	v_add_co_ci_u32_e64 v124, null, s39, v22, vcc_lo
	v_add_co_u32 v125, vcc_lo, s38, v23
	;;#ASMSTART
	v_dot2_f32_f16 v90, v113, v105, v90
	;;#ASMEND
	;;#ASMSTART
	v_dot2_f32_f16 v90, v114, v106, v90
	;;#ASMEND
	s_wait_alu 0xfffd
	v_add_co_ci_u32_e64 v126, null, s39, v24, vcc_lo
	v_add_co_u32 v127, vcc_lo, s38, v25
	;;#ASMSTART
	v_dot2_f32_f16 v90, v115, v107, v90
	;;#ASMEND
	s_wait_dscnt 0x0
	;;#ASMSTART
	v_dot2_f32_f16 v103, v116, v4, v103
	;;#ASMEND
	;;#ASMSTART
	v_dot2_f32_f16 v103, v117, v5, v103
	;;#ASMEND
	s_wait_alu 0xfffd
	v_add_co_ci_u32_e64 v128, null, s39, v26, vcc_lo
	v_add_co_u32 v120, vcc_lo, v121, v47
	;;#ASMSTART
	v_dot2_f32_f16 v103, v118, v6, v103
	;;#ASMEND
	;;#ASMSTART
	v_dot2_f32_f16 v103, v119, v7, v103
	;;#ASMEND
	;; [unrolled: 3-line block ×3, first 2 shown]
	s_wait_alu 0xfffd
	v_add_co_ci_u32_e64 v121, null, 0, v122, vcc_lo
	v_add_co_u32 v122, vcc_lo, v123, v47
	;;#ASMSTART
	v_dot2_f32_f16 v97, v117, v9, v97
	;;#ASMEND
	;;#ASMSTART
	v_dot2_f32_f16 v97, v118, v10, v97
	;;#ASMEND
	s_wait_alu 0xfffd
	v_add_co_ci_u32_e64 v123, null, 0, v124, vcc_lo
	v_add_co_u32 v124, vcc_lo, v125, v47
	;;#ASMSTART
	v_dot2_f32_f16 v97, v119, v11, v97
	;;#ASMEND
	;;#ASMSTART
	v_dot2_f32_f16 v93, v116, v12, v93
	;;#ASMEND
	;; [unrolled: 3-line block ×3, first 2 shown]
	s_wait_alu 0xfffd
	v_add_co_ci_u32_e64 v125, null, 0, v126, vcc_lo
	v_add_co_u32 v126, vcc_lo, v127, v47
	;;#ASMSTART
	v_dot2_f32_f16 v93, v118, v14, v93
	;;#ASMEND
	;;#ASMSTART
	v_dot2_f32_f16 v93, v119, v15, v93
	;;#ASMEND
	;; [unrolled: 3-line block ×3, first 2 shown]
	s_wait_alu 0xfffd
	v_add_co_ci_u32_e64 v127, null, 0, v128, vcc_lo
	;;#ASMSTART
	v_dot2_f32_f16 v86, v117, v105, v86
	;;#ASMEND
	;;#ASMSTART
	v_dot2_f32_f16 v86, v118, v106, v86
	;;#ASMEND
	;; [unrolled: 3-line block ×3, first 2 shown]
	s_wait_loadcnt 0x0
	s_barrier_signal -1
	s_barrier_wait -1
	global_inv scope:SCOPE_SE
	s_clause 0x3
	global_load_b128 v[0:3], v[120:121], off
	global_load_b128 v[4:7], v[122:123], off
	;; [unrolled: 1-line block ×4, first 2 shown]
	v_lshl_add_u32 v104, s36, 1, v34
	s_add_co_i32 s36, s29, 0x80
	s_wait_loadcnt 0x3
	ds_store_b128 v37, v[0:3]
	s_wait_loadcnt 0x2
	ds_store_b128 v38, v[4:7]
	;; [unrolled: 2-line block ×4, first 2 shown]
	s_wait_dscnt 0x0
	s_barrier_signal -1
	s_barrier_wait -1
	global_inv scope:SCOPE_SE
	ds_load_b128 v[0:3], v41
	ds_load_b128 v[4:7], v104
	ds_load_b128 v[8:11], v104 offset:1152
	ds_load_b128 v[12:15], v104 offset:2304
	;; [unrolled: 1-line block ×6, first 2 shown]
	s_wait_dscnt 0x6
	;;#ASMSTART
	v_dot2_f32_f16 v100, v0, v4, v100
	;;#ASMEND
	;;#ASMSTART
	v_dot2_f32_f16 v100, v1, v5, v100
	;;#ASMEND
	;;#ASMSTART
	v_dot2_f32_f16 v100, v2, v6, v100
	;;#ASMEND
	;;#ASMSTART
	v_dot2_f32_f16 v100, v3, v7, v100
	;;#ASMEND
	s_wait_dscnt 0x5
	;;#ASMSTART
	v_dot2_f32_f16 v98, v0, v8, v98
	;;#ASMEND
	;;#ASMSTART
	v_dot2_f32_f16 v98, v1, v9, v98
	;;#ASMEND
	;;#ASMSTART
	v_dot2_f32_f16 v98, v2, v10, v98
	;;#ASMEND
	;;#ASMSTART
	v_dot2_f32_f16 v98, v3, v11, v98
	;;#ASMEND
	;; [unrolled: 13-line block ×5, first 2 shown]
	;;#ASMSTART
	v_dot2_f32_f16 v99, v109, v8, v99
	;;#ASMEND
	;;#ASMSTART
	v_dot2_f32_f16 v99, v110, v9, v99
	;;#ASMEND
	;; [unrolled: 3-line block ×12, first 2 shown]
	s_wait_dscnt 0x1
	;;#ASMSTART
	v_dot2_f32_f16 v102, v113, v4, v102
	;;#ASMEND
	;;#ASMSTART
	v_dot2_f32_f16 v102, v114, v5, v102
	;;#ASMEND
	;; [unrolled: 3-line block ×16, first 2 shown]
	s_wait_dscnt 0x0
	;;#ASMSTART
	v_dot2_f32_f16 v103, v117, v4, v103
	;;#ASMEND
	;;#ASMSTART
	v_dot2_f32_f16 v103, v118, v5, v103
	;;#ASMEND
	;;#ASMSTART
	v_dot2_f32_f16 v103, v119, v6, v103
	;;#ASMEND
	;;#ASMSTART
	v_dot2_f32_f16 v103, v120, v7, v103
	;;#ASMEND
	;;#ASMSTART
	v_dot2_f32_f16 v97, v117, v8, v97
	;;#ASMEND
	;;#ASMSTART
	v_dot2_f32_f16 v97, v118, v9, v97
	;;#ASMEND
	;;#ASMSTART
	v_dot2_f32_f16 v97, v119, v10, v97
	;;#ASMEND
	;;#ASMSTART
	v_dot2_f32_f16 v97, v120, v11, v97
	;;#ASMEND
	;;#ASMSTART
	v_dot2_f32_f16 v93, v117, v12, v93
	;;#ASMEND
	;;#ASMSTART
	v_dot2_f32_f16 v93, v118, v13, v93
	;;#ASMEND
	;;#ASMSTART
	v_dot2_f32_f16 v93, v119, v14, v93
	;;#ASMEND
	;;#ASMSTART
	v_dot2_f32_f16 v93, v120, v15, v93
	;;#ASMEND
	;;#ASMSTART
	v_dot2_f32_f16 v86, v117, v105, v86
	;;#ASMEND
	;;#ASMSTART
	v_dot2_f32_f16 v86, v118, v106, v86
	;;#ASMEND
	;;#ASMSTART
	v_dot2_f32_f16 v86, v119, v107, v86
	;;#ASMEND
	;;#ASMSTART
	v_dot2_f32_f16 v86, v120, v108, v86
	;;#ASMEND
	ds_load_b128 v[0:3], v41 offset:16
	ds_load_b128 v[4:7], v104 offset:16
	;; [unrolled: 1-line block ×8, first 2 shown]
	s_wait_dscnt 0x6
	;;#ASMSTART
	v_dot2_f32_f16 v100, v0, v4, v100
	;;#ASMEND
	;;#ASMSTART
	v_dot2_f32_f16 v100, v1, v5, v100
	;;#ASMEND
	;;#ASMSTART
	v_dot2_f32_f16 v100, v2, v6, v100
	;;#ASMEND
	;;#ASMSTART
	v_dot2_f32_f16 v100, v3, v7, v100
	;;#ASMEND
	s_wait_dscnt 0x5
	;;#ASMSTART
	v_dot2_f32_f16 v98, v0, v8, v98
	;;#ASMEND
	;;#ASMSTART
	v_dot2_f32_f16 v98, v1, v9, v98
	;;#ASMEND
	;;#ASMSTART
	v_dot2_f32_f16 v98, v2, v10, v98
	;;#ASMEND
	;;#ASMSTART
	v_dot2_f32_f16 v98, v3, v11, v98
	;;#ASMEND
	;; [unrolled: 13-line block ×5, first 2 shown]
	;;#ASMSTART
	v_dot2_f32_f16 v99, v109, v8, v99
	;;#ASMEND
	;;#ASMSTART
	v_dot2_f32_f16 v99, v110, v9, v99
	;;#ASMEND
	;; [unrolled: 3-line block ×12, first 2 shown]
	s_wait_dscnt 0x1
	;;#ASMSTART
	v_dot2_f32_f16 v102, v113, v4, v102
	;;#ASMEND
	;;#ASMSTART
	v_dot2_f32_f16 v102, v114, v5, v102
	;;#ASMEND
	;; [unrolled: 3-line block ×16, first 2 shown]
	s_wait_dscnt 0x0
	;;#ASMSTART
	v_dot2_f32_f16 v103, v117, v4, v103
	;;#ASMEND
	;;#ASMSTART
	v_dot2_f32_f16 v103, v118, v5, v103
	;;#ASMEND
	;; [unrolled: 3-line block ×16, first 2 shown]
	ds_load_b128 v[0:3], v41 offset:32
	ds_load_b128 v[4:7], v104 offset:32
	;; [unrolled: 1-line block ×8, first 2 shown]
	s_wait_dscnt 0x6
	;;#ASMSTART
	v_dot2_f32_f16 v100, v0, v4, v100
	;;#ASMEND
	;;#ASMSTART
	v_dot2_f32_f16 v100, v1, v5, v100
	;;#ASMEND
	;;#ASMSTART
	v_dot2_f32_f16 v100, v2, v6, v100
	;;#ASMEND
	;;#ASMSTART
	v_dot2_f32_f16 v100, v3, v7, v100
	;;#ASMEND
	s_wait_dscnt 0x5
	;;#ASMSTART
	v_dot2_f32_f16 v98, v0, v8, v98
	;;#ASMEND
	;;#ASMSTART
	v_dot2_f32_f16 v98, v1, v9, v98
	;;#ASMEND
	;;#ASMSTART
	v_dot2_f32_f16 v98, v2, v10, v98
	;;#ASMEND
	;;#ASMSTART
	v_dot2_f32_f16 v98, v3, v11, v98
	;;#ASMEND
	;; [unrolled: 13-line block ×5, first 2 shown]
	;;#ASMSTART
	v_dot2_f32_f16 v99, v109, v8, v99
	;;#ASMEND
	;;#ASMSTART
	v_dot2_f32_f16 v99, v110, v9, v99
	;;#ASMEND
	;; [unrolled: 3-line block ×12, first 2 shown]
	s_wait_dscnt 0x1
	;;#ASMSTART
	v_dot2_f32_f16 v102, v113, v4, v102
	;;#ASMEND
	;;#ASMSTART
	v_dot2_f32_f16 v102, v114, v5, v102
	;;#ASMEND
	;; [unrolled: 3-line block ×16, first 2 shown]
	s_wait_dscnt 0x0
	;;#ASMSTART
	v_dot2_f32_f16 v103, v117, v4, v103
	;;#ASMEND
	;;#ASMSTART
	v_dot2_f32_f16 v103, v118, v5, v103
	;;#ASMEND
	;; [unrolled: 3-line block ×16, first 2 shown]
	ds_load_b128 v[0:3], v41 offset:48
	ds_load_b128 v[4:7], v104 offset:48
	;; [unrolled: 1-line block ×8, first 2 shown]
	s_wait_dscnt 0x6
	;;#ASMSTART
	v_dot2_f32_f16 v100, v0, v4, v100
	;;#ASMEND
	;;#ASMSTART
	v_dot2_f32_f16 v100, v1, v5, v100
	;;#ASMEND
	;;#ASMSTART
	v_dot2_f32_f16 v100, v2, v6, v100
	;;#ASMEND
	;;#ASMSTART
	v_dot2_f32_f16 v100, v3, v7, v100
	;;#ASMEND
	s_wait_dscnt 0x5
	;;#ASMSTART
	v_dot2_f32_f16 v98, v0, v8, v98
	;;#ASMEND
	;;#ASMSTART
	v_dot2_f32_f16 v98, v1, v9, v98
	;;#ASMEND
	;;#ASMSTART
	v_dot2_f32_f16 v98, v2, v10, v98
	;;#ASMEND
	;;#ASMSTART
	v_dot2_f32_f16 v98, v3, v11, v98
	;;#ASMEND
	;; [unrolled: 13-line block ×5, first 2 shown]
	;;#ASMSTART
	v_dot2_f32_f16 v99, v109, v8, v99
	;;#ASMEND
	;;#ASMSTART
	v_dot2_f32_f16 v99, v110, v9, v99
	;;#ASMEND
	;; [unrolled: 3-line block ×12, first 2 shown]
	s_wait_dscnt 0x1
	;;#ASMSTART
	v_dot2_f32_f16 v102, v113, v4, v102
	;;#ASMEND
	;;#ASMSTART
	v_dot2_f32_f16 v102, v114, v5, v102
	;;#ASMEND
	;; [unrolled: 3-line block ×16, first 2 shown]
	s_wait_dscnt 0x0
	;;#ASMSTART
	v_dot2_f32_f16 v103, v117, v4, v103
	;;#ASMEND
	;;#ASMSTART
	v_dot2_f32_f16 v103, v118, v5, v103
	;;#ASMEND
	;; [unrolled: 3-line block ×16, first 2 shown]
	ds_load_b128 v[0:3], v41 offset:64
	ds_load_b128 v[4:7], v104 offset:64
	;; [unrolled: 1-line block ×8, first 2 shown]
	s_wait_dscnt 0x6
	;;#ASMSTART
	v_dot2_f32_f16 v100, v0, v4, v100
	;;#ASMEND
	;;#ASMSTART
	v_dot2_f32_f16 v100, v1, v5, v100
	;;#ASMEND
	;;#ASMSTART
	v_dot2_f32_f16 v100, v2, v6, v100
	;;#ASMEND
	;;#ASMSTART
	v_dot2_f32_f16 v100, v3, v7, v100
	;;#ASMEND
	s_wait_dscnt 0x5
	;;#ASMSTART
	v_dot2_f32_f16 v98, v0, v8, v98
	;;#ASMEND
	;;#ASMSTART
	v_dot2_f32_f16 v98, v1, v9, v98
	;;#ASMEND
	;;#ASMSTART
	v_dot2_f32_f16 v98, v2, v10, v98
	;;#ASMEND
	;;#ASMSTART
	v_dot2_f32_f16 v98, v3, v11, v98
	;;#ASMEND
	;; [unrolled: 13-line block ×5, first 2 shown]
	;;#ASMSTART
	v_dot2_f32_f16 v99, v109, v8, v99
	;;#ASMEND
	;;#ASMSTART
	v_dot2_f32_f16 v99, v110, v9, v99
	;;#ASMEND
	;; [unrolled: 3-line block ×12, first 2 shown]
	s_wait_dscnt 0x1
	;;#ASMSTART
	v_dot2_f32_f16 v102, v113, v4, v102
	;;#ASMEND
	;;#ASMSTART
	v_dot2_f32_f16 v102, v114, v5, v102
	;;#ASMEND
	;; [unrolled: 3-line block ×16, first 2 shown]
	s_wait_dscnt 0x0
	;;#ASMSTART
	v_dot2_f32_f16 v103, v117, v4, v103
	;;#ASMEND
	;;#ASMSTART
	v_dot2_f32_f16 v103, v118, v5, v103
	;;#ASMEND
	;;#ASMSTART
	v_dot2_f32_f16 v103, v119, v6, v103
	;;#ASMEND
	;;#ASMSTART
	v_dot2_f32_f16 v103, v120, v7, v103
	;;#ASMEND
	;;#ASMSTART
	v_dot2_f32_f16 v97, v117, v8, v97
	;;#ASMEND
	;;#ASMSTART
	v_dot2_f32_f16 v97, v118, v9, v97
	;;#ASMEND
	;;#ASMSTART
	v_dot2_f32_f16 v97, v119, v10, v97
	;;#ASMEND
	;;#ASMSTART
	v_dot2_f32_f16 v97, v120, v11, v97
	;;#ASMEND
	;;#ASMSTART
	v_dot2_f32_f16 v93, v117, v12, v93
	;;#ASMEND
	;;#ASMSTART
	v_dot2_f32_f16 v93, v118, v13, v93
	;;#ASMEND
	;;#ASMSTART
	v_dot2_f32_f16 v93, v119, v14, v93
	;;#ASMEND
	;;#ASMSTART
	v_dot2_f32_f16 v93, v120, v15, v93
	;;#ASMEND
	;;#ASMSTART
	v_dot2_f32_f16 v86, v117, v105, v86
	;;#ASMEND
	;;#ASMSTART
	v_dot2_f32_f16 v86, v118, v106, v86
	;;#ASMEND
	;;#ASMSTART
	v_dot2_f32_f16 v86, v119, v107, v86
	;;#ASMEND
	;;#ASMSTART
	v_dot2_f32_f16 v86, v120, v108, v86
	;;#ASMEND
	ds_load_b128 v[12:15], v41 offset:80
	ds_load_b128 v[0:3], v104 offset:80
	;; [unrolled: 1-line block ×8, first 2 shown]
	s_wait_dscnt 0x6
	;;#ASMSTART
	v_dot2_f32_f16 v100, v12, v0, v100
	;;#ASMEND
	;;#ASMSTART
	v_dot2_f32_f16 v100, v13, v1, v100
	;;#ASMEND
	;;#ASMSTART
	v_dot2_f32_f16 v100, v14, v2, v100
	;;#ASMEND
	;;#ASMSTART
	v_dot2_f32_f16 v100, v15, v3, v100
	;;#ASMEND
	s_wait_dscnt 0x5
	;;#ASMSTART
	v_dot2_f32_f16 v98, v12, v4, v98
	;;#ASMEND
	;;#ASMSTART
	v_dot2_f32_f16 v98, v13, v5, v98
	;;#ASMEND
	;;#ASMSTART
	v_dot2_f32_f16 v98, v14, v6, v98
	;;#ASMEND
	;;#ASMSTART
	v_dot2_f32_f16 v98, v15, v7, v98
	;;#ASMEND
	;; [unrolled: 13-line block ×5, first 2 shown]
	;;#ASMSTART
	v_dot2_f32_f16 v99, v109, v4, v99
	;;#ASMEND
	;;#ASMSTART
	v_dot2_f32_f16 v99, v110, v5, v99
	;;#ASMEND
	;; [unrolled: 3-line block ×12, first 2 shown]
	s_wait_dscnt 0x1
	;;#ASMSTART
	v_dot2_f32_f16 v102, v113, v0, v102
	;;#ASMEND
	;;#ASMSTART
	v_dot2_f32_f16 v102, v114, v1, v102
	;;#ASMEND
	;; [unrolled: 3-line block ×16, first 2 shown]
	s_wait_dscnt 0x0
	;;#ASMSTART
	v_dot2_f32_f16 v103, v117, v0, v103
	;;#ASMEND
	;;#ASMSTART
	v_dot2_f32_f16 v103, v118, v1, v103
	;;#ASMEND
	;; [unrolled: 3-line block ×16, first 2 shown]
	ds_load_b128 v[0:3], v41 offset:96
	ds_load_b128 v[4:7], v104 offset:96
	;; [unrolled: 1-line block ×8, first 2 shown]
	s_wait_dscnt 0x6
	;;#ASMSTART
	v_dot2_f32_f16 v100, v0, v4, v100
	;;#ASMEND
	;;#ASMSTART
	v_dot2_f32_f16 v100, v1, v5, v100
	;;#ASMEND
	;;#ASMSTART
	v_dot2_f32_f16 v100, v2, v6, v100
	;;#ASMEND
	;;#ASMSTART
	v_dot2_f32_f16 v100, v3, v7, v100
	;;#ASMEND
	s_wait_dscnt 0x5
	;;#ASMSTART
	v_dot2_f32_f16 v98, v0, v8, v98
	;;#ASMEND
	;;#ASMSTART
	v_dot2_f32_f16 v98, v1, v9, v98
	;;#ASMEND
	;;#ASMSTART
	v_dot2_f32_f16 v98, v2, v10, v98
	;;#ASMEND
	;;#ASMSTART
	v_dot2_f32_f16 v98, v3, v11, v98
	;;#ASMEND
	;; [unrolled: 13-line block ×5, first 2 shown]
	;;#ASMSTART
	v_dot2_f32_f16 v99, v109, v8, v99
	;;#ASMEND
	;;#ASMSTART
	v_dot2_f32_f16 v99, v110, v9, v99
	;;#ASMEND
	;; [unrolled: 3-line block ×12, first 2 shown]
	s_wait_dscnt 0x1
	;;#ASMSTART
	v_dot2_f32_f16 v102, v113, v4, v102
	;;#ASMEND
	;;#ASMSTART
	v_dot2_f32_f16 v102, v114, v5, v102
	;;#ASMEND
	;; [unrolled: 3-line block ×16, first 2 shown]
	s_wait_dscnt 0x0
	;;#ASMSTART
	v_dot2_f32_f16 v103, v117, v4, v103
	;;#ASMEND
	;;#ASMSTART
	v_dot2_f32_f16 v103, v118, v5, v103
	;;#ASMEND
	;;#ASMSTART
	v_dot2_f32_f16 v103, v119, v6, v103
	;;#ASMEND
	;;#ASMSTART
	v_dot2_f32_f16 v103, v120, v7, v103
	;;#ASMEND
	;;#ASMSTART
	v_dot2_f32_f16 v97, v117, v8, v97
	;;#ASMEND
	;;#ASMSTART
	v_dot2_f32_f16 v97, v118, v9, v97
	;;#ASMEND
	;;#ASMSTART
	v_dot2_f32_f16 v97, v119, v10, v97
	;;#ASMEND
	;;#ASMSTART
	v_dot2_f32_f16 v97, v120, v11, v97
	;;#ASMEND
	;;#ASMSTART
	v_dot2_f32_f16 v93, v117, v12, v93
	;;#ASMEND
	;;#ASMSTART
	v_dot2_f32_f16 v93, v118, v13, v93
	;;#ASMEND
	;;#ASMSTART
	v_dot2_f32_f16 v93, v119, v14, v93
	;;#ASMEND
	;;#ASMSTART
	v_dot2_f32_f16 v93, v120, v15, v93
	;;#ASMEND
	;;#ASMSTART
	v_dot2_f32_f16 v86, v117, v105, v86
	;;#ASMEND
	;;#ASMSTART
	v_dot2_f32_f16 v86, v118, v106, v86
	;;#ASMEND
	;;#ASMSTART
	v_dot2_f32_f16 v86, v119, v107, v86
	;;#ASMEND
	;;#ASMSTART
	v_dot2_f32_f16 v86, v120, v108, v86
	;;#ASMEND
	ds_load_b128 v[0:3], v41 offset:112
	ds_load_b128 v[4:7], v104 offset:112
	;; [unrolled: 1-line block ×8, first 2 shown]
	s_wait_dscnt 0x6
	;;#ASMSTART
	v_dot2_f32_f16 v100, v0, v4, v100
	;;#ASMEND
	;;#ASMSTART
	v_dot2_f32_f16 v100, v1, v5, v100
	;;#ASMEND
	;;#ASMSTART
	v_dot2_f32_f16 v100, v2, v6, v100
	;;#ASMEND
	;;#ASMSTART
	v_dot2_f32_f16 v100, v3, v7, v100
	;;#ASMEND
	s_wait_dscnt 0x5
	;;#ASMSTART
	v_dot2_f32_f16 v98, v0, v8, v98
	;;#ASMEND
	;;#ASMSTART
	v_dot2_f32_f16 v98, v1, v9, v98
	;;#ASMEND
	;;#ASMSTART
	v_dot2_f32_f16 v98, v2, v10, v98
	;;#ASMEND
	;;#ASMSTART
	v_dot2_f32_f16 v98, v3, v11, v98
	;;#ASMEND
	;; [unrolled: 13-line block ×5, first 2 shown]
	;;#ASMSTART
	v_dot2_f32_f16 v99, v108, v8, v99
	;;#ASMEND
	;;#ASMSTART
	v_dot2_f32_f16 v99, v109, v9, v99
	;;#ASMEND
	;; [unrolled: 3-line block ×11, first 2 shown]
	s_wait_alu 0xfffe
	s_lshr_b32 s10, s36, 1
	;;#ASMSTART
	v_dot2_f32_f16 v91, v111, v107, v91
	;;#ASMEND
	s_wait_dscnt 0x1
	;;#ASMSTART
	v_dot2_f32_f16 v102, v112, v4, v102
	;;#ASMEND
	;;#ASMSTART
	v_dot2_f32_f16 v102, v113, v5, v102
	;;#ASMEND
	s_wait_alu 0xfffe
	s_lshl_b64 s[38:39], s[10:11], 2
	;;#ASMSTART
	v_dot2_f32_f16 v102, v114, v6, v102
	;;#ASMEND
	;;#ASMSTART
	v_dot2_f32_f16 v102, v115, v7, v102
	;;#ASMEND
	;; [unrolled: 3-line block ×3, first 2 shown]
	s_wait_alu 0xfffe
	s_add_nc_u64 s[38:39], s[26:27], s[38:39]
	;;#ASMSTART
	v_dot2_f32_f16 v96, v113, v9, v96
	;;#ASMEND
	;;#ASMSTART
	v_dot2_f32_f16 v96, v114, v10, v96
	;;#ASMEND
	s_wait_alu 0xfffe
	v_add_co_u32 v121, vcc_lo, s38, v19
	;;#ASMSTART
	v_dot2_f32_f16 v96, v115, v11, v96
	;;#ASMEND
	;;#ASMSTART
	v_dot2_f32_f16 v95, v112, v12, v95
	;;#ASMEND
	;; [unrolled: 3-line block ×3, first 2 shown]
	s_wait_alu 0xfffd
	v_add_co_ci_u32_e64 v122, null, s39, v20, vcc_lo
	v_add_co_u32 v123, vcc_lo, s38, v21
	;;#ASMSTART
	v_dot2_f32_f16 v95, v114, v14, v95
	;;#ASMEND
	;;#ASMSTART
	v_dot2_f32_f16 v95, v115, v15, v95
	;;#ASMEND
	;; [unrolled: 3-line block ×3, first 2 shown]
	s_wait_alu 0xfffd
	v_add_co_ci_u32_e64 v124, null, s39, v22, vcc_lo
	v_add_co_u32 v125, vcc_lo, s38, v23
	;;#ASMSTART
	v_dot2_f32_f16 v90, v113, v105, v90
	;;#ASMEND
	;;#ASMSTART
	v_dot2_f32_f16 v90, v114, v106, v90
	;;#ASMEND
	s_wait_alu 0xfffd
	v_add_co_ci_u32_e64 v126, null, s39, v24, vcc_lo
	v_add_co_u32 v127, vcc_lo, s38, v25
	;;#ASMSTART
	v_dot2_f32_f16 v90, v115, v107, v90
	;;#ASMEND
	s_wait_dscnt 0x0
	;;#ASMSTART
	v_dot2_f32_f16 v103, v116, v4, v103
	;;#ASMEND
	;;#ASMSTART
	v_dot2_f32_f16 v103, v117, v5, v103
	;;#ASMEND
	s_wait_alu 0xfffd
	v_add_co_ci_u32_e64 v128, null, s39, v26, vcc_lo
	v_add_co_u32 v120, vcc_lo, v121, v47
	;;#ASMSTART
	v_dot2_f32_f16 v103, v118, v6, v103
	;;#ASMEND
	;;#ASMSTART
	v_dot2_f32_f16 v103, v119, v7, v103
	;;#ASMEND
	;; [unrolled: 3-line block ×3, first 2 shown]
	s_wait_alu 0xfffd
	v_add_co_ci_u32_e64 v121, null, 0, v122, vcc_lo
	v_add_co_u32 v122, vcc_lo, v123, v47
	;;#ASMSTART
	v_dot2_f32_f16 v97, v117, v9, v97
	;;#ASMEND
	;;#ASMSTART
	v_dot2_f32_f16 v97, v118, v10, v97
	;;#ASMEND
	s_wait_alu 0xfffd
	v_add_co_ci_u32_e64 v123, null, 0, v124, vcc_lo
	v_add_co_u32 v124, vcc_lo, v125, v47
	;;#ASMSTART
	v_dot2_f32_f16 v97, v119, v11, v97
	;;#ASMEND
	;;#ASMSTART
	v_dot2_f32_f16 v93, v116, v12, v93
	;;#ASMEND
	;; [unrolled: 3-line block ×3, first 2 shown]
	s_wait_alu 0xfffd
	v_add_co_ci_u32_e64 v125, null, 0, v126, vcc_lo
	v_add_co_u32 v126, vcc_lo, v127, v47
	;;#ASMSTART
	v_dot2_f32_f16 v93, v118, v14, v93
	;;#ASMEND
	;;#ASMSTART
	v_dot2_f32_f16 v93, v119, v15, v93
	;;#ASMEND
	;; [unrolled: 3-line block ×3, first 2 shown]
	s_wait_alu 0xfffd
	v_add_co_ci_u32_e64 v127, null, 0, v128, vcc_lo
	;;#ASMSTART
	v_dot2_f32_f16 v86, v117, v105, v86
	;;#ASMEND
	;;#ASMSTART
	v_dot2_f32_f16 v86, v118, v106, v86
	;;#ASMEND
	;; [unrolled: 3-line block ×3, first 2 shown]
	s_wait_loadcnt 0x0
	s_barrier_signal -1
	s_barrier_wait -1
	global_inv scope:SCOPE_SE
	s_clause 0x3
	global_load_b128 v[1:4], v[120:121], off
	global_load_b128 v[5:8], v[122:123], off
	;; [unrolled: 1-line block ×4, first 2 shown]
	v_lshl_add_u32 v0, s36, 1, v34
	s_wait_loadcnt 0x3
	ds_store_b128 v37, v[1:4]
	s_wait_loadcnt 0x2
	ds_store_b128 v38, v[5:8]
	;; [unrolled: 2-line block ×4, first 2 shown]
	s_wait_dscnt 0x0
	s_barrier_signal -1
	s_barrier_wait -1
	global_inv scope:SCOPE_SE
	ds_load_b128 v[1:4], v41
	ds_load_b128 v[5:8], v0
	ds_load_b128 v[9:12], v0 offset:1152
	ds_load_b128 v[104:107], v0 offset:2304
	;; [unrolled: 1-line block ×6, first 2 shown]
	s_wait_dscnt 0x6
	;;#ASMSTART
	v_dot2_f32_f16 v100, v1, v5, v100
	;;#ASMEND
	;;#ASMSTART
	v_dot2_f32_f16 v100, v2, v6, v100
	;;#ASMEND
	;;#ASMSTART
	v_dot2_f32_f16 v100, v3, v7, v100
	;;#ASMEND
	;;#ASMSTART
	v_dot2_f32_f16 v100, v4, v8, v100
	;;#ASMEND
	s_wait_dscnt 0x5
	;;#ASMSTART
	v_dot2_f32_f16 v98, v1, v9, v98
	;;#ASMEND
	;;#ASMSTART
	v_dot2_f32_f16 v98, v2, v10, v98
	;;#ASMEND
	;;#ASMSTART
	v_dot2_f32_f16 v98, v3, v11, v98
	;;#ASMEND
	;;#ASMSTART
	v_dot2_f32_f16 v98, v4, v12, v98
	;;#ASMEND
	;; [unrolled: 13-line block ×5, first 2 shown]
	;;#ASMSTART
	v_dot2_f32_f16 v99, v112, v9, v99
	;;#ASMEND
	;;#ASMSTART
	v_dot2_f32_f16 v99, v113, v10, v99
	;;#ASMEND
	;; [unrolled: 3-line block ×12, first 2 shown]
	s_wait_dscnt 0x1
	;;#ASMSTART
	v_dot2_f32_f16 v102, v116, v5, v102
	;;#ASMEND
	;;#ASMSTART
	v_dot2_f32_f16 v102, v117, v6, v102
	;;#ASMEND
	;; [unrolled: 3-line block ×16, first 2 shown]
	s_wait_dscnt 0x0
	;;#ASMSTART
	v_dot2_f32_f16 v103, v120, v5, v103
	;;#ASMEND
	;;#ASMSTART
	v_dot2_f32_f16 v103, v121, v6, v103
	;;#ASMEND
	;;#ASMSTART
	v_dot2_f32_f16 v103, v122, v7, v103
	;;#ASMEND
	;;#ASMSTART
	v_dot2_f32_f16 v103, v123, v8, v103
	;;#ASMEND
	;;#ASMSTART
	v_dot2_f32_f16 v97, v120, v9, v97
	;;#ASMEND
	;;#ASMSTART
	v_dot2_f32_f16 v97, v121, v10, v97
	;;#ASMEND
	;;#ASMSTART
	v_dot2_f32_f16 v97, v122, v11, v97
	;;#ASMEND
	;;#ASMSTART
	v_dot2_f32_f16 v97, v123, v12, v97
	;;#ASMEND
	;;#ASMSTART
	v_dot2_f32_f16 v93, v120, v104, v93
	;;#ASMEND
	;;#ASMSTART
	v_dot2_f32_f16 v93, v121, v105, v93
	;;#ASMEND
	;;#ASMSTART
	v_dot2_f32_f16 v93, v122, v106, v93
	;;#ASMEND
	;;#ASMSTART
	v_dot2_f32_f16 v93, v123, v107, v93
	;;#ASMEND
	;;#ASMSTART
	v_dot2_f32_f16 v86, v120, v108, v86
	;;#ASMEND
	;;#ASMSTART
	v_dot2_f32_f16 v86, v121, v109, v86
	;;#ASMEND
	;;#ASMSTART
	v_dot2_f32_f16 v86, v122, v110, v86
	;;#ASMEND
	;;#ASMSTART
	v_dot2_f32_f16 v86, v123, v111, v86
	;;#ASMEND
	ds_load_b128 v[1:4], v41 offset:16
	ds_load_b128 v[5:8], v0 offset:16
	;; [unrolled: 1-line block ×8, first 2 shown]
	s_wait_dscnt 0x6
	;;#ASMSTART
	v_dot2_f32_f16 v100, v1, v5, v100
	;;#ASMEND
	;;#ASMSTART
	v_dot2_f32_f16 v100, v2, v6, v100
	;;#ASMEND
	;;#ASMSTART
	v_dot2_f32_f16 v100, v3, v7, v100
	;;#ASMEND
	;;#ASMSTART
	v_dot2_f32_f16 v100, v4, v8, v100
	;;#ASMEND
	s_wait_dscnt 0x5
	;;#ASMSTART
	v_dot2_f32_f16 v98, v1, v9, v98
	;;#ASMEND
	;;#ASMSTART
	v_dot2_f32_f16 v98, v2, v10, v98
	;;#ASMEND
	;;#ASMSTART
	v_dot2_f32_f16 v98, v3, v11, v98
	;;#ASMEND
	;;#ASMSTART
	v_dot2_f32_f16 v98, v4, v12, v98
	;;#ASMEND
	;; [unrolled: 13-line block ×5, first 2 shown]
	;;#ASMSTART
	v_dot2_f32_f16 v99, v112, v9, v99
	;;#ASMEND
	;;#ASMSTART
	v_dot2_f32_f16 v99, v113, v10, v99
	;;#ASMEND
	;; [unrolled: 3-line block ×12, first 2 shown]
	s_wait_dscnt 0x1
	;;#ASMSTART
	v_dot2_f32_f16 v102, v116, v5, v102
	;;#ASMEND
	;;#ASMSTART
	v_dot2_f32_f16 v102, v117, v6, v102
	;;#ASMEND
	;; [unrolled: 3-line block ×16, first 2 shown]
	s_wait_dscnt 0x0
	;;#ASMSTART
	v_dot2_f32_f16 v103, v120, v5, v103
	;;#ASMEND
	;;#ASMSTART
	v_dot2_f32_f16 v103, v121, v6, v103
	;;#ASMEND
	;; [unrolled: 3-line block ×16, first 2 shown]
	ds_load_b128 v[1:4], v41 offset:32
	ds_load_b128 v[5:8], v0 offset:32
	;; [unrolled: 1-line block ×8, first 2 shown]
	s_wait_dscnt 0x6
	;;#ASMSTART
	v_dot2_f32_f16 v100, v1, v5, v100
	;;#ASMEND
	;;#ASMSTART
	v_dot2_f32_f16 v100, v2, v6, v100
	;;#ASMEND
	;;#ASMSTART
	v_dot2_f32_f16 v100, v3, v7, v100
	;;#ASMEND
	;;#ASMSTART
	v_dot2_f32_f16 v100, v4, v8, v100
	;;#ASMEND
	s_wait_dscnt 0x5
	;;#ASMSTART
	v_dot2_f32_f16 v98, v1, v9, v98
	;;#ASMEND
	;;#ASMSTART
	v_dot2_f32_f16 v98, v2, v10, v98
	;;#ASMEND
	;;#ASMSTART
	v_dot2_f32_f16 v98, v3, v11, v98
	;;#ASMEND
	;;#ASMSTART
	v_dot2_f32_f16 v98, v4, v12, v98
	;;#ASMEND
	;; [unrolled: 13-line block ×5, first 2 shown]
	;;#ASMSTART
	v_dot2_f32_f16 v99, v112, v9, v99
	;;#ASMEND
	;;#ASMSTART
	v_dot2_f32_f16 v99, v113, v10, v99
	;;#ASMEND
	;; [unrolled: 3-line block ×12, first 2 shown]
	s_wait_dscnt 0x1
	;;#ASMSTART
	v_dot2_f32_f16 v102, v116, v5, v102
	;;#ASMEND
	;;#ASMSTART
	v_dot2_f32_f16 v102, v117, v6, v102
	;;#ASMEND
	;; [unrolled: 3-line block ×16, first 2 shown]
	s_wait_dscnt 0x0
	;;#ASMSTART
	v_dot2_f32_f16 v103, v120, v5, v103
	;;#ASMEND
	;;#ASMSTART
	v_dot2_f32_f16 v103, v121, v6, v103
	;;#ASMEND
	;; [unrolled: 3-line block ×16, first 2 shown]
	ds_load_b128 v[1:4], v41 offset:48
	ds_load_b128 v[5:8], v0 offset:48
	;; [unrolled: 1-line block ×8, first 2 shown]
	s_wait_dscnt 0x6
	;;#ASMSTART
	v_dot2_f32_f16 v100, v1, v5, v100
	;;#ASMEND
	;;#ASMSTART
	v_dot2_f32_f16 v100, v2, v6, v100
	;;#ASMEND
	;;#ASMSTART
	v_dot2_f32_f16 v100, v3, v7, v100
	;;#ASMEND
	;;#ASMSTART
	v_dot2_f32_f16 v100, v4, v8, v100
	;;#ASMEND
	s_wait_dscnt 0x5
	;;#ASMSTART
	v_dot2_f32_f16 v98, v1, v9, v98
	;;#ASMEND
	;;#ASMSTART
	v_dot2_f32_f16 v98, v2, v10, v98
	;;#ASMEND
	;;#ASMSTART
	v_dot2_f32_f16 v98, v3, v11, v98
	;;#ASMEND
	;;#ASMSTART
	v_dot2_f32_f16 v98, v4, v12, v98
	;;#ASMEND
	s_wait_dscnt 0x4
	;;#ASMSTART
	v_dot2_f32_f16 v92, v1, v104, v92
	;;#ASMEND
	;;#ASMSTART
	v_dot2_f32_f16 v92, v2, v105, v92
	;;#ASMEND
	;;#ASMSTART
	v_dot2_f32_f16 v92, v3, v106, v92
	;;#ASMEND
	;;#ASMSTART
	v_dot2_f32_f16 v92, v4, v107, v92
	;;#ASMEND
	s_wait_dscnt 0x3
	;;#ASMSTART
	v_dot2_f32_f16 v89, v1, v108, v89
	;;#ASMEND
	;;#ASMSTART
	v_dot2_f32_f16 v89, v2, v109, v89
	;;#ASMEND
	;;#ASMSTART
	v_dot2_f32_f16 v89, v3, v110, v89
	;;#ASMEND
	;;#ASMSTART
	v_dot2_f32_f16 v89, v4, v111, v89
	;;#ASMEND
	s_wait_dscnt 0x2
	;;#ASMSTART
	v_dot2_f32_f16 v101, v112, v5, v101
	;;#ASMEND
	;;#ASMSTART
	v_dot2_f32_f16 v101, v113, v6, v101
	;;#ASMEND
	;;#ASMSTART
	v_dot2_f32_f16 v101, v114, v7, v101
	;;#ASMEND
	;;#ASMSTART
	v_dot2_f32_f16 v101, v115, v8, v101
	;;#ASMEND
	;;#ASMSTART
	v_dot2_f32_f16 v99, v112, v9, v99
	;;#ASMEND
	;;#ASMSTART
	v_dot2_f32_f16 v99, v113, v10, v99
	;;#ASMEND
	;; [unrolled: 3-line block ×12, first 2 shown]
	s_wait_dscnt 0x1
	;;#ASMSTART
	v_dot2_f32_f16 v102, v116, v5, v102
	;;#ASMEND
	;;#ASMSTART
	v_dot2_f32_f16 v102, v117, v6, v102
	;;#ASMEND
	;; [unrolled: 3-line block ×16, first 2 shown]
	s_wait_dscnt 0x0
	;;#ASMSTART
	v_dot2_f32_f16 v103, v120, v5, v103
	;;#ASMEND
	;;#ASMSTART
	v_dot2_f32_f16 v103, v121, v6, v103
	;;#ASMEND
	;; [unrolled: 3-line block ×16, first 2 shown]
	ds_load_b128 v[1:4], v41 offset:64
	ds_load_b128 v[5:8], v0 offset:64
	;; [unrolled: 1-line block ×8, first 2 shown]
	s_wait_dscnt 0x6
	;;#ASMSTART
	v_dot2_f32_f16 v100, v1, v5, v100
	;;#ASMEND
	;;#ASMSTART
	v_dot2_f32_f16 v100, v2, v6, v100
	;;#ASMEND
	;;#ASMSTART
	v_dot2_f32_f16 v100, v3, v7, v100
	;;#ASMEND
	;;#ASMSTART
	v_dot2_f32_f16 v100, v4, v8, v100
	;;#ASMEND
	s_wait_dscnt 0x5
	;;#ASMSTART
	v_dot2_f32_f16 v98, v1, v9, v98
	;;#ASMEND
	;;#ASMSTART
	v_dot2_f32_f16 v98, v2, v10, v98
	;;#ASMEND
	;;#ASMSTART
	v_dot2_f32_f16 v98, v3, v11, v98
	;;#ASMEND
	;;#ASMSTART
	v_dot2_f32_f16 v98, v4, v12, v98
	;;#ASMEND
	;; [unrolled: 13-line block ×5, first 2 shown]
	;;#ASMSTART
	v_dot2_f32_f16 v99, v112, v9, v99
	;;#ASMEND
	;;#ASMSTART
	v_dot2_f32_f16 v99, v113, v10, v99
	;;#ASMEND
	;; [unrolled: 3-line block ×12, first 2 shown]
	s_wait_dscnt 0x1
	;;#ASMSTART
	v_dot2_f32_f16 v102, v116, v5, v102
	;;#ASMEND
	;;#ASMSTART
	v_dot2_f32_f16 v102, v117, v6, v102
	;;#ASMEND
	;; [unrolled: 3-line block ×16, first 2 shown]
	s_wait_dscnt 0x0
	;;#ASMSTART
	v_dot2_f32_f16 v103, v120, v5, v103
	;;#ASMEND
	;;#ASMSTART
	v_dot2_f32_f16 v103, v121, v6, v103
	;;#ASMEND
	;; [unrolled: 3-line block ×16, first 2 shown]
	ds_load_b128 v[1:4], v41 offset:80
	ds_load_b128 v[5:8], v0 offset:80
	;; [unrolled: 1-line block ×8, first 2 shown]
	s_wait_dscnt 0x6
	;;#ASMSTART
	v_dot2_f32_f16 v100, v1, v5, v100
	;;#ASMEND
	;;#ASMSTART
	v_dot2_f32_f16 v100, v2, v6, v100
	;;#ASMEND
	;;#ASMSTART
	v_dot2_f32_f16 v100, v3, v7, v100
	;;#ASMEND
	;;#ASMSTART
	v_dot2_f32_f16 v100, v4, v8, v100
	;;#ASMEND
	s_wait_dscnt 0x5
	;;#ASMSTART
	v_dot2_f32_f16 v98, v1, v9, v98
	;;#ASMEND
	;;#ASMSTART
	v_dot2_f32_f16 v98, v2, v10, v98
	;;#ASMEND
	;;#ASMSTART
	v_dot2_f32_f16 v98, v3, v11, v98
	;;#ASMEND
	;;#ASMSTART
	v_dot2_f32_f16 v98, v4, v12, v98
	;;#ASMEND
	s_wait_dscnt 0x4
	;;#ASMSTART
	v_dot2_f32_f16 v92, v1, v104, v92
	;;#ASMEND
	;;#ASMSTART
	v_dot2_f32_f16 v92, v2, v105, v92
	;;#ASMEND
	;;#ASMSTART
	v_dot2_f32_f16 v92, v3, v106, v92
	;;#ASMEND
	;;#ASMSTART
	v_dot2_f32_f16 v92, v4, v107, v92
	;;#ASMEND
	s_wait_dscnt 0x3
	;;#ASMSTART
	v_dot2_f32_f16 v89, v1, v108, v89
	;;#ASMEND
	;;#ASMSTART
	v_dot2_f32_f16 v89, v2, v109, v89
	;;#ASMEND
	;;#ASMSTART
	v_dot2_f32_f16 v89, v3, v110, v89
	;;#ASMEND
	;;#ASMSTART
	v_dot2_f32_f16 v89, v4, v111, v89
	;;#ASMEND
	s_wait_dscnt 0x2
	;;#ASMSTART
	v_dot2_f32_f16 v101, v112, v5, v101
	;;#ASMEND
	;;#ASMSTART
	v_dot2_f32_f16 v101, v113, v6, v101
	;;#ASMEND
	;;#ASMSTART
	v_dot2_f32_f16 v101, v114, v7, v101
	;;#ASMEND
	;;#ASMSTART
	v_dot2_f32_f16 v101, v115, v8, v101
	;;#ASMEND
	;;#ASMSTART
	v_dot2_f32_f16 v99, v112, v9, v99
	;;#ASMEND
	;;#ASMSTART
	v_dot2_f32_f16 v99, v113, v10, v99
	;;#ASMEND
	;; [unrolled: 3-line block ×12, first 2 shown]
	s_wait_dscnt 0x1
	;;#ASMSTART
	v_dot2_f32_f16 v102, v116, v5, v102
	;;#ASMEND
	;;#ASMSTART
	v_dot2_f32_f16 v102, v117, v6, v102
	;;#ASMEND
	;; [unrolled: 3-line block ×16, first 2 shown]
	s_wait_dscnt 0x0
	;;#ASMSTART
	v_dot2_f32_f16 v103, v120, v5, v103
	;;#ASMEND
	;;#ASMSTART
	v_dot2_f32_f16 v103, v121, v6, v103
	;;#ASMEND
	;; [unrolled: 3-line block ×16, first 2 shown]
	ds_load_b128 v[1:4], v41 offset:96
	ds_load_b128 v[5:8], v0 offset:96
	ds_load_b128 v[9:12], v0 offset:1248
	ds_load_b128 v[104:107], v0 offset:2400
	ds_load_b128 v[108:111], v0 offset:3552
	ds_load_b128 v[112:115], v41 offset:4704
	ds_load_b128 v[116:119], v41 offset:9312
	ds_load_b128 v[120:123], v41 offset:13920
	s_wait_dscnt 0x6
	;;#ASMSTART
	v_dot2_f32_f16 v100, v1, v5, v100
	;;#ASMEND
	;;#ASMSTART
	v_dot2_f32_f16 v100, v2, v6, v100
	;;#ASMEND
	;;#ASMSTART
	v_dot2_f32_f16 v100, v3, v7, v100
	;;#ASMEND
	;;#ASMSTART
	v_dot2_f32_f16 v100, v4, v8, v100
	;;#ASMEND
	s_wait_dscnt 0x5
	;;#ASMSTART
	v_dot2_f32_f16 v98, v1, v9, v98
	;;#ASMEND
	;;#ASMSTART
	v_dot2_f32_f16 v98, v2, v10, v98
	;;#ASMEND
	;;#ASMSTART
	v_dot2_f32_f16 v98, v3, v11, v98
	;;#ASMEND
	;;#ASMSTART
	v_dot2_f32_f16 v98, v4, v12, v98
	;;#ASMEND
	;; [unrolled: 13-line block ×5, first 2 shown]
	;;#ASMSTART
	v_dot2_f32_f16 v99, v112, v9, v99
	;;#ASMEND
	;;#ASMSTART
	v_dot2_f32_f16 v99, v113, v10, v99
	;;#ASMEND
	;; [unrolled: 3-line block ×12, first 2 shown]
	s_wait_dscnt 0x1
	;;#ASMSTART
	v_dot2_f32_f16 v102, v116, v5, v102
	;;#ASMEND
	;;#ASMSTART
	v_dot2_f32_f16 v102, v117, v6, v102
	;;#ASMEND
	;; [unrolled: 3-line block ×16, first 2 shown]
	s_wait_dscnt 0x0
	;;#ASMSTART
	v_dot2_f32_f16 v103, v120, v5, v103
	;;#ASMEND
	;;#ASMSTART
	v_dot2_f32_f16 v103, v121, v6, v103
	;;#ASMEND
	;; [unrolled: 3-line block ×16, first 2 shown]
	ds_load_b128 v[1:4], v41 offset:112
	ds_load_b128 v[5:8], v0 offset:112
	;; [unrolled: 1-line block ×8, first 2 shown]
	s_wait_dscnt 0x6
	;;#ASMSTART
	v_dot2_f32_f16 v100, v1, v5, v100
	;;#ASMEND
	;;#ASMSTART
	v_dot2_f32_f16 v100, v2, v6, v100
	;;#ASMEND
	;;#ASMSTART
	v_dot2_f32_f16 v100, v3, v7, v100
	;;#ASMEND
	;;#ASMSTART
	v_dot2_f32_f16 v100, v4, v8, v100
	;;#ASMEND
	s_wait_dscnt 0x5
	;;#ASMSTART
	v_dot2_f32_f16 v98, v1, v9, v98
	;;#ASMEND
	;;#ASMSTART
	v_dot2_f32_f16 v98, v2, v10, v98
	;;#ASMEND
	;;#ASMSTART
	v_dot2_f32_f16 v98, v3, v11, v98
	;;#ASMEND
	;;#ASMSTART
	v_dot2_f32_f16 v98, v4, v12, v98
	;;#ASMEND
	s_wait_dscnt 0x4
	;;#ASMSTART
	v_dot2_f32_f16 v92, v1, v104, v92
	;;#ASMEND
	;;#ASMSTART
	v_dot2_f32_f16 v92, v2, v105, v92
	;;#ASMEND
	;;#ASMSTART
	v_dot2_f32_f16 v92, v3, v106, v92
	;;#ASMEND
	;;#ASMSTART
	v_dot2_f32_f16 v92, v4, v107, v92
	;;#ASMEND
	s_wait_dscnt 0x3
	;;#ASMSTART
	v_dot2_f32_f16 v89, v1, v108, v89
	;;#ASMEND
	;;#ASMSTART
	v_dot2_f32_f16 v89, v2, v109, v89
	;;#ASMEND
	;;#ASMSTART
	v_dot2_f32_f16 v89, v3, v110, v89
	;;#ASMEND
	;;#ASMSTART
	v_dot2_f32_f16 v89, v4, v111, v89
	;;#ASMEND
	s_wait_dscnt 0x2
	;;#ASMSTART
	v_dot2_f32_f16 v101, v112, v5, v101
	;;#ASMEND
	;;#ASMSTART
	v_dot2_f32_f16 v101, v113, v6, v101
	;;#ASMEND
	;;#ASMSTART
	v_dot2_f32_f16 v101, v114, v7, v101
	;;#ASMEND
	;;#ASMSTART
	v_dot2_f32_f16 v101, v115, v8, v101
	;;#ASMEND
	;;#ASMSTART
	v_dot2_f32_f16 v99, v112, v9, v99
	;;#ASMEND
	;;#ASMSTART
	v_dot2_f32_f16 v99, v113, v10, v99
	;;#ASMEND
	;; [unrolled: 3-line block ×12, first 2 shown]
	s_wait_dscnt 0x1
	;;#ASMSTART
	v_dot2_f32_f16 v102, v116, v5, v102
	;;#ASMEND
	;;#ASMSTART
	v_dot2_f32_f16 v102, v117, v6, v102
	;;#ASMEND
	;; [unrolled: 3-line block ×16, first 2 shown]
	s_wait_dscnt 0x0
	;;#ASMSTART
	v_dot2_f32_f16 v103, v120, v5, v103
	;;#ASMEND
	;;#ASMSTART
	v_dot2_f32_f16 v103, v121, v6, v103
	;;#ASMEND
	;; [unrolled: 3-line block ×13, first 2 shown]
	s_cmp_gt_u32 s29, 0x17f
	;;#ASMSTART
	v_dot2_f32_f16 v86, v121, v109, v86
	;;#ASMEND
	s_mov_b32 s10, -1
	;;#ASMSTART
	v_dot2_f32_f16 v86, v122, v110, v86
	;;#ASMEND
	;;#ASMSTART
	v_dot2_f32_f16 v86, v123, v111, v86
	;;#ASMEND
	s_cbranch_scc1 .LBB23_18
; %bb.20:                               ;   in Loop: Header=BB23_19 Depth=2
	s_wait_loadcnt 0x0
	s_barrier_signal -1
	s_barrier_wait -1
	s_addk_co_i32 s29, 0xc0
	s_mov_b32 s10, 0
	global_inv scope:SCOPE_SE
	s_branch .LBB23_18
.LBB23_21:                              ;   in Loop: Header=BB23_17 Depth=1
	v_cmp_ngt_f32_e64 s10, 0x3f200000, |v100|
                                        ; implicit-def: $vgpr2
	s_and_saveexec_b32 s26, s10
	s_wait_alu 0xfffe
	s_xor_b32 s10, exec_lo, s26
	s_cbranch_execz .LBB23_23
; %bb.22:                               ;   in Loop: Header=BB23_17 Depth=1
	v_add_f32_e64 v0, |v100|, |v100|
	s_delay_alu instid0(VALU_DEP_1) | instskip(SKIP_1) | instid1(VALU_DEP_2)
	v_mul_f32_e32 v1, 0x3fb8aa3b, v0
	v_cmp_ngt_f32_e32 vcc_lo, 0xc2ce8ed0, v0
	v_rndne_f32_e32 v2, v1
	v_fma_f32 v3, 0x3fb8aa3b, v0, -v1
	s_delay_alu instid0(VALU_DEP_2) | instskip(NEXT) | instid1(VALU_DEP_2)
	v_sub_f32_e32 v1, v1, v2
	v_fmac_f32_e32 v3, 0x32a5705f, v0
	v_cvt_i32_f32_e32 v2, v2
	s_delay_alu instid0(VALU_DEP_2) | instskip(NEXT) | instid1(VALU_DEP_1)
	v_add_f32_e32 v1, v1, v3
	v_exp_f32_e32 v1, v1
	s_delay_alu instid0(TRANS32_DEP_1) | instskip(SKIP_1) | instid1(VALU_DEP_1)
	v_ldexp_f32 v1, v1, v2
	s_wait_alu 0xfffd
	v_cndmask_b32_e32 v1, 0, v1, vcc_lo
	v_cmp_nlt_f32_e32 vcc_lo, 0x42b17218, v0
	s_wait_alu 0xfffd
	s_delay_alu instid0(VALU_DEP_2) | instskip(NEXT) | instid1(VALU_DEP_1)
	v_cndmask_b32_e32 v0, 0x7f800000, v1, vcc_lo
	v_add_f32_e32 v0, 1.0, v0
	s_delay_alu instid0(VALU_DEP_1) | instskip(NEXT) | instid1(TRANS32_DEP_1)
	v_rcp_f32_e32 v0, v0
	v_fma_f32 v2, v0, -2.0, 1.0
.LBB23_23:                              ;   in Loop: Header=BB23_17 Depth=1
	s_wait_alu 0xfffe
	s_and_not1_saveexec_b32 s10, s10
	s_cbranch_execz .LBB23_25
; %bb.24:                               ;   in Loop: Header=BB23_17 Depth=1
	v_mul_f32_e32 v0, v100, v100
	s_delay_alu instid0(VALU_DEP_1) | instskip(NEXT) | instid1(VALU_DEP_1)
	v_fmaak_f32 v1, s3, v0, 0x3ca908c9
	v_fmaak_f32 v1, v0, v1, 0xbd5c1c4e
	s_delay_alu instid0(VALU_DEP_1) | instskip(NEXT) | instid1(VALU_DEP_1)
	v_fmaak_f32 v1, v0, v1, 0x3e088382
	v_fmaak_f32 v1, v0, v1, 0xbeaaaa99
	s_delay_alu instid0(VALU_DEP_1) | instskip(NEXT) | instid1(VALU_DEP_1)
	v_mul_f32_e64 v1, |v100|, v1
	v_fma_f32 v2, v0, v1, |v100|
.LBB23_25:                              ;   in Loop: Header=BB23_17 Depth=1
	s_wait_alu 0xfffe
	s_or_b32 exec_lo, exec_lo, s10
	v_add_nc_u32_e32 v0, s4, v18
	v_cmp_ngt_f32_e64 s10, 0x3f200000, |v101|
                                        ; implicit-def: $vgpr3
	s_delay_alu instid0(VALU_DEP_2) | instskip(NEXT) | instid1(VALU_DEP_1)
	v_ashrrev_i32_e32 v1, 31, v0
	v_lshlrev_b64_e32 v[0:1], 1, v[0:1]
	s_delay_alu instid0(VALU_DEP_1) | instskip(SKIP_1) | instid1(VALU_DEP_2)
	v_add_co_u32 v0, vcc_lo, s34, v0
	s_wait_alu 0xfffd
	v_add_co_ci_u32_e64 v1, null, s35, v1, vcc_lo
	global_load_u16 v11, v[0:1], off
	s_and_saveexec_b32 s26, s10
	s_wait_alu 0xfffe
	s_xor_b32 s10, exec_lo, s26
	s_cbranch_execz .LBB23_27
; %bb.26:                               ;   in Loop: Header=BB23_17 Depth=1
	v_add_f32_e64 v3, |v101|, |v101|
	s_delay_alu instid0(VALU_DEP_1) | instskip(SKIP_1) | instid1(VALU_DEP_2)
	v_mul_f32_e32 v4, 0x3fb8aa3b, v3
	v_cmp_ngt_f32_e32 vcc_lo, 0xc2ce8ed0, v3
	v_rndne_f32_e32 v5, v4
	v_fma_f32 v6, 0x3fb8aa3b, v3, -v4
	s_delay_alu instid0(VALU_DEP_2) | instskip(NEXT) | instid1(VALU_DEP_2)
	v_sub_f32_e32 v4, v4, v5
	v_fmac_f32_e32 v6, 0x32a5705f, v3
	v_cvt_i32_f32_e32 v5, v5
	s_delay_alu instid0(VALU_DEP_2) | instskip(NEXT) | instid1(VALU_DEP_1)
	v_add_f32_e32 v4, v4, v6
	v_exp_f32_e32 v4, v4
	s_delay_alu instid0(TRANS32_DEP_1) | instskip(SKIP_1) | instid1(VALU_DEP_1)
	v_ldexp_f32 v4, v4, v5
	s_wait_alu 0xfffd
	v_cndmask_b32_e32 v4, 0, v4, vcc_lo
	v_cmp_nlt_f32_e32 vcc_lo, 0x42b17218, v3
	s_wait_alu 0xfffd
	s_delay_alu instid0(VALU_DEP_2) | instskip(NEXT) | instid1(VALU_DEP_1)
	v_cndmask_b32_e32 v3, 0x7f800000, v4, vcc_lo
	v_add_f32_e32 v3, 1.0, v3
	s_delay_alu instid0(VALU_DEP_1) | instskip(NEXT) | instid1(TRANS32_DEP_1)
	v_rcp_f32_e32 v3, v3
	v_fma_f32 v3, v3, -2.0, 1.0
.LBB23_27:                              ;   in Loop: Header=BB23_17 Depth=1
	s_wait_alu 0xfffe
	s_and_not1_saveexec_b32 s10, s10
	s_cbranch_execz .LBB23_29
; %bb.28:                               ;   in Loop: Header=BB23_17 Depth=1
	v_mul_f32_e32 v3, v101, v101
	s_delay_alu instid0(VALU_DEP_1) | instskip(NEXT) | instid1(VALU_DEP_1)
	v_fmaak_f32 v4, s3, v3, 0x3ca908c9
	v_fmaak_f32 v4, v3, v4, 0xbd5c1c4e
	s_delay_alu instid0(VALU_DEP_1) | instskip(NEXT) | instid1(VALU_DEP_1)
	v_fmaak_f32 v4, v3, v4, 0x3e088382
	v_fmaak_f32 v4, v3, v4, 0xbeaaaa99
	s_delay_alu instid0(VALU_DEP_1) | instskip(NEXT) | instid1(VALU_DEP_1)
	v_mul_f32_e64 v4, |v101|, v4
	v_fma_f32 v3, v3, v4, |v101|
.LBB23_29:                              ;   in Loop: Header=BB23_17 Depth=1
	s_wait_alu 0xfffe
	s_or_b32 exec_lo, exec_lo, s10
	global_load_u16 v12, v[0:1], off offset:64
	v_cmp_ngt_f32_e64 s10, 0x3f200000, |v102|
                                        ; implicit-def: $vgpr4
	s_and_saveexec_b32 s26, s10
	s_wait_alu 0xfffe
	s_xor_b32 s10, exec_lo, s26
	s_cbranch_execz .LBB23_31
; %bb.30:                               ;   in Loop: Header=BB23_17 Depth=1
	v_add_f32_e64 v4, |v102|, |v102|
	s_delay_alu instid0(VALU_DEP_1) | instskip(SKIP_1) | instid1(VALU_DEP_2)
	v_mul_f32_e32 v5, 0x3fb8aa3b, v4
	v_cmp_ngt_f32_e32 vcc_lo, 0xc2ce8ed0, v4
	v_rndne_f32_e32 v6, v5
	v_fma_f32 v7, 0x3fb8aa3b, v4, -v5
	s_delay_alu instid0(VALU_DEP_2) | instskip(NEXT) | instid1(VALU_DEP_2)
	v_sub_f32_e32 v5, v5, v6
	v_fmac_f32_e32 v7, 0x32a5705f, v4
	v_cvt_i32_f32_e32 v6, v6
	s_delay_alu instid0(VALU_DEP_2) | instskip(NEXT) | instid1(VALU_DEP_1)
	v_add_f32_e32 v5, v5, v7
	v_exp_f32_e32 v5, v5
	s_delay_alu instid0(TRANS32_DEP_1) | instskip(SKIP_1) | instid1(VALU_DEP_1)
	v_ldexp_f32 v5, v5, v6
	s_wait_alu 0xfffd
	v_cndmask_b32_e32 v5, 0, v5, vcc_lo
	v_cmp_nlt_f32_e32 vcc_lo, 0x42b17218, v4
	s_wait_alu 0xfffd
	s_delay_alu instid0(VALU_DEP_2) | instskip(NEXT) | instid1(VALU_DEP_1)
	v_cndmask_b32_e32 v4, 0x7f800000, v5, vcc_lo
	v_add_f32_e32 v4, 1.0, v4
	s_delay_alu instid0(VALU_DEP_1) | instskip(NEXT) | instid1(TRANS32_DEP_1)
	v_rcp_f32_e32 v4, v4
	v_fma_f32 v4, v4, -2.0, 1.0
.LBB23_31:                              ;   in Loop: Header=BB23_17 Depth=1
	s_wait_alu 0xfffe
	s_and_not1_saveexec_b32 s10, s10
	s_cbranch_execz .LBB23_33
; %bb.32:                               ;   in Loop: Header=BB23_17 Depth=1
	v_mul_f32_e32 v4, v102, v102
	s_delay_alu instid0(VALU_DEP_1) | instskip(NEXT) | instid1(VALU_DEP_1)
	v_fmaak_f32 v5, s3, v4, 0x3ca908c9
	v_fmaak_f32 v5, v4, v5, 0xbd5c1c4e
	s_delay_alu instid0(VALU_DEP_1) | instskip(NEXT) | instid1(VALU_DEP_1)
	v_fmaak_f32 v5, v4, v5, 0x3e088382
	v_fmaak_f32 v5, v4, v5, 0xbeaaaa99
	s_delay_alu instid0(VALU_DEP_1) | instskip(NEXT) | instid1(VALU_DEP_1)
	v_mul_f32_e64 v5, |v102|, v5
	v_fma_f32 v4, v4, v5, |v102|
.LBB23_33:                              ;   in Loop: Header=BB23_17 Depth=1
	s_wait_alu 0xfffe
	s_or_b32 exec_lo, exec_lo, s10
	global_load_u16 v13, v[0:1], off offset:128
	v_cmp_ngt_f32_e64 s10, 0x3f200000, |v103|
                                        ; implicit-def: $vgpr5
	s_and_saveexec_b32 s26, s10
	s_wait_alu 0xfffe
	s_xor_b32 s10, exec_lo, s26
	s_cbranch_execz .LBB23_35
; %bb.34:                               ;   in Loop: Header=BB23_17 Depth=1
	v_add_f32_e64 v5, |v103|, |v103|
	s_delay_alu instid0(VALU_DEP_1) | instskip(SKIP_1) | instid1(VALU_DEP_2)
	v_mul_f32_e32 v6, 0x3fb8aa3b, v5
	v_cmp_ngt_f32_e32 vcc_lo, 0xc2ce8ed0, v5
	v_rndne_f32_e32 v7, v6
	v_fma_f32 v8, 0x3fb8aa3b, v5, -v6
	s_delay_alu instid0(VALU_DEP_2) | instskip(NEXT) | instid1(VALU_DEP_2)
	v_sub_f32_e32 v6, v6, v7
	v_fmac_f32_e32 v8, 0x32a5705f, v5
	v_cvt_i32_f32_e32 v7, v7
	s_delay_alu instid0(VALU_DEP_2) | instskip(NEXT) | instid1(VALU_DEP_1)
	v_add_f32_e32 v6, v6, v8
	v_exp_f32_e32 v6, v6
	s_delay_alu instid0(TRANS32_DEP_1) | instskip(SKIP_1) | instid1(VALU_DEP_1)
	v_ldexp_f32 v6, v6, v7
	s_wait_alu 0xfffd
	v_cndmask_b32_e32 v6, 0, v6, vcc_lo
	v_cmp_nlt_f32_e32 vcc_lo, 0x42b17218, v5
	s_wait_alu 0xfffd
	s_delay_alu instid0(VALU_DEP_2) | instskip(NEXT) | instid1(VALU_DEP_1)
	v_cndmask_b32_e32 v5, 0x7f800000, v6, vcc_lo
	v_add_f32_e32 v5, 1.0, v5
	s_delay_alu instid0(VALU_DEP_1) | instskip(NEXT) | instid1(TRANS32_DEP_1)
	v_rcp_f32_e32 v5, v5
	v_fma_f32 v5, v5, -2.0, 1.0
.LBB23_35:                              ;   in Loop: Header=BB23_17 Depth=1
	s_wait_alu 0xfffe
	s_and_not1_saveexec_b32 s10, s10
	s_cbranch_execz .LBB23_37
; %bb.36:                               ;   in Loop: Header=BB23_17 Depth=1
	v_mul_f32_e32 v5, v103, v103
	s_delay_alu instid0(VALU_DEP_1) | instskip(NEXT) | instid1(VALU_DEP_1)
	v_fmaak_f32 v6, s3, v5, 0x3ca908c9
	v_fmaak_f32 v6, v5, v6, 0xbd5c1c4e
	s_delay_alu instid0(VALU_DEP_1) | instskip(NEXT) | instid1(VALU_DEP_1)
	v_fmaak_f32 v6, v5, v6, 0x3e088382
	v_fmaak_f32 v6, v5, v6, 0xbeaaaa99
	s_delay_alu instid0(VALU_DEP_1) | instskip(NEXT) | instid1(VALU_DEP_1)
	v_mul_f32_e64 v6, |v103|, v6
	v_fma_f32 v5, v5, v6, |v103|
.LBB23_37:                              ;   in Loop: Header=BB23_17 Depth=1
	s_wait_alu 0xfffe
	s_or_b32 exec_lo, exec_lo, s10
	global_load_u16 v104, v[0:1], off offset:192
	v_bfi_b32 v0, 0x7fffffff, v2, v100
	v_bfi_b32 v1, 0x7fffffff, v3, v101
	;; [unrolled: 1-line block ×3, first 2 shown]
	v_xor_b32_e32 v8, 16, v36
	v_xor_b32_e32 v7, 8, v36
	s_wait_loadcnt 0x3
	v_fma_mix_f32 v15, s31, v0, v11 op_sel_hi:[0,0,1]
	s_wait_loadcnt 0x2
	v_fma_mix_f32 v100, s31, v1, v12 op_sel_hi:[0,0,1]
	v_bfi_b32 v0, 0x7fffffff, v4, v102
	v_cmp_gt_i32_e32 vcc_lo, 32, v8
	v_xor_b32_e32 v6, 4, v36
	v_xor_b32_e32 v5, 2, v36
	v_add_f32_e32 v3, 0x40051340, v100
	s_wait_loadcnt 0x1
	v_fma_mix_f32 v101, s31, v0, v13 op_sel_hi:[0,0,1]
	v_add_f32_e32 v1, 0x40051340, v15
	v_xor_b32_e32 v4, 1, v36
	v_cmp_ngt_f32_e64 s10, 0x3f200000, |v98|
                                        ; implicit-def: $vgpr105
	s_wait_loadcnt 0x0
	v_fma_mix_f32 v102, s31, v2, v104 op_sel_hi:[0,0,1]
	v_add_f32_e32 v2, 0x40051340, v101
	v_max3_num_f32 v1, v88, v1, v3
	s_wait_alu 0xfffd
	v_cndmask_b32_e32 v0, v36, v8, vcc_lo
	v_cmp_gt_i32_e32 vcc_lo, 32, v7
	s_delay_alu instid0(VALU_DEP_2) | instskip(NEXT) | instid1(VALU_DEP_1)
	v_dual_add_f32 v3, 0x40051340, v102 :: v_dual_lshlrev_b32 v0, 2, v0
	v_max3_num_f32 v1, v1, v2, v3
	s_wait_alu 0xfffd
	v_cndmask_b32_e32 v3, v36, v7, vcc_lo
	v_cmp_gt_i32_e32 vcc_lo, 32, v6
	ds_bpermute_b32 v2, v0, v1
	v_lshlrev_b32_e32 v103, 2, v3
	s_wait_alu 0xfffd
	v_cndmask_b32_e32 v3, v36, v6, vcc_lo
	v_cmp_gt_i32_e32 vcc_lo, 32, v5
	s_delay_alu instid0(VALU_DEP_2) | instskip(SKIP_2) | instid1(VALU_DEP_1)
	v_lshlrev_b32_e32 v10, 2, v3
	s_wait_dscnt 0x0
	v_max_num_f32_e32 v2, v2, v2
	v_max_num_f32_e32 v1, v1, v2
	ds_bpermute_b32 v2, v103, v1
	s_wait_dscnt 0x0
	v_max_num_f32_e32 v2, v2, v2
	s_delay_alu instid0(VALU_DEP_1)
	v_max_num_f32_e32 v1, v1, v2
	ds_bpermute_b32 v2, v10, v1
	s_wait_alu 0xfffd
	v_cndmask_b32_e32 v3, v36, v5, vcc_lo
	v_cmp_gt_i32_e32 vcc_lo, 32, v4
	s_wait_dscnt 0x0
	s_delay_alu instid0(VALU_DEP_2) | instskip(SKIP_2) | instid1(VALU_DEP_2)
	v_dual_max_num_f32 v2, v2, v2 :: v_dual_lshlrev_b32 v9, 2, v3
	s_wait_alu 0xfffd
	v_cndmask_b32_e32 v3, v36, v4, vcc_lo
	v_max_num_f32_e32 v1, v1, v2
	s_delay_alu instid0(VALU_DEP_2) | instskip(SKIP_3) | instid1(VALU_DEP_1)
	v_lshlrev_b32_e32 v3, 2, v3
	ds_bpermute_b32 v2, v9, v1
	s_wait_dscnt 0x0
	v_max_num_f32_e32 v2, v2, v2
	v_max_num_f32_e32 v1, v1, v2
	ds_bpermute_b32 v2, v3, v1
	s_and_saveexec_b32 s26, s10
	s_wait_alu 0xfffe
	s_xor_b32 s10, exec_lo, s26
	s_cbranch_execz .LBB23_39
; %bb.38:                               ;   in Loop: Header=BB23_17 Depth=1
	v_add_f32_e64 v14, |v98|, |v98|
	s_delay_alu instid0(VALU_DEP_1) | instskip(SKIP_1) | instid1(VALU_DEP_2)
	v_mul_f32_e32 v105, 0x3fb8aa3b, v14
	v_cmp_ngt_f32_e32 vcc_lo, 0xc2ce8ed0, v14
	v_rndne_f32_e32 v106, v105
	v_fma_f32 v107, 0x3fb8aa3b, v14, -v105
	s_delay_alu instid0(VALU_DEP_2) | instskip(NEXT) | instid1(VALU_DEP_2)
	v_sub_f32_e32 v105, v105, v106
	v_fmac_f32_e32 v107, 0x32a5705f, v14
	v_cvt_i32_f32_e32 v106, v106
	s_delay_alu instid0(VALU_DEP_2) | instskip(NEXT) | instid1(VALU_DEP_1)
	v_add_f32_e32 v105, v105, v107
	v_exp_f32_e32 v105, v105
	s_delay_alu instid0(TRANS32_DEP_1) | instskip(SKIP_1) | instid1(VALU_DEP_1)
	v_ldexp_f32 v105, v105, v106
	s_wait_alu 0xfffd
	v_cndmask_b32_e32 v105, 0, v105, vcc_lo
	v_cmp_nlt_f32_e32 vcc_lo, 0x42b17218, v14
	s_wait_alu 0xfffd
	s_delay_alu instid0(VALU_DEP_2) | instskip(NEXT) | instid1(VALU_DEP_1)
	v_cndmask_b32_e32 v14, 0x7f800000, v105, vcc_lo
	v_add_f32_e32 v14, 1.0, v14
	s_delay_alu instid0(VALU_DEP_1) | instskip(NEXT) | instid1(TRANS32_DEP_1)
	v_rcp_f32_e32 v14, v14
	v_fma_f32 v105, v14, -2.0, 1.0
.LBB23_39:                              ;   in Loop: Header=BB23_17 Depth=1
	s_wait_alu 0xfffe
	s_and_not1_saveexec_b32 s10, s10
	s_cbranch_execz .LBB23_41
; %bb.40:                               ;   in Loop: Header=BB23_17 Depth=1
	v_mul_f32_e32 v14, v98, v98
	s_delay_alu instid0(VALU_DEP_1) | instskip(NEXT) | instid1(VALU_DEP_1)
	v_fmaak_f32 v105, s3, v14, 0x3ca908c9
	v_fmaak_f32 v105, v14, v105, 0xbd5c1c4e
	s_delay_alu instid0(VALU_DEP_1) | instskip(NEXT) | instid1(VALU_DEP_1)
	v_fmaak_f32 v105, v14, v105, 0x3e088382
	v_fmaak_f32 v105, v14, v105, 0xbeaaaa99
	s_delay_alu instid0(VALU_DEP_1) | instskip(NEXT) | instid1(VALU_DEP_1)
	v_mul_f32_e64 v105, |v98|, v105
	v_fma_f32 v105, v14, v105, |v98|
.LBB23_41:                              ;   in Loop: Header=BB23_17 Depth=1
	s_wait_alu 0xfffe
	s_or_b32 exec_lo, exec_lo, s10
	v_cmp_ngt_f32_e64 s10, 0x3f200000, |v99|
                                        ; implicit-def: $vgpr106
	s_and_saveexec_b32 s26, s10
	s_wait_alu 0xfffe
	s_xor_b32 s10, exec_lo, s26
	s_cbranch_execz .LBB23_43
; %bb.42:                               ;   in Loop: Header=BB23_17 Depth=1
	v_add_f32_e64 v14, |v99|, |v99|
	s_delay_alu instid0(VALU_DEP_1) | instskip(SKIP_1) | instid1(VALU_DEP_2)
	v_mul_f32_e32 v106, 0x3fb8aa3b, v14
	v_cmp_ngt_f32_e32 vcc_lo, 0xc2ce8ed0, v14
	v_rndne_f32_e32 v107, v106
	v_fma_f32 v108, 0x3fb8aa3b, v14, -v106
	s_delay_alu instid0(VALU_DEP_2) | instskip(NEXT) | instid1(VALU_DEP_2)
	v_sub_f32_e32 v106, v106, v107
	v_fmac_f32_e32 v108, 0x32a5705f, v14
	v_cvt_i32_f32_e32 v107, v107
	s_delay_alu instid0(VALU_DEP_2) | instskip(NEXT) | instid1(VALU_DEP_1)
	v_add_f32_e32 v106, v106, v108
	v_exp_f32_e32 v106, v106
	s_delay_alu instid0(TRANS32_DEP_1) | instskip(SKIP_1) | instid1(VALU_DEP_1)
	v_ldexp_f32 v106, v106, v107
	s_wait_alu 0xfffd
	v_cndmask_b32_e32 v106, 0, v106, vcc_lo
	v_cmp_nlt_f32_e32 vcc_lo, 0x42b17218, v14
	s_wait_alu 0xfffd
	s_delay_alu instid0(VALU_DEP_2) | instskip(NEXT) | instid1(VALU_DEP_1)
	v_cndmask_b32_e32 v14, 0x7f800000, v106, vcc_lo
	v_add_f32_e32 v14, 1.0, v14
	s_delay_alu instid0(VALU_DEP_1) | instskip(NEXT) | instid1(TRANS32_DEP_1)
	v_rcp_f32_e32 v14, v14
	v_fma_f32 v106, v14, -2.0, 1.0
.LBB23_43:                              ;   in Loop: Header=BB23_17 Depth=1
	s_wait_alu 0xfffe
	s_and_not1_saveexec_b32 s10, s10
	s_cbranch_execz .LBB23_45
; %bb.44:                               ;   in Loop: Header=BB23_17 Depth=1
	v_mul_f32_e32 v14, v99, v99
	s_delay_alu instid0(VALU_DEP_1) | instskip(NEXT) | instid1(VALU_DEP_1)
	v_fmaak_f32 v106, s3, v14, 0x3ca908c9
	v_fmaak_f32 v106, v14, v106, 0xbd5c1c4e
	s_delay_alu instid0(VALU_DEP_1) | instskip(NEXT) | instid1(VALU_DEP_1)
	v_fmaak_f32 v106, v14, v106, 0x3e088382
	v_fmaak_f32 v106, v14, v106, 0xbeaaaa99
	s_delay_alu instid0(VALU_DEP_1) | instskip(NEXT) | instid1(VALU_DEP_1)
	v_mul_f32_e64 v106, |v99|, v106
	v_fma_f32 v106, v14, v106, |v99|
.LBB23_45:                              ;   in Loop: Header=BB23_17 Depth=1
	s_wait_alu 0xfffe
	s_or_b32 exec_lo, exec_lo, s10
	v_cmp_ngt_f32_e64 s10, 0x3f200000, |v96|
                                        ; implicit-def: $vgpr107
	s_and_saveexec_b32 s26, s10
	s_wait_alu 0xfffe
	s_xor_b32 s10, exec_lo, s26
	s_cbranch_execz .LBB23_47
; %bb.46:                               ;   in Loop: Header=BB23_17 Depth=1
	v_add_f32_e64 v14, |v96|, |v96|
	s_delay_alu instid0(VALU_DEP_1) | instskip(SKIP_1) | instid1(VALU_DEP_2)
	v_mul_f32_e32 v107, 0x3fb8aa3b, v14
	v_cmp_ngt_f32_e32 vcc_lo, 0xc2ce8ed0, v14
	v_rndne_f32_e32 v108, v107
	v_fma_f32 v109, 0x3fb8aa3b, v14, -v107
	s_delay_alu instid0(VALU_DEP_2) | instskip(NEXT) | instid1(VALU_DEP_2)
	v_sub_f32_e32 v107, v107, v108
	v_fmac_f32_e32 v109, 0x32a5705f, v14
	v_cvt_i32_f32_e32 v108, v108
	s_delay_alu instid0(VALU_DEP_2) | instskip(NEXT) | instid1(VALU_DEP_1)
	v_add_f32_e32 v107, v107, v109
	v_exp_f32_e32 v107, v107
	s_delay_alu instid0(TRANS32_DEP_1) | instskip(SKIP_1) | instid1(VALU_DEP_1)
	v_ldexp_f32 v107, v107, v108
	s_wait_alu 0xfffd
	v_cndmask_b32_e32 v107, 0, v107, vcc_lo
	v_cmp_nlt_f32_e32 vcc_lo, 0x42b17218, v14
	s_wait_alu 0xfffd
	s_delay_alu instid0(VALU_DEP_2) | instskip(NEXT) | instid1(VALU_DEP_1)
	v_cndmask_b32_e32 v14, 0x7f800000, v107, vcc_lo
	v_add_f32_e32 v14, 1.0, v14
	s_delay_alu instid0(VALU_DEP_1) | instskip(NEXT) | instid1(TRANS32_DEP_1)
	v_rcp_f32_e32 v14, v14
	v_fma_f32 v107, v14, -2.0, 1.0
.LBB23_47:                              ;   in Loop: Header=BB23_17 Depth=1
	s_wait_alu 0xfffe
	s_and_not1_saveexec_b32 s10, s10
	s_cbranch_execz .LBB23_49
; %bb.48:                               ;   in Loop: Header=BB23_17 Depth=1
	v_mul_f32_e32 v14, v96, v96
	s_delay_alu instid0(VALU_DEP_1) | instskip(NEXT) | instid1(VALU_DEP_1)
	v_fmaak_f32 v107, s3, v14, 0x3ca908c9
	v_fmaak_f32 v107, v14, v107, 0xbd5c1c4e
	s_delay_alu instid0(VALU_DEP_1) | instskip(NEXT) | instid1(VALU_DEP_1)
	v_fmaak_f32 v107, v14, v107, 0x3e088382
	v_fmaak_f32 v107, v14, v107, 0xbeaaaa99
	s_delay_alu instid0(VALU_DEP_1) | instskip(NEXT) | instid1(VALU_DEP_1)
	v_mul_f32_e64 v107, |v96|, v107
	v_fma_f32 v107, v14, v107, |v96|
.LBB23_49:                              ;   in Loop: Header=BB23_17 Depth=1
	s_wait_alu 0xfffe
	s_or_b32 exec_lo, exec_lo, s10
	v_cmp_ngt_f32_e64 s10, 0x3f200000, |v97|
                                        ; implicit-def: $vgpr108
	s_and_saveexec_b32 s26, s10
	s_wait_alu 0xfffe
	s_xor_b32 s10, exec_lo, s26
	s_cbranch_execz .LBB23_51
; %bb.50:                               ;   in Loop: Header=BB23_17 Depth=1
	v_add_f32_e64 v14, |v97|, |v97|
	s_delay_alu instid0(VALU_DEP_1) | instskip(SKIP_1) | instid1(VALU_DEP_2)
	v_mul_f32_e32 v108, 0x3fb8aa3b, v14
	v_cmp_ngt_f32_e32 vcc_lo, 0xc2ce8ed0, v14
	v_rndne_f32_e32 v109, v108
	v_fma_f32 v110, 0x3fb8aa3b, v14, -v108
	s_delay_alu instid0(VALU_DEP_2) | instskip(NEXT) | instid1(VALU_DEP_2)
	v_sub_f32_e32 v108, v108, v109
	v_fmac_f32_e32 v110, 0x32a5705f, v14
	v_cvt_i32_f32_e32 v109, v109
	s_delay_alu instid0(VALU_DEP_2) | instskip(NEXT) | instid1(VALU_DEP_1)
	v_add_f32_e32 v108, v108, v110
	v_exp_f32_e32 v108, v108
	s_delay_alu instid0(TRANS32_DEP_1) | instskip(SKIP_1) | instid1(VALU_DEP_1)
	v_ldexp_f32 v108, v108, v109
	s_wait_alu 0xfffd
	v_cndmask_b32_e32 v108, 0, v108, vcc_lo
	v_cmp_nlt_f32_e32 vcc_lo, 0x42b17218, v14
	s_wait_alu 0xfffd
	s_delay_alu instid0(VALU_DEP_2) | instskip(NEXT) | instid1(VALU_DEP_1)
	v_cndmask_b32_e32 v14, 0x7f800000, v108, vcc_lo
	v_add_f32_e32 v14, 1.0, v14
	s_delay_alu instid0(VALU_DEP_1) | instskip(NEXT) | instid1(TRANS32_DEP_1)
	v_rcp_f32_e32 v14, v14
	v_fma_f32 v108, v14, -2.0, 1.0
.LBB23_51:                              ;   in Loop: Header=BB23_17 Depth=1
	s_wait_alu 0xfffe
	s_and_not1_saveexec_b32 s10, s10
	s_cbranch_execz .LBB23_53
; %bb.52:                               ;   in Loop: Header=BB23_17 Depth=1
	v_mul_f32_e32 v14, v97, v97
	s_delay_alu instid0(VALU_DEP_1) | instskip(NEXT) | instid1(VALU_DEP_1)
	v_fmaak_f32 v108, s3, v14, 0x3ca908c9
	v_fmaak_f32 v108, v14, v108, 0xbd5c1c4e
	s_delay_alu instid0(VALU_DEP_1) | instskip(NEXT) | instid1(VALU_DEP_1)
	v_fmaak_f32 v108, v14, v108, 0x3e088382
	v_fmaak_f32 v108, v14, v108, 0xbeaaaa99
	s_delay_alu instid0(VALU_DEP_1) | instskip(NEXT) | instid1(VALU_DEP_1)
	v_mul_f32_e64 v108, |v97|, v108
	v_fma_f32 v108, v14, v108, |v97|
.LBB23_53:                              ;   in Loop: Header=BB23_17 Depth=1
	s_wait_alu 0xfffe
	s_or_b32 exec_lo, exec_lo, s10
	v_cvt_f32_f16_e32 v14, v11
	v_bfi_b32 v98, 0x7fffffff, v105, v98
	v_cvt_f32_f16_e32 v11, v12
	v_bfi_b32 v99, 0x7fffffff, v106, v99
	v_cvt_f32_f16_e32 v12, v13
	v_cvt_f32_f16_e32 v13, v104
	v_fma_f32 v98, s31, v98, v14
	v_bfi_b32 v96, 0x7fffffff, v107, v96
	v_fma_f32 v99, s31, v99, v11
	v_bfi_b32 v104, 0x7fffffff, v108, v97
	v_cmp_ngt_f32_e64 s10, 0x3f200000, |v92|
	v_add_f32_e32 v105, 0x40051340, v98
	v_fma_f32 v97, s31, v96, v12
	v_add_f32_e32 v106, 0x40051340, v99
	v_fma_f32 v96, s31, v104, v13
	s_delay_alu instid0(VALU_DEP_3) | instskip(NEXT) | instid1(VALU_DEP_3)
	v_add_f32_e32 v104, 0x40051340, v97
	v_max3_num_f32 v105, v85, v105, v106
	s_delay_alu instid0(VALU_DEP_3) | instskip(NEXT) | instid1(VALU_DEP_1)
	v_add_f32_e32 v106, 0x40051340, v96
	v_max3_num_f32 v104, v105, v104, v106
                                        ; implicit-def: $vgpr106
	ds_bpermute_b32 v105, v0, v104
	s_wait_dscnt 0x0
	v_max_num_f32_e32 v105, v105, v105
	s_delay_alu instid0(VALU_DEP_1) | instskip(SKIP_3) | instid1(VALU_DEP_1)
	v_max_num_f32_e32 v104, v104, v105
	ds_bpermute_b32 v105, v103, v104
	s_wait_dscnt 0x0
	v_max_num_f32_e32 v105, v105, v105
	v_max_num_f32_e32 v104, v104, v105
	ds_bpermute_b32 v105, v10, v104
	s_wait_dscnt 0x0
	v_max_num_f32_e32 v105, v105, v105
	s_delay_alu instid0(VALU_DEP_1) | instskip(SKIP_3) | instid1(VALU_DEP_1)
	v_max_num_f32_e32 v104, v104, v105
	ds_bpermute_b32 v105, v9, v104
	s_wait_dscnt 0x0
	v_max_num_f32_e32 v105, v105, v105
	v_max_num_f32_e32 v104, v104, v105
	ds_bpermute_b32 v105, v3, v104
	s_and_saveexec_b32 s26, s10
	s_wait_alu 0xfffe
	s_xor_b32 s10, exec_lo, s26
	s_cbranch_execz .LBB23_55
; %bb.54:                               ;   in Loop: Header=BB23_17 Depth=1
	v_add_f32_e64 v106, |v92|, |v92|
	s_delay_alu instid0(VALU_DEP_1) | instskip(SKIP_1) | instid1(VALU_DEP_2)
	v_mul_f32_e32 v107, 0x3fb8aa3b, v106
	v_cmp_ngt_f32_e32 vcc_lo, 0xc2ce8ed0, v106
	v_rndne_f32_e32 v108, v107
	v_fma_f32 v109, 0x3fb8aa3b, v106, -v107
	s_delay_alu instid0(VALU_DEP_2) | instskip(NEXT) | instid1(VALU_DEP_2)
	v_sub_f32_e32 v107, v107, v108
	v_fmac_f32_e32 v109, 0x32a5705f, v106
	v_cvt_i32_f32_e32 v108, v108
	s_delay_alu instid0(VALU_DEP_2) | instskip(NEXT) | instid1(VALU_DEP_1)
	v_add_f32_e32 v107, v107, v109
	v_exp_f32_e32 v107, v107
	s_delay_alu instid0(TRANS32_DEP_1) | instskip(SKIP_1) | instid1(VALU_DEP_1)
	v_ldexp_f32 v107, v107, v108
	s_wait_alu 0xfffd
	v_cndmask_b32_e32 v107, 0, v107, vcc_lo
	v_cmp_nlt_f32_e32 vcc_lo, 0x42b17218, v106
	s_wait_alu 0xfffd
	s_delay_alu instid0(VALU_DEP_2) | instskip(NEXT) | instid1(VALU_DEP_1)
	v_cndmask_b32_e32 v106, 0x7f800000, v107, vcc_lo
	v_add_f32_e32 v106, 1.0, v106
	s_delay_alu instid0(VALU_DEP_1) | instskip(NEXT) | instid1(TRANS32_DEP_1)
	v_rcp_f32_e32 v106, v106
	v_fma_f32 v106, v106, -2.0, 1.0
.LBB23_55:                              ;   in Loop: Header=BB23_17 Depth=1
	s_wait_alu 0xfffe
	s_and_not1_saveexec_b32 s10, s10
	s_cbranch_execz .LBB23_57
; %bb.56:                               ;   in Loop: Header=BB23_17 Depth=1
	v_mul_f32_e32 v106, v92, v92
	s_delay_alu instid0(VALU_DEP_1) | instskip(NEXT) | instid1(VALU_DEP_1)
	v_fmaak_f32 v107, s3, v106, 0x3ca908c9
	v_fmaak_f32 v107, v106, v107, 0xbd5c1c4e
	s_delay_alu instid0(VALU_DEP_1) | instskip(NEXT) | instid1(VALU_DEP_1)
	v_fmaak_f32 v107, v106, v107, 0x3e088382
	v_fmaak_f32 v107, v106, v107, 0xbeaaaa99
	s_delay_alu instid0(VALU_DEP_1) | instskip(NEXT) | instid1(VALU_DEP_1)
	v_mul_f32_e64 v107, |v92|, v107
	v_fma_f32 v106, v106, v107, |v92|
.LBB23_57:                              ;   in Loop: Header=BB23_17 Depth=1
	s_wait_alu 0xfffe
	s_or_b32 exec_lo, exec_lo, s10
	v_cmp_ngt_f32_e64 s10, 0x3f200000, |v94|
                                        ; implicit-def: $vgpr107
	s_and_saveexec_b32 s26, s10
	s_wait_alu 0xfffe
	s_xor_b32 s10, exec_lo, s26
	s_cbranch_execz .LBB23_59
; %bb.58:                               ;   in Loop: Header=BB23_17 Depth=1
	v_add_f32_e64 v107, |v94|, |v94|
	s_delay_alu instid0(VALU_DEP_1) | instskip(SKIP_1) | instid1(VALU_DEP_2)
	v_mul_f32_e32 v108, 0x3fb8aa3b, v107
	v_cmp_ngt_f32_e32 vcc_lo, 0xc2ce8ed0, v107
	v_rndne_f32_e32 v109, v108
	v_fma_f32 v110, 0x3fb8aa3b, v107, -v108
	s_delay_alu instid0(VALU_DEP_2) | instskip(NEXT) | instid1(VALU_DEP_2)
	v_sub_f32_e32 v108, v108, v109
	v_fmac_f32_e32 v110, 0x32a5705f, v107
	v_cvt_i32_f32_e32 v109, v109
	s_delay_alu instid0(VALU_DEP_2) | instskip(NEXT) | instid1(VALU_DEP_1)
	v_add_f32_e32 v108, v108, v110
	v_exp_f32_e32 v108, v108
	s_delay_alu instid0(TRANS32_DEP_1) | instskip(SKIP_1) | instid1(VALU_DEP_1)
	v_ldexp_f32 v108, v108, v109
	s_wait_alu 0xfffd
	v_cndmask_b32_e32 v108, 0, v108, vcc_lo
	v_cmp_nlt_f32_e32 vcc_lo, 0x42b17218, v107
	s_wait_alu 0xfffd
	s_delay_alu instid0(VALU_DEP_2) | instskip(NEXT) | instid1(VALU_DEP_1)
	v_cndmask_b32_e32 v107, 0x7f800000, v108, vcc_lo
	v_add_f32_e32 v107, 1.0, v107
	s_delay_alu instid0(VALU_DEP_1) | instskip(NEXT) | instid1(TRANS32_DEP_1)
	v_rcp_f32_e32 v107, v107
	v_fma_f32 v107, v107, -2.0, 1.0
.LBB23_59:                              ;   in Loop: Header=BB23_17 Depth=1
	s_wait_alu 0xfffe
	s_and_not1_saveexec_b32 s10, s10
	s_cbranch_execz .LBB23_61
; %bb.60:                               ;   in Loop: Header=BB23_17 Depth=1
	v_mul_f32_e32 v107, v94, v94
	s_delay_alu instid0(VALU_DEP_1) | instskip(NEXT) | instid1(VALU_DEP_1)
	v_fmaak_f32 v108, s3, v107, 0x3ca908c9
	v_fmaak_f32 v108, v107, v108, 0xbd5c1c4e
	s_delay_alu instid0(VALU_DEP_1) | instskip(NEXT) | instid1(VALU_DEP_1)
	v_fmaak_f32 v108, v107, v108, 0x3e088382
	v_fmaak_f32 v108, v107, v108, 0xbeaaaa99
	s_delay_alu instid0(VALU_DEP_1) | instskip(NEXT) | instid1(VALU_DEP_1)
	v_mul_f32_e64 v108, |v94|, v108
	v_fma_f32 v107, v107, v108, |v94|
.LBB23_61:                              ;   in Loop: Header=BB23_17 Depth=1
	s_wait_alu 0xfffe
	s_or_b32 exec_lo, exec_lo, s10
	v_cmp_ngt_f32_e64 s10, 0x3f200000, |v95|
                                        ; implicit-def: $vgpr108
	s_and_saveexec_b32 s26, s10
	s_wait_alu 0xfffe
	s_xor_b32 s10, exec_lo, s26
	s_cbranch_execz .LBB23_63
; %bb.62:                               ;   in Loop: Header=BB23_17 Depth=1
	v_add_f32_e64 v108, |v95|, |v95|
	s_delay_alu instid0(VALU_DEP_1) | instskip(SKIP_1) | instid1(VALU_DEP_2)
	v_mul_f32_e32 v109, 0x3fb8aa3b, v108
	v_cmp_ngt_f32_e32 vcc_lo, 0xc2ce8ed0, v108
	v_rndne_f32_e32 v110, v109
	v_fma_f32 v111, 0x3fb8aa3b, v108, -v109
	s_delay_alu instid0(VALU_DEP_2) | instskip(NEXT) | instid1(VALU_DEP_2)
	v_sub_f32_e32 v109, v109, v110
	v_fmac_f32_e32 v111, 0x32a5705f, v108
	v_cvt_i32_f32_e32 v110, v110
	s_delay_alu instid0(VALU_DEP_2) | instskip(NEXT) | instid1(VALU_DEP_1)
	v_add_f32_e32 v109, v109, v111
	v_exp_f32_e32 v109, v109
	s_delay_alu instid0(TRANS32_DEP_1) | instskip(SKIP_1) | instid1(VALU_DEP_1)
	v_ldexp_f32 v109, v109, v110
	s_wait_alu 0xfffd
	v_cndmask_b32_e32 v109, 0, v109, vcc_lo
	v_cmp_nlt_f32_e32 vcc_lo, 0x42b17218, v108
	s_wait_alu 0xfffd
	s_delay_alu instid0(VALU_DEP_2) | instskip(NEXT) | instid1(VALU_DEP_1)
	v_cndmask_b32_e32 v108, 0x7f800000, v109, vcc_lo
	v_add_f32_e32 v108, 1.0, v108
	s_delay_alu instid0(VALU_DEP_1) | instskip(NEXT) | instid1(TRANS32_DEP_1)
	v_rcp_f32_e32 v108, v108
	v_fma_f32 v108, v108, -2.0, 1.0
.LBB23_63:                              ;   in Loop: Header=BB23_17 Depth=1
	s_wait_alu 0xfffe
	s_and_not1_saveexec_b32 s10, s10
	s_cbranch_execz .LBB23_65
; %bb.64:                               ;   in Loop: Header=BB23_17 Depth=1
	v_mul_f32_e32 v108, v95, v95
	s_delay_alu instid0(VALU_DEP_1) | instskip(NEXT) | instid1(VALU_DEP_1)
	v_fmaak_f32 v109, s3, v108, 0x3ca908c9
	v_fmaak_f32 v109, v108, v109, 0xbd5c1c4e
	s_delay_alu instid0(VALU_DEP_1) | instskip(NEXT) | instid1(VALU_DEP_1)
	v_fmaak_f32 v109, v108, v109, 0x3e088382
	v_fmaak_f32 v109, v108, v109, 0xbeaaaa99
	s_delay_alu instid0(VALU_DEP_1) | instskip(NEXT) | instid1(VALU_DEP_1)
	v_mul_f32_e64 v109, |v95|, v109
	v_fma_f32 v108, v108, v109, |v95|
.LBB23_65:                              ;   in Loop: Header=BB23_17 Depth=1
	s_wait_alu 0xfffe
	s_or_b32 exec_lo, exec_lo, s10
	v_cmp_ngt_f32_e64 s10, 0x3f200000, |v93|
                                        ; implicit-def: $vgpr109
	s_and_saveexec_b32 s26, s10
	s_wait_alu 0xfffe
	s_xor_b32 s10, exec_lo, s26
	s_cbranch_execz .LBB23_67
; %bb.66:                               ;   in Loop: Header=BB23_17 Depth=1
	v_add_f32_e64 v109, |v93|, |v93|
	s_delay_alu instid0(VALU_DEP_1) | instskip(SKIP_1) | instid1(VALU_DEP_2)
	v_mul_f32_e32 v110, 0x3fb8aa3b, v109
	v_cmp_ngt_f32_e32 vcc_lo, 0xc2ce8ed0, v109
	v_rndne_f32_e32 v111, v110
	v_fma_f32 v112, 0x3fb8aa3b, v109, -v110
	s_delay_alu instid0(VALU_DEP_2) | instskip(NEXT) | instid1(VALU_DEP_2)
	v_sub_f32_e32 v110, v110, v111
	v_fmac_f32_e32 v112, 0x32a5705f, v109
	v_cvt_i32_f32_e32 v111, v111
	s_delay_alu instid0(VALU_DEP_2) | instskip(NEXT) | instid1(VALU_DEP_1)
	v_add_f32_e32 v110, v110, v112
	v_exp_f32_e32 v110, v110
	s_delay_alu instid0(TRANS32_DEP_1) | instskip(SKIP_1) | instid1(VALU_DEP_1)
	v_ldexp_f32 v110, v110, v111
	s_wait_alu 0xfffd
	v_cndmask_b32_e32 v110, 0, v110, vcc_lo
	v_cmp_nlt_f32_e32 vcc_lo, 0x42b17218, v109
	s_wait_alu 0xfffd
	s_delay_alu instid0(VALU_DEP_2) | instskip(NEXT) | instid1(VALU_DEP_1)
	v_cndmask_b32_e32 v109, 0x7f800000, v110, vcc_lo
	v_add_f32_e32 v109, 1.0, v109
	s_delay_alu instid0(VALU_DEP_1) | instskip(NEXT) | instid1(TRANS32_DEP_1)
	v_rcp_f32_e32 v109, v109
	v_fma_f32 v109, v109, -2.0, 1.0
.LBB23_67:                              ;   in Loop: Header=BB23_17 Depth=1
	s_wait_alu 0xfffe
	s_and_not1_saveexec_b32 s10, s10
	s_cbranch_execz .LBB23_69
; %bb.68:                               ;   in Loop: Header=BB23_17 Depth=1
	v_mul_f32_e32 v109, v93, v93
	s_delay_alu instid0(VALU_DEP_1) | instskip(NEXT) | instid1(VALU_DEP_1)
	v_fmaak_f32 v110, s3, v109, 0x3ca908c9
	v_fmaak_f32 v110, v109, v110, 0xbd5c1c4e
	s_delay_alu instid0(VALU_DEP_1) | instskip(NEXT) | instid1(VALU_DEP_1)
	v_fmaak_f32 v110, v109, v110, 0x3e088382
	v_fmaak_f32 v110, v109, v110, 0xbeaaaa99
	s_delay_alu instid0(VALU_DEP_1) | instskip(NEXT) | instid1(VALU_DEP_1)
	v_mul_f32_e64 v110, |v93|, v110
	v_fma_f32 v109, v109, v110, |v93|
.LBB23_69:                              ;   in Loop: Header=BB23_17 Depth=1
	s_wait_alu 0xfffe
	s_or_b32 exec_lo, exec_lo, s10
	v_bfi_b32 v92, 0x7fffffff, v106, v92
	v_bfi_b32 v94, 0x7fffffff, v107, v94
	;; [unrolled: 1-line block ×3, first 2 shown]
	v_cmp_ngt_f32_e64 s10, 0x3f200000, |v89|
	s_delay_alu instid0(VALU_DEP_4) | instskip(NEXT) | instid1(VALU_DEP_4)
	v_fma_f32 v95, s31, v92, v14
	v_fma_f32 v94, s31, v94, v11
	v_bfi_b32 v92, 0x7fffffff, v109, v93
	v_fma_f32 v93, s31, v106, v12
	s_delay_alu instid0(VALU_DEP_3) | instskip(NEXT) | instid1(VALU_DEP_3)
	v_dual_add_f32 v106, 0x40051340, v95 :: v_dual_add_f32 v107, 0x40051340, v94
	v_fma_f32 v92, s31, v92, v13
	s_delay_alu instid0(VALU_DEP_3) | instskip(NEXT) | instid1(VALU_DEP_3)
	v_add_f32_e32 v108, 0x40051340, v93
	v_max3_num_f32 v106, v83, v106, v107
	s_delay_alu instid0(VALU_DEP_3) | instskip(NEXT) | instid1(VALU_DEP_1)
	v_add_f32_e32 v107, 0x40051340, v92
	v_max3_num_f32 v106, v106, v108, v107
                                        ; implicit-def: $vgpr108
	ds_bpermute_b32 v107, v0, v106
	s_wait_dscnt 0x0
	v_max_num_f32_e32 v107, v107, v107
	s_delay_alu instid0(VALU_DEP_1) | instskip(SKIP_3) | instid1(VALU_DEP_1)
	v_max_num_f32_e32 v106, v106, v107
	ds_bpermute_b32 v107, v103, v106
	s_wait_dscnt 0x0
	v_max_num_f32_e32 v107, v107, v107
	v_max_num_f32_e32 v106, v106, v107
	ds_bpermute_b32 v107, v10, v106
	s_wait_dscnt 0x0
	v_max_num_f32_e32 v107, v107, v107
	s_delay_alu instid0(VALU_DEP_1) | instskip(SKIP_3) | instid1(VALU_DEP_1)
	v_max_num_f32_e32 v106, v106, v107
	ds_bpermute_b32 v107, v9, v106
	s_wait_dscnt 0x0
	v_max_num_f32_e32 v107, v107, v107
	v_max_num_f32_e32 v106, v106, v107
	ds_bpermute_b32 v107, v3, v106
	s_and_saveexec_b32 s26, s10
	s_wait_alu 0xfffe
	s_xor_b32 s10, exec_lo, s26
	s_cbranch_execz .LBB23_71
; %bb.70:                               ;   in Loop: Header=BB23_17 Depth=1
	v_add_f32_e64 v108, |v89|, |v89|
	s_delay_alu instid0(VALU_DEP_1) | instskip(SKIP_1) | instid1(VALU_DEP_2)
	v_mul_f32_e32 v109, 0x3fb8aa3b, v108
	v_cmp_ngt_f32_e32 vcc_lo, 0xc2ce8ed0, v108
	v_rndne_f32_e32 v110, v109
	v_fma_f32 v111, 0x3fb8aa3b, v108, -v109
	s_delay_alu instid0(VALU_DEP_2) | instskip(NEXT) | instid1(VALU_DEP_2)
	v_sub_f32_e32 v109, v109, v110
	v_fmac_f32_e32 v111, 0x32a5705f, v108
	v_cvt_i32_f32_e32 v110, v110
	s_delay_alu instid0(VALU_DEP_2) | instskip(NEXT) | instid1(VALU_DEP_1)
	v_add_f32_e32 v109, v109, v111
	v_exp_f32_e32 v109, v109
	s_delay_alu instid0(TRANS32_DEP_1) | instskip(SKIP_1) | instid1(VALU_DEP_1)
	v_ldexp_f32 v109, v109, v110
	s_wait_alu 0xfffd
	v_cndmask_b32_e32 v109, 0, v109, vcc_lo
	v_cmp_nlt_f32_e32 vcc_lo, 0x42b17218, v108
	s_wait_alu 0xfffd
	s_delay_alu instid0(VALU_DEP_2) | instskip(NEXT) | instid1(VALU_DEP_1)
	v_cndmask_b32_e32 v108, 0x7f800000, v109, vcc_lo
	v_add_f32_e32 v108, 1.0, v108
	s_delay_alu instid0(VALU_DEP_1) | instskip(NEXT) | instid1(TRANS32_DEP_1)
	v_rcp_f32_e32 v108, v108
	v_fma_f32 v108, v108, -2.0, 1.0
.LBB23_71:                              ;   in Loop: Header=BB23_17 Depth=1
	s_wait_alu 0xfffe
	s_and_not1_saveexec_b32 s10, s10
	s_cbranch_execz .LBB23_73
; %bb.72:                               ;   in Loop: Header=BB23_17 Depth=1
	v_mul_f32_e32 v108, v89, v89
	s_delay_alu instid0(VALU_DEP_1) | instskip(NEXT) | instid1(VALU_DEP_1)
	v_fmaak_f32 v109, s3, v108, 0x3ca908c9
	v_fmaak_f32 v109, v108, v109, 0xbd5c1c4e
	s_delay_alu instid0(VALU_DEP_1) | instskip(NEXT) | instid1(VALU_DEP_1)
	v_fmaak_f32 v109, v108, v109, 0x3e088382
	v_fmaak_f32 v109, v108, v109, 0xbeaaaa99
	s_delay_alu instid0(VALU_DEP_1) | instskip(NEXT) | instid1(VALU_DEP_1)
	v_mul_f32_e64 v109, |v89|, v109
	v_fma_f32 v108, v108, v109, |v89|
.LBB23_73:                              ;   in Loop: Header=BB23_17 Depth=1
	s_wait_alu 0xfffe
	s_or_b32 exec_lo, exec_lo, s10
	v_cmp_ngt_f32_e64 s10, 0x3f200000, |v91|
                                        ; implicit-def: $vgpr109
	s_and_saveexec_b32 s26, s10
	s_wait_alu 0xfffe
	s_xor_b32 s10, exec_lo, s26
	s_cbranch_execz .LBB23_75
; %bb.74:                               ;   in Loop: Header=BB23_17 Depth=1
	v_add_f32_e64 v109, |v91|, |v91|
	s_delay_alu instid0(VALU_DEP_1) | instskip(SKIP_1) | instid1(VALU_DEP_2)
	v_mul_f32_e32 v110, 0x3fb8aa3b, v109
	v_cmp_ngt_f32_e32 vcc_lo, 0xc2ce8ed0, v109
	v_rndne_f32_e32 v111, v110
	v_fma_f32 v112, 0x3fb8aa3b, v109, -v110
	s_delay_alu instid0(VALU_DEP_2) | instskip(NEXT) | instid1(VALU_DEP_2)
	v_sub_f32_e32 v110, v110, v111
	v_fmac_f32_e32 v112, 0x32a5705f, v109
	v_cvt_i32_f32_e32 v111, v111
	s_delay_alu instid0(VALU_DEP_2) | instskip(NEXT) | instid1(VALU_DEP_1)
	v_add_f32_e32 v110, v110, v112
	v_exp_f32_e32 v110, v110
	s_delay_alu instid0(TRANS32_DEP_1) | instskip(SKIP_1) | instid1(VALU_DEP_1)
	v_ldexp_f32 v110, v110, v111
	s_wait_alu 0xfffd
	v_cndmask_b32_e32 v110, 0, v110, vcc_lo
	v_cmp_nlt_f32_e32 vcc_lo, 0x42b17218, v109
	s_wait_alu 0xfffd
	s_delay_alu instid0(VALU_DEP_2) | instskip(NEXT) | instid1(VALU_DEP_1)
	v_cndmask_b32_e32 v109, 0x7f800000, v110, vcc_lo
	v_add_f32_e32 v109, 1.0, v109
	s_delay_alu instid0(VALU_DEP_1) | instskip(NEXT) | instid1(TRANS32_DEP_1)
	v_rcp_f32_e32 v109, v109
	v_fma_f32 v109, v109, -2.0, 1.0
.LBB23_75:                              ;   in Loop: Header=BB23_17 Depth=1
	s_wait_alu 0xfffe
	s_and_not1_saveexec_b32 s10, s10
	s_cbranch_execz .LBB23_77
; %bb.76:                               ;   in Loop: Header=BB23_17 Depth=1
	v_mul_f32_e32 v109, v91, v91
	s_delay_alu instid0(VALU_DEP_1) | instskip(NEXT) | instid1(VALU_DEP_1)
	v_fmaak_f32 v110, s3, v109, 0x3ca908c9
	v_fmaak_f32 v110, v109, v110, 0xbd5c1c4e
	s_delay_alu instid0(VALU_DEP_1) | instskip(NEXT) | instid1(VALU_DEP_1)
	v_fmaak_f32 v110, v109, v110, 0x3e088382
	v_fmaak_f32 v110, v109, v110, 0xbeaaaa99
	s_delay_alu instid0(VALU_DEP_1) | instskip(NEXT) | instid1(VALU_DEP_1)
	v_mul_f32_e64 v110, |v91|, v110
	v_fma_f32 v109, v109, v110, |v91|
.LBB23_77:                              ;   in Loop: Header=BB23_17 Depth=1
	s_wait_alu 0xfffe
	s_or_b32 exec_lo, exec_lo, s10
	v_cmp_ngt_f32_e64 s10, 0x3f200000, |v90|
                                        ; implicit-def: $vgpr110
	s_and_saveexec_b32 s26, s10
	s_wait_alu 0xfffe
	s_xor_b32 s10, exec_lo, s26
	s_cbranch_execz .LBB23_79
; %bb.78:                               ;   in Loop: Header=BB23_17 Depth=1
	v_add_f32_e64 v110, |v90|, |v90|
	s_delay_alu instid0(VALU_DEP_1) | instskip(SKIP_1) | instid1(VALU_DEP_2)
	v_mul_f32_e32 v111, 0x3fb8aa3b, v110
	v_cmp_ngt_f32_e32 vcc_lo, 0xc2ce8ed0, v110
	v_rndne_f32_e32 v112, v111
	v_fma_f32 v113, 0x3fb8aa3b, v110, -v111
	s_delay_alu instid0(VALU_DEP_2) | instskip(NEXT) | instid1(VALU_DEP_2)
	v_sub_f32_e32 v111, v111, v112
	v_fmac_f32_e32 v113, 0x32a5705f, v110
	v_cvt_i32_f32_e32 v112, v112
	s_delay_alu instid0(VALU_DEP_2) | instskip(NEXT) | instid1(VALU_DEP_1)
	v_add_f32_e32 v111, v111, v113
	v_exp_f32_e32 v111, v111
	s_delay_alu instid0(TRANS32_DEP_1) | instskip(SKIP_1) | instid1(VALU_DEP_1)
	v_ldexp_f32 v111, v111, v112
	s_wait_alu 0xfffd
	v_cndmask_b32_e32 v111, 0, v111, vcc_lo
	v_cmp_nlt_f32_e32 vcc_lo, 0x42b17218, v110
	s_wait_alu 0xfffd
	s_delay_alu instid0(VALU_DEP_2) | instskip(NEXT) | instid1(VALU_DEP_1)
	v_cndmask_b32_e32 v110, 0x7f800000, v111, vcc_lo
	v_add_f32_e32 v110, 1.0, v110
	s_delay_alu instid0(VALU_DEP_1) | instskip(NEXT) | instid1(TRANS32_DEP_1)
	v_rcp_f32_e32 v110, v110
	v_fma_f32 v110, v110, -2.0, 1.0
.LBB23_79:                              ;   in Loop: Header=BB23_17 Depth=1
	s_wait_alu 0xfffe
	s_and_not1_saveexec_b32 s10, s10
	s_cbranch_execz .LBB23_81
; %bb.80:                               ;   in Loop: Header=BB23_17 Depth=1
	v_mul_f32_e32 v110, v90, v90
	s_delay_alu instid0(VALU_DEP_1) | instskip(NEXT) | instid1(VALU_DEP_1)
	v_fmaak_f32 v111, s3, v110, 0x3ca908c9
	v_fmaak_f32 v111, v110, v111, 0xbd5c1c4e
	s_delay_alu instid0(VALU_DEP_1) | instskip(NEXT) | instid1(VALU_DEP_1)
	v_fmaak_f32 v111, v110, v111, 0x3e088382
	v_fmaak_f32 v111, v110, v111, 0xbeaaaa99
	s_delay_alu instid0(VALU_DEP_1) | instskip(NEXT) | instid1(VALU_DEP_1)
	v_mul_f32_e64 v111, |v90|, v111
	v_fma_f32 v110, v110, v111, |v90|
.LBB23_81:                              ;   in Loop: Header=BB23_17 Depth=1
	s_wait_alu 0xfffe
	s_or_b32 exec_lo, exec_lo, s10
	v_cmp_ngt_f32_e64 s10, 0x3f200000, |v86|
                                        ; implicit-def: $vgpr111
	s_and_saveexec_b32 s26, s10
	s_wait_alu 0xfffe
	s_xor_b32 s10, exec_lo, s26
	s_cbranch_execz .LBB23_83
; %bb.82:                               ;   in Loop: Header=BB23_17 Depth=1
	v_add_f32_e64 v111, |v86|, |v86|
	s_delay_alu instid0(VALU_DEP_1) | instskip(SKIP_1) | instid1(VALU_DEP_2)
	v_mul_f32_e32 v112, 0x3fb8aa3b, v111
	v_cmp_ngt_f32_e32 vcc_lo, 0xc2ce8ed0, v111
	v_rndne_f32_e32 v113, v112
	v_fma_f32 v114, 0x3fb8aa3b, v111, -v112
	s_delay_alu instid0(VALU_DEP_2) | instskip(NEXT) | instid1(VALU_DEP_2)
	v_sub_f32_e32 v112, v112, v113
	v_fmac_f32_e32 v114, 0x32a5705f, v111
	v_cvt_i32_f32_e32 v113, v113
	s_delay_alu instid0(VALU_DEP_2) | instskip(NEXT) | instid1(VALU_DEP_1)
	v_add_f32_e32 v112, v112, v114
	v_exp_f32_e32 v112, v112
	s_delay_alu instid0(TRANS32_DEP_1) | instskip(SKIP_1) | instid1(VALU_DEP_1)
	v_ldexp_f32 v112, v112, v113
	s_wait_alu 0xfffd
	v_cndmask_b32_e32 v112, 0, v112, vcc_lo
	v_cmp_nlt_f32_e32 vcc_lo, 0x42b17218, v111
	s_wait_alu 0xfffd
	s_delay_alu instid0(VALU_DEP_2) | instskip(NEXT) | instid1(VALU_DEP_1)
	v_cndmask_b32_e32 v111, 0x7f800000, v112, vcc_lo
	v_add_f32_e32 v111, 1.0, v111
	s_delay_alu instid0(VALU_DEP_1) | instskip(NEXT) | instid1(TRANS32_DEP_1)
	v_rcp_f32_e32 v111, v111
	v_fma_f32 v111, v111, -2.0, 1.0
.LBB23_83:                              ;   in Loop: Header=BB23_17 Depth=1
	s_wait_alu 0xfffe
	s_and_not1_saveexec_b32 s10, s10
	s_cbranch_execz .LBB23_85
; %bb.84:                               ;   in Loop: Header=BB23_17 Depth=1
	v_mul_f32_e32 v111, v86, v86
	s_delay_alu instid0(VALU_DEP_1) | instskip(NEXT) | instid1(VALU_DEP_1)
	v_fmaak_f32 v112, s3, v111, 0x3ca908c9
	v_fmaak_f32 v112, v111, v112, 0xbd5c1c4e
	s_delay_alu instid0(VALU_DEP_1) | instskip(NEXT) | instid1(VALU_DEP_1)
	v_fmaak_f32 v112, v111, v112, 0x3e088382
	v_fmaak_f32 v112, v111, v112, 0xbeaaaa99
	s_delay_alu instid0(VALU_DEP_1) | instskip(NEXT) | instid1(VALU_DEP_1)
	v_mul_f32_e64 v112, |v86|, v112
	v_fma_f32 v111, v111, v112, |v86|
.LBB23_85:                              ;   in Loop: Header=BB23_17 Depth=1
	s_wait_alu 0xfffe
	s_or_b32 exec_lo, exec_lo, s10
	v_bfi_b32 v89, 0x7fffffff, v108, v89
	v_bfi_b32 v91, 0x7fffffff, v109, v91
	;; [unrolled: 1-line block ×4, first 2 shown]
	s_mul_u64 s[26:27], s[4:5], s[14:15]
	s_delay_alu instid0(VALU_DEP_3) | instskip(NEXT) | instid1(VALU_DEP_3)
	v_dual_fmac_f32 v14, s31, v89 :: v_dual_fmac_f32 v11, s31, v91
	v_fmac_f32_e32 v12, s31, v90
	s_wait_dscnt 0x0
	v_dual_fmac_f32 v13, s31, v86 :: v_dual_max_num_f32 v90, v107, v107
	s_delay_alu instid0(VALU_DEP_3) | instskip(NEXT) | instid1(VALU_DEP_3)
	v_dual_add_f32 v86, 0x40051340, v14 :: v_dual_add_f32 v89, 0x40051340, v11
	v_dual_max_num_f32 v91, v106, v106 :: v_dual_add_f32 v106, 0x40051340, v12
	s_delay_alu instid0(VALU_DEP_3) | instskip(SKIP_1) | instid1(VALU_DEP_4)
	v_add_f32_e32 v107, 0x40051340, v13
	v_max_num_f32_e32 v108, v1, v1
	v_max3_num_f32 v86, v81, v86, v89
	v_dual_max_num_f32 v89, v105, v105 :: v_dual_max_num_f32 v104, v104, v104
	v_max_num_f32_e32 v105, v2, v2
	s_wait_alu 0xfffe
	s_lshl_b64 s[26:27], s[26:27], 2
	v_max3_num_f32 v106, v86, v106, v107
	v_dual_max_num_f32 v1, v104, v89 :: v_dual_lshlrev_b32 v86, 2, v32
	s_wait_alu 0xfffe
	s_add_nc_u64 s[26:27], s[8:9], s[26:27]
	ds_bpermute_b32 v107, v0, v106
	v_max_num_f32_e32 v0, v108, v105
	s_wait_alu 0xfffe
	v_add_co_u32 v89, vcc_lo, s26, v27
	v_sub_f32_e32 v113, v98, v1
	s_barrier_signal -1
	v_sub_f32_e32 v110, v100, v0
	s_barrier_wait -1
	s_wait_dscnt 0x0
	global_inv scope:SCOPE_SE
	v_sub_f32_e32 v115, v97, v1
	v_mul_f32_e32 v123, 0x3fb8aa3b, v113
	v_mul_f32_e32 v119, 0x3fb8aa3b, v110
	v_dual_max_num_f32 v2, v91, v90 :: v_dual_sub_f32 v109, v88, v0
	v_sub_f32_e32 v111, v101, v0
	v_sub_f32_e32 v112, v102, v0
	;; [unrolled: 1-line block ×3, first 2 shown]
	v_rndne_f32_e32 v128, v119
	v_mul_f32_e32 v122, 0x3fb8aa3b, v109
	v_fma_f32 v127, 0x3fb8aa3b, v110, -v119
	v_max_num_f32_e32 v88, v107, v107
	v_dual_sub_f32 v15, v15, v0 :: v_dual_mul_f32 v120, 0x3fb8aa3b, v111
	v_mul_f32_e32 v121, 0x3fb8aa3b, v112
	v_sub_f32_e32 v119, v119, v128
	s_delay_alu instid0(VALU_DEP_4)
	v_max_num_f32_e32 v116, v106, v88
	v_fma_f32 v133, 0x3fb8aa3b, v109, -v122
	v_fma_f32 v129, 0x3fb8aa3b, v111, -v120
	v_rndne_f32_e32 v130, v120
	v_fma_f32 v131, 0x3fb8aa3b, v112, -v121
	ds_bpermute_b32 v117, v103, v116
	v_mul_f32_e32 v118, 0x3fb8aa3b, v15
	v_rndne_f32_e32 v132, v121
	v_mul_f32_e32 v124, 0x3fb8aa3b, v114
	v_fma_f32 v134, 0x3fb8aa3b, v113, -v123
	v_rndne_f32_e32 v135, v123
	v_dual_sub_f32 v120, v120, v130 :: v_dual_fmac_f32 v131, 0x32a5705f, v112
	s_delay_alu instid0(VALU_DEP_3) | instskip(NEXT) | instid1(VALU_DEP_3)
	v_dual_sub_f32 v121, v121, v132 :: v_dual_fmac_f32 v134, 0x32a5705f, v113
	v_sub_f32_e32 v123, v123, v135
	s_wait_alu 0xfffd
	v_add_co_ci_u32_e64 v90, null, s27, v28, vcc_lo
	v_add_co_u32 v91, vcc_lo, s26, v29
	s_wait_alu 0xfffd
	v_add_co_ci_u32_e64 v104, null, s27, v30, vcc_lo
	v_add_co_u32 v97, vcc_lo, v89, v86
	s_wait_alu 0xfffd
	v_add_co_ci_u32_e64 v98, null, 0, v90, vcc_lo
	s_wait_dscnt 0x0
	v_max_num_f32_e32 v117, v117, v117
	v_fma_f32 v125, 0x3fb8aa3b, v15, -v118
	v_rndne_f32_e32 v126, v118
	v_fmac_f32_e32 v129, 0x32a5705f, v111
	v_add_co_u32 v105, vcc_lo, v91, v86
	s_delay_alu instid0(VALU_DEP_4)
	v_dual_max_num_f32 v116, v116, v117 :: v_dual_fmac_f32 v125, 0x32a5705f, v15
	v_rndne_f32_e32 v117, v122
	v_sub_f32_e32 v118, v118, v126
	v_fmac_f32_e32 v127, 0x32a5705f, v110
	ds_bpermute_b32 v10, v10, v116
	v_fmac_f32_e32 v133, 0x32a5705f, v109
	v_sub_f32_e32 v122, v122, v117
	v_dual_add_f32 v118, v118, v125 :: v_dual_add_f32 v119, v119, v127
	v_dual_add_f32 v120, v120, v129 :: v_dual_add_f32 v121, v121, v131
	v_cvt_i32_f32_e32 v126, v126
	s_delay_alu instid0(VALU_DEP_3)
	v_exp_f32_e32 v118, v118
	s_wait_alu 0xfffd
	v_add_co_ci_u32_e64 v106, null, 0, v104, vcc_lo
	v_cvt_i32_f32_e32 v128, v128
	v_cvt_i32_f32_e32 v117, v117
	v_cmp_ngt_f32_e32 vcc_lo, 0xc2ce8ed0, v15
	v_cvt_i32_f32_e32 v130, v130
	v_fma_f32 v136, 0x3fb8aa3b, v114, -v124
	v_rndne_f32_e32 v137, v124
	v_add_f32_e32 v123, v123, v134
	v_ldexp_f32 v118, v118, v126
	v_cvt_i32_f32_e32 v125, v135
	s_wait_dscnt 0x0
	v_max_num_f32_e32 v10, v10, v10
	v_add_f32_e32 v122, v122, v133
	v_exp_f32_e32 v123, v123
	v_fmac_f32_e32 v136, 0x32a5705f, v114
	s_clause 0x3
	global_load_b128 v[88:91], v[97:98], off
	global_load_b128 v[97:100], v[97:98], off offset:512
	global_load_b128 v[101:104], v[105:106], off
	global_load_b128 v[105:108], v[105:106], off offset:512
	v_max_num_f32_e32 v10, v116, v10
	v_exp_f32_e32 v116, v119
	v_exp_f32_e32 v119, v120
	;; [unrolled: 1-line block ×4, first 2 shown]
	v_cvt_i32_f32_e32 v122, v132
	s_or_b32 s26, s4, 16
	s_wait_alu 0xfffe
	s_ashr_i32 s27, s26, 31
	s_wait_alu 0xfffe
	s_mul_u64 s[26:27], s[26:27], s[14:15]
	v_ldexp_f32 v116, v116, v128
	v_ldexp_f32 v119, v119, v130
	;; [unrolled: 1-line block ×4, first 2 shown]
	s_wait_alu 0xfffd
	v_cndmask_b32_e32 v118, 0, v118, vcc_lo
	v_cmp_ngt_f32_e32 vcc_lo, 0xc2ce8ed0, v110
	s_wait_alu 0xfffe
	s_lshl_b64 s[26:27], s[26:27], 2
	s_wait_alu 0xfffe
	s_add_nc_u64 s[26:27], s[8:9], s[26:27]
	s_wait_alu 0xfffd
	v_cndmask_b32_e32 v116, 0, v116, vcc_lo
	v_cmp_ngt_f32_e32 vcc_lo, 0xc2ce8ed0, v111
	s_wait_alu 0xfffd
	v_cndmask_b32_e32 v119, 0, v119, vcc_lo
	ds_bpermute_b32 v9, v9, v10
	v_cmp_ngt_f32_e32 vcc_lo, 0xc2ce8ed0, v112
	s_wait_alu 0xfffd
	v_cndmask_b32_e32 v120, 0, v120, vcc_lo
	v_cmp_ngt_f32_e32 vcc_lo, 0xc2ce8ed0, v109
	s_wait_alu 0xfffd
	v_cndmask_b32_e32 v117, 0, v117, vcc_lo
	v_cmp_nlt_f32_e32 vcc_lo, 0x42b17218, v15
	s_wait_dscnt 0x0
	v_max_num_f32_e32 v9, v9, v9
	s_wait_alu 0xfffd
	v_cndmask_b32_e32 v15, 0x7f800000, v118, vcc_lo
	v_cmp_nlt_f32_e32 vcc_lo, 0x42b17218, v110
	v_ldexp_f32 v118, v123, v125
	v_max_num_f32_e32 v10, v10, v9
	s_wait_alu 0xfffd
	v_cndmask_b32_e32 v110, 0x7f800000, v116, vcc_lo
	v_cmp_nlt_f32_e32 vcc_lo, 0x42b17218, v109
	ds_bpermute_b32 v3, v3, v10
	v_add_f32_e32 v9, v15, v110
	s_wait_alu 0xfffd
	v_cndmask_b32_e32 v109, 0x7f800000, v117, vcc_lo
	v_cmp_nlt_f32_e32 vcc_lo, 0x42b17218, v111
	v_sub_f32_e32 v117, v124, v137
	v_cvt_f16_f32_e32 v15, v15
	s_delay_alu instid0(VALU_DEP_4)
	v_cvt_f16_f32_e32 v116, v109
	s_wait_alu 0xfffd
	v_cndmask_b32_e32 v111, 0x7f800000, v119, vcc_lo
	v_cmp_nlt_f32_e32 vcc_lo, 0x42b17218, v112
	s_wait_alu 0xfffd
	v_cndmask_b32_e32 v112, 0x7f800000, v120, vcc_lo
	v_and_b32_e32 v116, 0xffff, v116
	v_cmp_ngt_f32_e32 vcc_lo, 0xc2ce8ed0, v113
	s_wait_dscnt 0x0
	v_max_num_f32_e32 v3, v3, v3
	s_delay_alu instid0(VALU_DEP_3) | instskip(NEXT) | instid1(VALU_DEP_2)
	v_mul_u32_u24_e32 v116, 0x10001, v116
	v_max_num_f32_e32 v3, v10, v3
	s_delay_alu instid0(VALU_DEP_2)
	v_pk_mul_f16 v123, v74, v116
	v_sub_f32_e32 v74, v85, v1
	v_add_f32_e32 v9, v111, v9
	v_pk_mul_f16 v122, v73, v116
	v_add_f32_e32 v73, v117, v136
	v_pk_mul_f16 v120, v75, v116
	v_pk_mul_f16 v121, v77, v116
	s_wait_alu 0xfffd
	v_dual_add_f32 v9, v112, v9 :: v_dual_cndmask_b32 v10, 0, v118
	v_cmp_nlt_f32_e32 vcc_lo, 0x42b17218, v113
	v_cvt_i32_f32_e32 v77, v137
	v_pk_mul_f16 v119, v79, v116
	s_delay_alu instid0(VALU_DEP_4)
	v_fmac_f32_e32 v9, v87, v109
	v_pk_mul_f16 v109, v76, v116
	v_mul_f32_e32 v76, 0x3fb8aa3b, v74
	v_exp_f32_e32 v73, v73
	v_pk_mul_f16 v87, v78, v116
	s_wait_alu 0xfffd
	v_dual_cndmask_b32 v10, 0x7f800000, v10 :: v_dual_sub_f32 v85, v96, v1
	v_rndne_f32_e32 v113, v76
	v_mul_f32_e32 v75, 0x3fb8aa3b, v115
	v_fma_f32 v96, 0x3fb8aa3b, v74, -v76
	v_cmp_ngt_f32_e32 vcc_lo, 0xc2ce8ed0, v114
	v_sub_f32_e32 v14, v14, v3
	v_sub_f32_e32 v76, v76, v113
	v_fma_f32 v78, 0x3fb8aa3b, v115, -v75
	v_rndne_f32_e32 v79, v75
	v_ldexp_f32 v73, v73, v77
	v_fmac_f32_e32 v96, 0x32a5705f, v74
	v_cvt_f16_f32_e32 v110, v110
	v_fmac_f32_e32 v78, 0x32a5705f, v115
	v_sub_f32_e32 v75, v75, v79
	s_wait_alu 0xfffd
	v_cndmask_b32_e32 v73, 0, v73, vcc_lo
	v_cmp_nlt_f32_e32 vcc_lo, 0x42b17218, v114
	v_cvt_i32_f32_e32 v79, v79
	v_add_f32_e32 v76, v76, v96
	v_cvt_f16_f32_e32 v111, v111
	v_cvt_f16_f32_e32 v112, v112
	s_wait_alu 0xfffd
	v_cndmask_b32_e32 v73, 0x7f800000, v73, vcc_lo
	v_add_f32_e32 v75, v75, v78
	v_cmp_ngt_f32_e32 vcc_lo, 0xc2ce8ed0, v115
	v_exp_f32_e32 v76, v76
	v_sub_f32_e32 v13, v13, v3
	v_sub_f32_e32 v12, v12, v3
	v_exp_f32_e32 v75, v75
	s_delay_alu instid0(TRANS32_DEP_1) | instskip(SKIP_2) | instid1(VALU_DEP_2)
	v_ldexp_f32 v75, v75, v79
	v_sub_f32_e32 v79, v95, v2
	s_wait_alu 0xfffd
	v_cndmask_b32_e32 v75, 0, v75, vcc_lo
	v_cmp_ngt_f32_e32 vcc_lo, 0xc2ce8ed0, v74
	v_mul_f32_e32 v117, 0x3fb8aa3b, v85
	s_delay_alu instid0(VALU_DEP_1) | instskip(SKIP_1) | instid1(VALU_DEP_1)
	v_fma_f32 v77, 0x3fb8aa3b, v85, -v117
	v_rndne_f32_e32 v78, v117
	v_dual_fmac_f32 v77, 0x32a5705f, v85 :: v_dual_sub_f32 v96, v117, v78
	v_cvt_i32_f32_e32 v78, v78
	s_delay_alu instid0(VALU_DEP_2) | instskip(SKIP_2) | instid1(VALU_DEP_2)
	v_add_f32_e32 v77, v96, v77
	v_cvt_i32_f32_e32 v96, v113
	v_cvt_f16_f32_e32 v113, v10
	v_ldexp_f32 v76, v76, v96
	s_wait_alu 0xfffd
	s_delay_alu instid0(VALU_DEP_1)
	v_cndmask_b32_e32 v76, 0, v76, vcc_lo
	v_cmp_nlt_f32_e32 vcc_lo, 0x42b17218, v115
	s_wait_alu 0xfffd
	v_cndmask_b32_e32 v75, 0x7f800000, v75, vcc_lo
	v_cmp_nlt_f32_e32 vcc_lo, 0x42b17218, v74
	s_wait_alu 0xfffd
	v_cndmask_b32_e32 v74, 0x7f800000, v76, vcc_lo
	v_exp_f32_e32 v77, v77
	v_cmp_ngt_f32_e32 vcc_lo, 0xc2ce8ed0, v85
	s_delay_alu instid0(TRANS32_DEP_1) | instskip(SKIP_3) | instid1(VALU_DEP_3)
	v_ldexp_f32 v77, v77, v78
	v_mul_f32_e32 v76, 0x3fb8aa3b, v79
	v_cvt_f16_f32_e32 v78, v74
	s_wait_alu 0xfffd
	v_cndmask_b32_e32 v77, 0, v77, vcc_lo
	s_delay_alu instid0(VALU_DEP_3) | instskip(SKIP_3) | instid1(VALU_DEP_4)
	v_rndne_f32_e32 v96, v76
	v_fma_f32 v95, 0x3fb8aa3b, v79, -v76
	v_cmp_nlt_f32_e32 vcc_lo, 0x42b17218, v85
	v_and_b32_e32 v78, 0xffff, v78
	v_sub_f32_e32 v76, v76, v96
	v_add_f32_e32 v10, v10, v73
	s_wait_alu 0xfffd
	v_cndmask_b32_e32 v77, 0x7f800000, v77, vcc_lo
	v_mul_u32_u24_e32 v85, 0x10001, v78
	v_sub_f32_e32 v78, v94, v2
	v_cvt_f16_f32_e32 v73, v73
	v_add_f32_e32 v10, v75, v10
	s_delay_alu instid0(VALU_DEP_4) | instskip(SKIP_2) | instid1(VALU_DEP_4)
	v_pk_mul_f16 v114, v68, v85
	v_cvt_i32_f32_e32 v68, v96
	v_pk_mul_f16 v115, v65, v85
	v_dual_add_f32 v10, v77, v10 :: v_dual_fmac_f32 v95, 0x32a5705f, v79
	v_pk_mul_f16 v94, v69, v85
	v_pk_mul_f16 v117, v66, v85
	v_pk_mul_f16 v96, v70, v85
	s_delay_alu instid0(VALU_DEP_4)
	v_fmac_f32_e32 v10, v84, v74
	v_add_f32_e32 v76, v76, v95
	v_pk_mul_f16 v84, v72, v85
	v_cmp_ngt_f32_e32 vcc_lo, 0xc2ce8ed0, v79
	v_pk_mul_f16 v95, v71, v85
	v_cvt_f16_f32_e32 v75, v75
	v_exp_f32_e32 v72, v76
	v_cvt_f16_f32_e32 v77, v77
	s_delay_alu instid0(TRANS32_DEP_1) | instskip(SKIP_1) | instid1(VALU_DEP_1)
	v_ldexp_f32 v65, v72, v68
	s_wait_alu 0xfffd
	v_dual_mul_f32 v74, 0x3fb8aa3b, v78 :: v_dual_cndmask_b32 v65, 0, v65
	s_delay_alu instid0(VALU_DEP_1) | instskip(SKIP_4) | instid1(VALU_DEP_4)
	v_fma_f32 v69, 0x3fb8aa3b, v78, -v74
	v_rndne_f32_e32 v71, v74
	v_cmp_nlt_f32_e32 vcc_lo, 0x42b17218, v79
	v_sub_f32_e32 v66, v93, v2
	v_sub_f32_e32 v79, v92, v2
	v_dual_fmac_f32 v69, 0x32a5705f, v78 :: v_dual_sub_f32 v68, v74, v71
	s_wait_alu 0xfffd
	v_cndmask_b32_e32 v65, 0x7f800000, v65, vcc_lo
	s_delay_alu instid0(VALU_DEP_3) | instskip(SKIP_2) | instid1(VALU_DEP_3)
	v_dual_mul_f32 v70, 0x3fb8aa3b, v66 :: v_dual_mul_f32 v93, 0x3fb8aa3b, v79
	v_cvt_i32_f32_e32 v71, v71
	v_dual_add_f32 v68, v68, v69 :: v_dual_sub_f32 v69, v83, v2
	v_fma_f32 v74, 0x3fb8aa3b, v66, -v70
	v_rndne_f32_e32 v76, v70
	v_cmp_ngt_f32_e32 vcc_lo, 0xc2ce8ed0, v78
	s_delay_alu instid0(VALU_DEP_4) | instskip(SKIP_1) | instid1(VALU_DEP_1)
	v_exp_f32_e32 v68, v68
	v_mul_f32_e32 v72, 0x3fb8aa3b, v69
	v_fma_f32 v83, 0x3fb8aa3b, v69, -v72
	v_rndne_f32_e32 v92, v72
	v_fmac_f32_e32 v74, 0x32a5705f, v66
	s_delay_alu instid0(TRANS32_DEP_1) | instskip(SKIP_4) | instid1(VALU_DEP_3)
	v_ldexp_f32 v68, v68, v71
	v_fma_f32 v71, 0x3fb8aa3b, v79, -v93
	v_dual_sub_f32 v70, v70, v76 :: v_dual_fmac_f32 v83, 0x32a5705f, v69
	v_cvt_i32_f32_e32 v76, v76
	s_wait_alu 0xfffd
	v_dual_cndmask_b32 v68, 0, v68 :: v_dual_fmac_f32 v71, 0x32a5705f, v79
	s_delay_alu instid0(VALU_DEP_3)
	v_add_f32_e32 v70, v70, v74
	v_rndne_f32_e32 v74, v93
	v_sub_f32_e32 v72, v72, v92
	v_cmp_nlt_f32_e32 vcc_lo, 0x42b17218, v78
	v_cvt_f16_f32_e32 v78, v65
	s_wait_alu 0xfffd
	v_cndmask_b32_e32 v68, 0x7f800000, v68, vcc_lo
	v_dual_add_f32 v72, v72, v83 :: v_dual_sub_f32 v83, v93, v74
	v_cmp_ngt_f32_e32 vcc_lo, 0xc2ce8ed0, v66
	v_cvt_i32_f32_e32 v74, v74
	s_delay_alu instid0(VALU_DEP_4) | instskip(NEXT) | instid1(VALU_DEP_4)
	v_add_f32_e32 v65, v65, v68
	v_exp_f32_e32 v72, v72
	v_add_f32_e32 v71, v83, v71
	v_exp_f32_e32 v70, v70
	v_cvt_i32_f32_e32 v83, v92
	s_delay_alu instid0(VALU_DEP_2)
	v_exp_f32_e32 v71, v71
	s_delay_alu instid0(TRANS32_DEP_3) | instid1(VALU_DEP_1)
	v_ldexp_f32 v72, v72, v83
	s_delay_alu instid0(TRANS32_DEP_2) | instskip(SKIP_1) | instid1(VALU_DEP_1)
	v_ldexp_f32 v70, v70, v76
	s_wait_alu 0xfffd
	v_cndmask_b32_e32 v70, 0, v70, vcc_lo
	v_cmp_ngt_f32_e32 vcc_lo, 0xc2ce8ed0, v69
	s_wait_alu 0xfffd
	v_cndmask_b32_e32 v72, 0, v72, vcc_lo
	v_cmp_nlt_f32_e32 vcc_lo, 0x42b17218, v66
	s_wait_alu 0xfffd
	v_cndmask_b32_e32 v66, 0x7f800000, v70, vcc_lo
	v_cmp_nlt_f32_e32 vcc_lo, 0x42b17218, v69
	v_ldexp_f32 v70, v71, v74
	s_delay_alu instid0(VALU_DEP_3)
	v_add_f32_e32 v65, v66, v65
	s_wait_alu 0xfffd
	v_cndmask_b32_e32 v69, 0x7f800000, v72, vcc_lo
	v_mul_f32_e32 v76, 0x3fb8aa3b, v14
	v_cmp_ngt_f32_e32 vcc_lo, 0xc2ce8ed0, v79
	v_cvt_f16_f32_e32 v68, v68
	s_delay_alu instid0(VALU_DEP_4) | instskip(NEXT) | instid1(VALU_DEP_4)
	v_cvt_f16_f32_e32 v74, v69
	v_fma_f32 v71, 0x3fb8aa3b, v14, -v76
	v_rndne_f32_e32 v72, v76
	s_delay_alu instid0(VALU_DEP_1) | instskip(NEXT) | instid1(VALU_DEP_1)
	v_dual_fmac_f32 v71, 0x32a5705f, v14 :: v_dual_sub_f32 v76, v76, v72
	v_add_f32_e32 v71, v76, v71
	v_sub_f32_e32 v76, v11, v3
	s_wait_alu 0xfffd
	v_cndmask_b32_e32 v70, 0, v70, vcc_lo
	v_cmp_nlt_f32_e32 vcc_lo, 0x42b17218, v79
	s_wait_alu 0xfffd
	s_delay_alu instid0(VALU_DEP_2) | instskip(SKIP_1) | instid1(VALU_DEP_2)
	v_cndmask_b32_e32 v70, 0x7f800000, v70, vcc_lo
	v_cmp_ngt_f32_e32 vcc_lo, 0xc2ce8ed0, v14
	v_dual_add_f32 v11, v70, v65 :: v_dual_and_b32 v74, 0xffff, v74
	v_exp_f32_e32 v65, v71
	s_delay_alu instid0(VALU_DEP_1) | instskip(SKIP_1) | instid1(VALU_DEP_3)
	v_mul_u32_u24_e32 v83, 0x10001, v74
	v_mul_f32_e32 v71, 0x3fb8aa3b, v76
	v_fmac_f32_e32 v11, v82, v69
	s_delay_alu instid0(VALU_DEP_3) | instskip(SKIP_1) | instid1(VALU_DEP_4)
	v_pk_mul_f16 v82, v63, v83
	v_cvt_i32_f32_e32 v63, v72
	v_fma_f32 v69, 0x3fb8aa3b, v76, -v71
	v_rndne_f32_e32 v72, v71
	v_pk_mul_f16 v92, v62, v83
	v_sub_f32_e32 v62, v81, v3
	v_ldexp_f32 v63, v65, v63
	v_fmac_f32_e32 v69, 0x32a5705f, v76
	v_sub_f32_e32 v65, v71, v72
	v_mul_f32_e32 v71, 0x3fb8aa3b, v13
	v_mul_f32_e32 v93, 0x3fb8aa3b, v62
	s_wait_alu 0xfffd
	v_cndmask_b32_e32 v63, 0, v63, vcc_lo
	v_cmp_nlt_f32_e32 vcc_lo, 0x42b17218, v14
	v_add_f32_e32 v65, v65, v69
	v_mul_f32_e32 v69, 0x3fb8aa3b, v12
	v_fma_f32 v118, 0x3fb8aa3b, v62, -v93
	v_rndne_f32_e32 v81, v71
	v_fma_f32 v79, 0x3fb8aa3b, v13, -v71
	v_exp_f32_e32 v14, v65
	v_rndne_f32_e32 v65, v69
	s_wait_alu 0xfffd
	v_cndmask_b32_e32 v74, 0x7f800000, v63, vcc_lo
	v_fma_f32 v63, 0x3fb8aa3b, v12, -v69
	v_fmac_f32_e32 v118, 0x32a5705f, v62
	v_cmp_ngt_f32_e32 vcc_lo, 0xc2ce8ed0, v76
	v_sub_f32_e32 v69, v69, v65
	v_cvt_i32_f32_e32 v65, v65
	v_fmac_f32_e32 v63, 0x32a5705f, v12
	v_rndne_f32_e32 v124, v93
	v_fmac_f32_e32 v79, 0x32a5705f, v13
	v_cvt_f16_f32_e32 v66, v66
	v_cvt_f16_f32_e32 v70, v70
	v_add_f32_e32 v63, v69, v63
	v_cvt_i32_f32_e32 v69, v72
	v_sub_f32_e32 v72, v93, v124
	s_delay_alu instid0(VALU_DEP_2) | instskip(SKIP_1) | instid1(VALU_DEP_1)
	v_ldexp_f32 v14, v14, v69
	s_wait_alu 0xfffd
	v_dual_sub_f32 v71, v71, v81 :: v_dual_cndmask_b32 v14, 0, v14
	v_cmp_nlt_f32_e32 vcc_lo, 0x42b17218, v76
	s_wait_alu 0xfffd
	s_delay_alu instid0(VALU_DEP_2) | instskip(SKIP_2) | instid1(TRANS32_DEP_1)
	v_cndmask_b32_e32 v76, 0x7f800000, v14, vcc_lo
	v_exp_f32_e32 v63, v63
	v_cmp_ngt_f32_e32 vcc_lo, 0xc2ce8ed0, v12
	v_ldexp_f32 v63, v63, v65
	v_cvt_i32_f32_e32 v65, v124
	s_wait_alu 0xfffd
	s_delay_alu instid0(VALU_DEP_2) | instskip(SKIP_3) | instid1(VALU_DEP_2)
	v_cndmask_b32_e32 v63, 0, v63, vcc_lo
	v_cmp_ngt_f32_e32 vcc_lo, 0xc2ce8ed0, v13
	v_add_f32_e32 v71, v71, v79
	v_cvt_f16_f32_e32 v79, v74
	v_exp_f32_e32 v69, v71
	v_add_f32_e32 v71, v72, v118
	v_cvt_i32_f32_e32 v72, v81
	s_delay_alu instid0(TRANS32_DEP_1) | instid1(VALU_DEP_1)
	v_ldexp_f32 v14, v69, v72
	s_wait_alu 0xfffd
	s_delay_alu instid0(VALU_DEP_1)
	v_cndmask_b32_e32 v14, 0, v14, vcc_lo
	v_cmp_nlt_f32_e32 vcc_lo, 0x42b17218, v12
	s_wait_alu 0xfffd
	v_cndmask_b32_e32 v72, 0x7f800000, v63, vcc_lo
	v_exp_f32_e32 v71, v71
	v_cmp_nlt_f32_e32 vcc_lo, 0x42b17218, v13
	v_pack_b32_f16 v13, v78, v79
	s_delay_alu instid0(VALU_DEP_3)
	v_cvt_f16_f32_e32 v63, v72
	s_wait_alu 0xfffd
	v_cndmask_b32_e32 v81, 0x7f800000, v14, vcc_lo
	v_cmp_ngt_f32_e32 vcc_lo, 0xc2ce8ed0, v62
	v_cvt_f16_f32_e32 v14, v76
	v_add_nc_u32_e32 v69, v42, v33
	s_delay_alu instid0(TRANS32_DEP_1) | instskip(SKIP_2) | instid1(VALU_DEP_2)
	v_ldexp_f32 v65, v71, v65
	v_pack_b32_f16 v63, v66, v63
	s_wait_alu 0xfffd
	v_cndmask_b32_e32 v12, 0, v65, vcc_lo
	v_cmp_nlt_f32_e32 vcc_lo, 0x42b17218, v62
	v_cvt_f16_f32_e32 v65, v81
	v_pack_b32_f16 v62, v111, v75
	s_wait_alu 0xfffd
	v_cndmask_b32_e32 v93, 0x7f800000, v12, vcc_lo
	v_pack_b32_f16 v12, v15, v113
	v_pack_b32_f16 v15, v68, v14
	;; [unrolled: 1-line block ×5, first 2 shown]
	v_cvt_f16_f32_e32 v73, v93
	ds_store_2addr_b64 v69, v[12:13], v[14:15] offset1:32
	ds_store_2addr_b64 v69, v[62:63], v[65:66] offset0:64 offset1:96
	s_wait_loadcnt 0x3
	ds_store_b128 v43, v[88:91]
	s_wait_loadcnt 0x2
	ds_store_b128 v44, v[97:100]
	;; [unrolled: 2-line block ×4, first 2 shown]
	s_wait_dscnt 0x0
	s_barrier_signal -1
	s_barrier_wait -1
	global_inv scope:SCOPE_SE
	ds_load_b128 v[68:71], v42
	v_and_b32_e32 v13, 0xffff, v73
	v_pk_mul_f16 v110, v61, v83
	v_pk_mul_f16 v65, v56, v83
	;; [unrolled: 1-line block ×3, first 2 shown]
	v_add_nc_u32_e32 v59, 0x9000, v33
	v_mul_u32_u24_e32 v13, 0x10001, v13
	v_pk_mul_f16 v15, v60, v83
	v_pk_mul_f16 v66, v57, v83
	s_delay_alu instid0(VALU_DEP_3)
	v_pk_mul_f16 v88, v51, v13
	v_pk_mul_f16 v89, v53, v13
	;; [unrolled: 1-line block ×4, first 2 shown]
	ds_load_b128 v[50:53], v42 offset:16
	v_add_f32_e32 v61, v74, v76
	v_pk_mul_f16 v49, v49, v13
	s_wait_dscnt 0x1
	v_and_b32_e32 v56, 0xffff, v69
	s_delay_alu instid0(VALU_DEP_3) | instskip(SKIP_4) | instid1(VALU_DEP_3)
	v_add_f32_e32 v12, v72, v61
	ds_load_2addr_b64 v[60:63], v59 offset1:32
	v_add_f32_e32 v12, v81, v12
	v_pk_mul_f16 v81, v55, v13
	v_lshrrev_b32_e32 v55, 16, v68
	v_fmac_f32_e32 v12, v80, v93
	v_pk_mul_f16 v80, v54, v13
	v_and_b32_e32 v54, 0xffff, v68
	v_pk_mul_f16 v13, v48, v13
	v_lshrrev_b32_e32 v48, 16, v69
	v_mul_u32_u24_e32 v69, 0x10001, v55
	v_mul_u32_u24_e32 v93, 0x10001, v56
	;; [unrolled: 1-line block ×3, first 2 shown]
	ds_load_2addr_b64 v[54:57], v59 offset0:64 offset1:96
	v_mul_u32_u24_e32 v48, 0x10001, v48
	ds_load_b128 v[72:75], v42 offset:32
	ds_load_b128 v[76:79], v42 offset:48
	s_wait_dscnt 0x3
	v_pk_mul_f16 v98, v60, v69
	v_pk_mul_f16 v97, v60, v68
	;; [unrolled: 1-line block ×3, first 2 shown]
	v_pk_fma_f16 v80, v60, v48, v80
	v_pk_fma_f16 v84, v61, v69, v84
	;; [unrolled: 1-line block ×16, first 2 shown]
	s_wait_dscnt 0x2
	v_pk_fma_f16 v14, v54, v93, v14
	ds_load_2addr_b64 v[60:63], v59 offset0:128 offset1:160
	v_pk_fma_f16 v15, v55, v93, v15
	v_pk_fma_f16 v104, v56, v93, v65
	;; [unrolled: 1-line block ×3, first 2 shown]
	ds_load_2addr_b64 v[64:67], v59 offset0:192 offset1:224
	v_pk_fma_f16 v100, v54, v68, v120
	v_pk_fma_f16 v101, v54, v69, v114
	;; [unrolled: 1-line block ×9, first 2 shown]
	v_and_b32_e32 v49, 0xffff, v70
	v_lshrrev_b32_e32 v55, 16, v70
	v_and_b32_e32 v56, 0xffff, v71
	v_lshrrev_b32_e32 v70, 16, v71
	v_pk_fma_f16 v68, v57, v68, v123
	v_mul_u32_u24_e32 v71, 0x10001, v49
	v_mul_u32_u24_e32 v106, 0x10001, v55
	;; [unrolled: 1-line block ×4, first 2 shown]
	v_add_nc_u32_e32 v49, 0x9800, v33
	v_pk_fma_f16 v69, v57, v69, v117
	v_pk_fma_f16 v13, v57, v48, v13
	s_wait_dscnt 0x1
	v_pk_fma_f16 v48, v60, v71, v97
	v_pk_fma_f16 v97, v63, v71, v98
	;; [unrolled: 1-line block ×3, first 2 shown]
	s_wait_dscnt 0x0
	v_pk_fma_f16 v99, v64, v71, v100
	v_pk_fma_f16 v100, v64, v106, v101
	;; [unrolled: 1-line block ×4, first 2 shown]
	ds_load_2addr_b64 v[54:57], v49 offset1:32
	v_pk_fma_f16 v85, v60, v106, v85
	v_pk_fma_f16 v58, v60, v107, v58
	v_pk_fma_f16 v80, v60, v70, v80
	v_pk_fma_f16 v83, v61, v71, v83
	v_pk_fma_f16 v84, v61, v106, v84
	v_pk_fma_f16 v82, v61, v107, v82
	v_pk_fma_f16 v81, v61, v70, v81
	v_pk_fma_f16 v87, v62, v71, v87
	v_pk_fma_f16 v94, v62, v106, v94
	v_pk_fma_f16 v92, v62, v107, v92
	v_pk_fma_f16 v88, v62, v70, v88
	v_pk_fma_f16 v95, v63, v106, v95
	v_pk_fma_f16 v89, v63, v70, v89
	v_pk_fma_f16 v90, v65, v71, v90
	v_pk_fma_f16 v96, v65, v106, v96
	v_pk_fma_f16 v15, v65, v107, v15
	v_pk_fma_f16 v65, v65, v70, v91
	v_pk_fma_f16 v91, v66, v71, v102
	v_pk_fma_f16 v101, v66, v106, v103
	v_pk_fma_f16 v68, v67, v71, v68
	v_pk_fma_f16 v71, v67, v107, v93
	v_and_b32_e32 v93, 0xffff, v50
	v_lshrrev_b32_e32 v50, 16, v50
	v_and_b32_e32 v103, 0xffff, v51
	v_lshrrev_b32_e32 v51, 16, v51
	ds_load_2addr_b64 v[60:63], v49 offset0:64 offset1:96
	v_mul_u32_u24_e32 v93, 0x10001, v93
	v_mul_u32_u24_e32 v50, 0x10001, v50
	;; [unrolled: 1-line block ×4, first 2 shown]
	v_pk_fma_f16 v102, v66, v107, v104
	v_pk_fma_f16 v66, v66, v70, v105
	;; [unrolled: 1-line block ×3, first 2 shown]
	s_wait_dscnt 0x1
	v_pk_fma_f16 v48, v54, v93, v48
	v_pk_fma_f16 v70, v54, v50, v85
	v_pk_fma_f16 v58, v54, v103, v58
	v_pk_fma_f16 v80, v54, v51, v80
	v_pk_fma_f16 v83, v55, v93, v83
	v_pk_fma_f16 v84, v55, v50, v84
	v_pk_fma_f16 v82, v55, v103, v82
	v_pk_fma_f16 v81, v55, v51, v81
	v_pk_fma_f16 v85, v56, v93, v87
	v_pk_fma_f16 v87, v56, v50, v94
	v_pk_fma_f16 v92, v56, v103, v92
	v_pk_fma_f16 v88, v56, v51, v88
	v_pk_fma_f16 v94, v57, v93, v97
	v_pk_fma_f16 v95, v57, v50, v95
	v_pk_fma_f16 v97, v57, v103, v98
	v_pk_fma_f16 v89, v57, v51, v89
	ds_load_2addr_b64 v[54:57], v49 offset0:128 offset1:160
	v_pk_fma_f16 v69, v67, v106, v69
	s_wait_dscnt 0x1
	v_pk_fma_f16 v98, v60, v93, v99
	v_pk_fma_f16 v99, v60, v50, v100
	;; [unrolled: 1-line block ×14, first 2 shown]
	v_and_b32_e32 v50, 0xffff, v52
	v_lshrrev_b32_e32 v52, 16, v52
	v_and_b32_e32 v93, 0xffff, v53
	v_lshrrev_b32_e32 v53, 16, v53
	ds_load_2addr_b64 v[64:67], v49 offset0:192 offset1:224
	v_pk_fma_f16 v71, v63, v103, v71
	v_mul_u32_u24_e32 v102, 0x10001, v50
	v_mul_u32_u24_e32 v103, 0x10001, v52
	;; [unrolled: 1-line block ×4, first 2 shown]
	v_add_nc_u32_e32 v50, 0xa000, v33
	v_pk_fma_f16 v13, v63, v51, v13
	s_wait_dscnt 0x1
	v_pk_fma_f16 v48, v54, v102, v48
	v_pk_fma_f16 v63, v54, v103, v70
	;; [unrolled: 1-line block ×4, first 2 shown]
	ds_load_2addr_b64 v[51:54], v50 offset1:32
	v_pk_fma_f16 v83, v55, v102, v83
	v_pk_fma_f16 v84, v55, v103, v84
	;; [unrolled: 1-line block ×12, first 2 shown]
	ds_load_2addr_b64 v[55:58], v50 offset0:64 offset1:96
	s_wait_dscnt 0x2
	v_pk_fma_f16 v98, v64, v102, v98
	v_pk_fma_f16 v99, v64, v103, v99
	;; [unrolled: 1-line block ×15, first 2 shown]
	v_and_b32_e32 v71, 0xffff, v72
	v_lshrrev_b32_e32 v72, 16, v72
	v_and_b32_e32 v93, 0xffff, v73
	v_lshrrev_b32_e32 v73, 16, v73
	v_pk_fma_f16 v13, v67, v104, v13
	v_mul_u32_u24_e32 v71, 0x10001, v71
	v_mul_u32_u24_e32 v72, 0x10001, v72
	;; [unrolled: 1-line block ×4, first 2 shown]
	s_wait_dscnt 0x1
	v_pk_fma_f16 v48, v51, v71, v48
	v_pk_fma_f16 v67, v51, v72, v63
	v_pk_fma_f16 v70, v51, v93, v70
	v_pk_fma_f16 v80, v51, v73, v80
	v_pk_fma_f16 v83, v52, v71, v83
	v_pk_fma_f16 v84, v52, v72, v84
	v_pk_fma_f16 v82, v52, v93, v82
	v_pk_fma_f16 v81, v52, v73, v81
	v_pk_fma_f16 v85, v53, v71, v85
	v_pk_fma_f16 v87, v53, v72, v87
	v_pk_fma_f16 v92, v53, v93, v92
	v_pk_fma_f16 v88, v53, v73, v88
	v_pk_fma_f16 v94, v54, v71, v94
	v_pk_fma_f16 v95, v54, v72, v95
	v_pk_fma_f16 v97, v54, v93, v97
	v_pk_fma_f16 v89, v54, v73, v89
	ds_load_2addr_b64 v[51:54], v50 offset0:128 offset1:160
	s_wait_dscnt 0x1
	v_pk_fma_f16 v98, v55, v71, v98
	v_pk_fma_f16 v99, v55, v72, v99
	;; [unrolled: 1-line block ×12, first 2 shown]
	ds_load_2addr_b64 v[60:63], v50 offset0:192 offset1:224
	v_pk_fma_f16 v66, v58, v71, v66
	v_pk_fma_f16 v68, v58, v72, v68
	v_and_b32_e32 v71, 0xffff, v74
	v_lshrrev_b32_e32 v72, 16, v74
	v_and_b32_e32 v74, 0xffff, v75
	v_lshrrev_b32_e32 v75, 16, v75
	v_pk_fma_f16 v69, v58, v93, v69
	v_mul_u32_u24_e32 v71, 0x10001, v71
	v_mul_u32_u24_e32 v72, 0x10001, v72
	;; [unrolled: 1-line block ×4, first 2 shown]
	v_pk_fma_f16 v13, v58, v73, v13
	s_wait_dscnt 0x1
	v_pk_fma_f16 v48, v51, v71, v48
	v_pk_fma_f16 v58, v51, v72, v67
	;; [unrolled: 1-line block ×4, first 2 shown]
	v_add_nc_u32_e32 v51, 0xa800, v33
	v_pk_fma_f16 v80, v52, v71, v83
	v_pk_fma_f16 v83, v52, v72, v84
	;; [unrolled: 1-line block ×12, first 2 shown]
	s_wait_dscnt 0x0
	v_pk_fma_f16 v95, v60, v71, v98
	v_pk_fma_f16 v97, v60, v72, v99
	;; [unrolled: 1-line block ×4, first 2 shown]
	ds_load_2addr_b64 v[52:55], v51 offset1:32
	v_pk_fma_f16 v98, v61, v71, v64
	v_pk_fma_f16 v90, v61, v72, v90
	;; [unrolled: 1-line block ×9, first 2 shown]
	ds_load_2addr_b64 v[64:67], v51 offset0:64 offset1:96
	v_pk_fma_f16 v68, v63, v72, v68
	v_pk_fma_f16 v69, v63, v74, v69
	v_and_b32_e32 v71, 0xffff, v76
	v_lshrrev_b32_e32 v72, 16, v76
	v_and_b32_e32 v74, 0xffff, v77
	v_lshrrev_b32_e32 v76, 16, v77
	v_pk_fma_f16 v13, v63, v75, v13
	v_mul_u32_u24_e32 v71, 0x10001, v71
	v_mul_u32_u24_e32 v72, 0x10001, v72
	;; [unrolled: 1-line block ×4, first 2 shown]
	s_wait_dscnt 0x1
	v_pk_fma_f16 v48, v52, v71, v48
	v_pk_fma_f16 v58, v52, v72, v58
	;; [unrolled: 1-line block ×16, first 2 shown]
	ds_load_2addr_b64 v[52:55], v51 offset0:128 offset1:160
	s_wait_dscnt 0x1
	v_pk_fma_f16 v159, v64, v76, v60
	v_pk_fma_f16 v164, v66, v71, v61
	;; [unrolled: 1-line block ×3, first 2 shown]
	ds_load_2addr_b64 v[60:63], v51 offset0:192 offset1:224
	v_pk_fma_f16 v167, v66, v76, v57
	v_and_b32_e32 v57, 0xffff, v79
	v_pk_fma_f16 v93, v64, v71, v95
	v_pk_fma_f16 v94, v64, v72, v97
	;; [unrolled: 1-line block ×3, first 2 shown]
	v_lshrrev_b32_e32 v64, 16, v79
	v_pk_fma_f16 v163, v65, v76, v56
	v_lshrrev_b32_e32 v56, 16, v78
	v_pk_fma_f16 v162, v65, v74, v15
	v_and_b32_e32 v15, 0xffff, v78
	v_mul_u32_u24_e32 v173, 0x10001, v57
	v_mul_u32_u24_e32 v174, 0x10001, v64
	;; [unrolled: 1-line block ×3, first 2 shown]
	s_wait_alu 0xfffe
	v_add_co_u32 v56, vcc_lo, s26, v27
	v_mul_u32_u24_e32 v171, 0x10001, v15
	s_wait_dscnt 0x1
	v_pk_fma_f16 v185, v54, v173, v84
	s_wait_alu 0xfffd
	v_add_co_ci_u32_e64 v57, null, s27, v28, vcc_lo
	v_add_co_u32 v84, vcc_lo, s26, v29
	v_pk_fma_f16 v186, v54, v174, v85
	s_wait_alu 0xfffd
	v_add_co_ci_u32_e64 v85, null, s27, v30, vcc_lo
	v_add_co_u32 v56, vcc_lo, v56, v86
	v_pk_fma_f16 v175, v67, v76, v13
	v_pk_fma_f16 v176, v52, v171, v48
	v_add_nc_u32_e32 v48, 0xb000, v33
	s_wait_dscnt 0x0
	v_pk_fma_f16 v193, v60, v173, v14
	v_add_nc_u32_e32 v14, 0xc000, v33
	v_add_nc_u32_e32 v13, 0xc800, v33
	s_wait_alu 0xfffd
	v_add_co_ci_u32_e64 v57, null, 0, v57, vcc_lo
	v_add_co_u32 v84, vcc_lo, v84, v86
	v_add_nc_u32_e32 v15, 0xb800, v33
	s_wait_alu 0xfffd
	v_add_co_ci_u32_e64 v85, null, 0, v85, vcc_lo
	v_pk_fma_f16 v160, v65, v71, v98
	v_pk_fma_f16 v161, v65, v72, v90
	;; [unrolled: 1-line block ×21, first 2 shown]
	ds_load_2addr_b64 v[52:55], v48 offset1:32
	ds_load_2addr_b64 v[64:67], v48 offset0:64 offset1:96
	ds_load_2addr_b64 v[68:71], v48 offset0:128 offset1:160
	;; [unrolled: 1-line block ×3, first 2 shown]
	ds_load_2addr_b64 v[76:79], v15 offset1:32
	ds_load_2addr_b64 v[80:83], v15 offset0:64 offset1:96
	ds_load_b128 v[87:90], v42 offset:64
	ds_load_b128 v[91:94], v42 offset:80
	ds_load_2addr_b64 v[95:98], v15 offset0:128 offset1:160
	ds_load_2addr_b64 v[99:102], v15 offset0:192 offset1:224
	ds_load_2addr_b64 v[103:106], v14 offset1:32
	ds_load_2addr_b64 v[107:110], v14 offset0:64 offset1:96
	ds_load_2addr_b64 v[111:114], v14 offset0:128 offset1:160
	;; [unrolled: 1-line block ×3, first 2 shown]
	ds_load_2addr_b64 v[119:122], v13 offset1:32
	ds_load_2addr_b64 v[123:126], v13 offset0:64 offset1:96
	ds_load_b128 v[127:130], v42 offset:96
	ds_load_b128 v[131:134], v42 offset:112
	ds_load_2addr_b64 v[135:138], v13 offset0:128 offset1:160
	ds_load_2addr_b64 v[139:142], v13 offset0:192 offset1:224
	s_wait_loadcnt_dscnt 0x0
	s_barrier_signal -1
	s_barrier_wait -1
	global_inv scope:SCOPE_SE
	s_clause 0x3
	global_load_b128 v[143:146], v[56:57], off
	global_load_b128 v[147:150], v[56:57], off offset:512
	global_load_b128 v[151:154], v[84:85], off
	global_load_b128 v[155:158], v[84:85], off offset:512
	v_pk_fma_f16 v56, v60, v174, v159
	v_pk_fma_f16 v57, v61, v171, v160
	v_pk_fma_f16 v60, v61, v172, v161
	v_pk_fma_f16 v84, v61, v173, v162
	v_pk_fma_f16 v61, v61, v174, v163
	v_pk_fma_f16 v85, v62, v171, v164
	v_and_b32_e32 v163, 0xffff, v87
	v_lshrrev_b32_e32 v87, 16, v87
	v_and_b32_e32 v164, 0xffff, v88
	v_lshrrev_b32_e32 v88, 16, v88
	v_pk_fma_f16 v159, v62, v172, v165
	v_pk_fma_f16 v160, v62, v173, v166
	v_mul_u32_u24_e32 v163, 0x10001, v163
	v_mul_u32_u24_e32 v87, 0x10001, v87
	;; [unrolled: 1-line block ×4, first 2 shown]
	v_pk_fma_f16 v62, v62, v174, v167
	v_pk_fma_f16 v161, v63, v171, v168
	;; [unrolled: 1-line block ×19, first 2 shown]
	v_and_b32_e32 v159, 0xffff, v89
	v_lshrrev_b32_e32 v89, 16, v89
	v_and_b32_e32 v160, 0xffff, v90
	v_lshrrev_b32_e32 v90, 16, v90
	v_pk_fma_f16 v165, v63, v173, v170
	v_pk_fma_f16 v63, v63, v174, v175
	;; [unrolled: 1-line block ×15, first 2 shown]
	v_mul_u32_u24_e32 v159, 0x10001, v159
	v_mul_u32_u24_e32 v89, 0x10001, v89
	;; [unrolled: 1-line block ×4, first 2 shown]
	v_pk_fma_f16 v66, v67, v163, v161
	v_pk_fma_f16 v161, v67, v164, v165
	v_pk_fma_f16 v63, v67, v88, v63
	v_pk_fma_f16 v67, v68, v159, v166
	v_pk_fma_f16 v58, v68, v89, v58
	v_pk_fma_f16 v88, v68, v160, v167
	v_pk_fma_f16 v52, v68, v90, v52
	v_pk_fma_f16 v68, v69, v159, v168
	v_pk_fma_f16 v162, v69, v89, v169
	v_pk_fma_f16 v163, v69, v160, v170
	v_pk_fma_f16 v53, v69, v90, v53
	v_pk_fma_f16 v69, v70, v159, v171
	v_pk_fma_f16 v164, v70, v89, v172
	v_pk_fma_f16 v165, v70, v160, v173
	v_pk_fma_f16 v54, v70, v90, v54
	v_pk_fma_f16 v70, v71, v159, v174
	v_pk_fma_f16 v166, v71, v89, v175
	v_pk_fma_f16 v167, v71, v160, v176
	v_pk_fma_f16 v55, v71, v90, v55
	v_pk_fma_f16 v71, v72, v159, v177
	v_pk_fma_f16 v168, v72, v89, v178
	v_pk_fma_f16 v169, v72, v160, v179
	v_pk_fma_f16 v56, v72, v90, v56
	v_pk_fma_f16 v57, v73, v159, v57
	v_pk_fma_f16 v60, v73, v89, v60
	v_pk_fma_f16 v64, v73, v160, v64
	v_pk_fma_f16 v61, v73, v90, v61
	v_pk_fma_f16 v65, v74, v159, v65
	v_pk_fma_f16 v72, v74, v89, v84
	v_pk_fma_f16 v73, v74, v160, v85
	v_pk_fma_f16 v62, v74, v90, v62
	v_pk_fma_f16 v74, v75, v89, v87
	v_and_b32_e32 v84, 0xffff, v91
	v_lshrrev_b32_e32 v85, 16, v91
	v_and_b32_e32 v87, 0xffff, v92
	v_lshrrev_b32_e32 v89, 16, v92
	v_pk_fma_f16 v66, v75, v159, v66
	v_mul_u32_u24_e32 v84, 0x10001, v84
	v_mul_u32_u24_e32 v85, 0x10001, v85
	;; [unrolled: 1-line block ×4, first 2 shown]
	v_pk_fma_f16 v91, v75, v160, v161
	v_pk_fma_f16 v57, v81, v84, v57
	v_pk_fma_f16 v60, v81, v85, v60
	v_pk_fma_f16 v64, v81, v87, v64
	v_pk_fma_f16 v61, v81, v89, v61
	v_lshrrev_b32_e32 v81, 16, v93
	v_pk_fma_f16 v63, v75, v90, v63
	v_pk_fma_f16 v67, v76, v84, v67
	;; [unrolled: 1-line block ×20, first 2 shown]
	v_mul_u32_u24_e32 v81, 0x10001, v81
	v_pk_fma_f16 v65, v82, v84, v65
	v_pk_fma_f16 v73, v82, v87, v73
	;; [unrolled: 1-line block ×3, first 2 shown]
	v_and_b32_e32 v82, 0xffff, v94
	v_pk_fma_f16 v58, v95, v81, v58
	v_pk_fma_f16 v76, v96, v81, v76
	;; [unrolled: 1-line block ×8, first 2 shown]
	v_lshrrev_b32_e32 v81, 16, v127
	v_pk_fma_f16 v71, v80, v84, v71
	v_pk_fma_f16 v159, v80, v87, v169
	;; [unrolled: 1-line block ×3, first 2 shown]
	v_and_b32_e32 v80, 0xffff, v93
	v_mul_u32_u24_e32 v82, 0x10001, v82
	v_mul_u32_u24_e32 v81, 0x10001, v81
	v_pk_fma_f16 v66, v83, v84, v66
	v_lshrrev_b32_e32 v84, 16, v94
	v_pk_fma_f16 v85, v83, v87, v91
	v_mul_u32_u24_e32 v80, 0x10001, v80
	v_pk_fma_f16 v87, v97, v82, v90
	v_and_b32_e32 v90, 0xffff, v128
	v_pk_fma_f16 v58, v103, v81, v58
	v_pk_fma_f16 v76, v104, v81, v76
	;; [unrolled: 1-line block ×8, first 2 shown]
	v_lshrrev_b32_e32 v81, 16, v129
	v_mul_u32_u24_e32 v84, 0x10001, v84
	v_pk_fma_f16 v63, v83, v89, v63
	v_pk_fma_f16 v67, v95, v80, v67
	v_pk_fma_f16 v75, v95, v82, v75
	v_pk_fma_f16 v68, v96, v80, v68
	v_pk_fma_f16 v83, v96, v82, v88
	v_pk_fma_f16 v69, v97, v80, v69
	v_pk_fma_f16 v70, v98, v80, v70
	v_pk_fma_f16 v88, v98, v82, v92
	v_pk_fma_f16 v71, v99, v80, v71
	v_pk_fma_f16 v89, v99, v82, v159
	v_pk_fma_f16 v57, v100, v80, v57
	v_pk_fma_f16 v64, v100, v82, v64
	v_pk_fma_f16 v65, v101, v80, v65
	v_pk_fma_f16 v73, v101, v82, v73
	v_pk_fma_f16 v66, v102, v80, v66
	v_and_b32_e32 v80, 0xffff, v127
	v_lshrrev_b32_e32 v91, 16, v128
	v_pk_fma_f16 v82, v102, v82, v85
	v_mul_u32_u24_e32 v85, 0x10001, v90
	v_mul_u32_u24_e32 v81, 0x10001, v81
	v_pk_fma_f16 v52, v95, v84, v52
	v_pk_fma_f16 v53, v96, v84, v53
	;; [unrolled: 1-line block ×7, first 2 shown]
	v_mul_u32_u24_e32 v80, 0x10001, v80
	v_mul_u32_u24_e32 v90, 0x10001, v91
	v_pk_fma_f16 v63, v102, v84, v63
	v_pk_fma_f16 v84, v105, v85, v87
	;; [unrolled: 1-line block ×4, first 2 shown]
	v_and_b32_e32 v89, 0xffff, v130
	v_lshrrev_b32_e32 v91, 16, v130
	v_pk_fma_f16 v58, v111, v81, v58
	v_pk_fma_f16 v76, v112, v81, v76
	v_pk_fma_f16 v77, v113, v81, v77
	v_pk_fma_f16 v78, v114, v81, v78
	v_pk_fma_f16 v79, v115, v81, v79
	v_pk_fma_f16 v60, v116, v81, v60
	v_pk_fma_f16 v72, v117, v81, v72
	v_pk_fma_f16 v74, v118, v81, v74
	v_lshrrev_b32_e32 v81, 16, v131
	v_pk_fma_f16 v67, v103, v80, v67
	v_pk_fma_f16 v75, v103, v85, v75
	v_pk_fma_f16 v52, v103, v90, v52
	v_pk_fma_f16 v68, v104, v80, v68
	v_pk_fma_f16 v83, v104, v85, v83
	v_pk_fma_f16 v53, v104, v90, v53
	v_pk_fma_f16 v69, v105, v80, v69
	v_pk_fma_f16 v54, v105, v90, v54
	v_pk_fma_f16 v70, v106, v80, v70
	v_pk_fma_f16 v55, v106, v90, v55
	v_pk_fma_f16 v71, v107, v80, v71
	v_pk_fma_f16 v56, v107, v90, v56
	v_pk_fma_f16 v57, v108, v80, v57
	v_pk_fma_f16 v64, v108, v85, v64
	v_pk_fma_f16 v61, v108, v90, v61
	v_pk_fma_f16 v65, v109, v80, v65
	v_pk_fma_f16 v73, v109, v85, v73
	v_pk_fma_f16 v62, v109, v90, v62
	v_pk_fma_f16 v66, v110, v80, v66
	v_and_b32_e32 v80, 0xffff, v129
	v_pk_fma_f16 v82, v110, v85, v82
	v_mul_u32_u24_e32 v85, 0x10001, v89
	v_mul_u32_u24_e32 v89, 0x10001, v91
	v_pk_fma_f16 v63, v110, v90, v63
	v_and_b32_e32 v90, 0xffff, v132
	v_lshrrev_b32_e32 v91, 16, v132
	v_mul_u32_u24_e32 v81, 0x10001, v81
	v_mul_u32_u24_e32 v80, 0x10001, v80
	v_pk_fma_f16 v75, v111, v85, v75
	v_pk_fma_f16 v52, v111, v89, v52
	;; [unrolled: 1-line block ×12, first 2 shown]
	v_mul_u32_u24_e32 v85, 0x10001, v90
	v_mul_u32_u24_e32 v90, 0x10001, v91
	v_pk_fma_f16 v58, v119, v81, v58
	v_pk_fma_f16 v76, v120, v81, v76
	;; [unrolled: 1-line block ×8, first 2 shown]
	v_lshrrev_b32_e32 v81, 16, v134
	v_pk_fma_f16 v67, v111, v80, v67
	v_pk_fma_f16 v68, v112, v80, v68
	;; [unrolled: 1-line block ×11, first 2 shown]
	v_and_b32_e32 v80, 0xffff, v131
	v_pk_fma_f16 v63, v118, v89, v63
	v_pk_fma_f16 v52, v119, v90, v52
	v_pk_fma_f16 v53, v120, v90, v53
	v_pk_fma_f16 v54, v121, v90, v54
	v_pk_fma_f16 v89, v122, v90, v55
	v_and_b32_e32 v55, 0xffff, v133
	v_mul_u32_u24_e32 v81, 0x10001, v81
	v_mul_u32_u24_e32 v80, 0x10001, v80
	v_pk_fma_f16 v75, v119, v85, v75
	v_pk_fma_f16 v83, v120, v85, v83
	;; [unrolled: 1-line block ×8, first 2 shown]
	v_lshrrev_b32_e32 v62, 16, v133
	v_pk_fma_f16 v82, v126, v85, v82
	v_mul_u32_u24_e32 v85, 0x10001, v55
	v_pk_fma_f16 v95, v135, v81, v52
	v_pk_fma_f16 v98, v136, v81, v53
	;; [unrolled: 1-line block ×3, first 2 shown]
	s_wait_loadcnt 0x3
	ds_store_b128 v43, v[143:146]
	s_wait_loadcnt 0x2
	ds_store_b128 v44, v[147:150]
	s_wait_loadcnt 0x1
	ds_store_b128 v45, v[151:154]
	s_wait_loadcnt 0x0
	ds_store_b128 v46, v[155:158]
	s_wait_dscnt 0x0
	s_barrier_signal -1
	s_barrier_wait -1
	global_inv scope:SCOPE_SE
	ds_load_b128 v[52:55], v42 offset:128
	v_pk_fma_f16 v68, v120, v80, v68
	v_pk_fma_f16 v69, v121, v80, v69
	;; [unrolled: 1-line block ×5, first 2 shown]
	v_mul_u32_u24_e32 v92, 0x10001, v62
	v_pk_fma_f16 v67, v119, v80, v67
	v_pk_fma_f16 v56, v123, v90, v56
	;; [unrolled: 1-line block ×5, first 2 shown]
	v_and_b32_e32 v80, 0xffff, v134
	v_pk_fma_f16 v90, v126, v90, v63
	v_pk_fma_f16 v96, v136, v85, v68
	;; [unrolled: 1-line block ×7, first 2 shown]
	ds_load_2addr_b64 v[60:63], v59 offset1:32
	ds_load_2addr_b64 v[68:71], v59 offset0:64 offset1:96
	v_mul_u32_u24_e32 v80, 0x10001, v80
	v_pk_fma_f16 v93, v135, v85, v67
	v_pk_fma_f16 v57, v140, v85, v57
	;; [unrolled: 1-line block ×7, first 2 shown]
	ds_load_b128 v[64:67], v42 offset:144
	s_wait_dscnt 0x3
	v_and_b32_e32 v72, 0xffff, v52
	v_lshrrev_b32_e32 v52, 16, v52
	v_and_b32_e32 v73, 0xffff, v53
	v_lshrrev_b32_e32 v53, 16, v53
	v_pk_fma_f16 v58, v135, v92, v58
	v_pk_fma_f16 v94, v135, v80, v75
	;; [unrolled: 1-line block ×16, first 2 shown]
	v_mul_u32_u24_e32 v82, 0x10001, v72
	v_mul_u32_u24_e32 v52, 0x10001, v52
	;; [unrolled: 1-line block ×4, first 2 shown]
	ds_load_b128 v[72:75], v42 offset:160
	ds_load_b128 v[76:79], v42 offset:176
	s_wait_dscnt 0x4
	v_pk_fma_f16 v93, v60, v82, v93
	v_pk_fma_f16 v58, v60, v52, v58
	;; [unrolled: 1-line block ×16, first 2 shown]
	s_wait_dscnt 0x3
	v_pk_fma_f16 v104, v68, v82, v104
	v_pk_fma_f16 v105, v68, v52, v105
	;; [unrolled: 1-line block ×6, first 2 shown]
	ds_load_2addr_b64 v[60:63], v59 offset0:128 offset1:160
	v_pk_fma_f16 v106, v69, v90, v107
	v_pk_fma_f16 v69, v69, v112, v108
	;; [unrolled: 1-line block ×9, first 2 shown]
	v_and_b32_e32 v90, 0xffff, v54
	v_lshrrev_b32_e32 v91, 16, v54
	v_and_b32_e32 v92, 0xffff, v55
	v_lshrrev_b32_e32 v110, 16, v55
	ds_load_2addr_b64 v[52:55], v59 offset0:192 offset1:224
	v_mul_u32_u24_e32 v90, 0x10001, v90
	v_mul_u32_u24_e32 v91, 0x10001, v91
	;; [unrolled: 1-line block ×4, first 2 shown]
	v_pk_fma_f16 v81, v71, v112, v81
	s_wait_dscnt 0x1
	v_pk_fma_f16 v93, v60, v90, v93
	v_pk_fma_f16 v58, v60, v91, v58
	;; [unrolled: 1-line block ×16, first 2 shown]
	s_wait_dscnt 0x0
	v_pk_fma_f16 v104, v52, v90, v104
	v_pk_fma_f16 v105, v52, v91, v105
	v_pk_fma_f16 v88, v52, v92, v88
	v_pk_fma_f16 v52, v52, v110, v56
	v_pk_fma_f16 v56, v53, v90, v57
	v_pk_fma_f16 v57, v53, v91, v68
	ds_load_2addr_b64 v[60:63], v49 offset1:32
	v_pk_fma_f16 v111, v53, v110, v69
	v_pk_fma_f16 v112, v54, v110, v70
	ds_load_2addr_b64 v[68:71], v49 offset0:64 offset1:96
	v_pk_fma_f16 v106, v53, v92, v106
	v_pk_fma_f16 v107, v54, v90, v107
	;; [unrolled: 1-line block ×4, first 2 shown]
	v_and_b32_e32 v53, 0xffff, v64
	v_lshrrev_b32_e32 v54, 16, v64
	v_and_b32_e32 v64, 0xffff, v65
	v_lshrrev_b32_e32 v65, 16, v65
	v_pk_fma_f16 v82, v55, v90, v82
	v_pk_fma_f16 v85, v55, v91, v85
	v_mul_u32_u24_e32 v90, 0x10001, v53
	v_mul_u32_u24_e32 v91, 0x10001, v54
	;; [unrolled: 1-line block ×4, first 2 shown]
	v_pk_fma_f16 v80, v55, v92, v80
	v_pk_fma_f16 v81, v55, v110, v81
	s_wait_dscnt 0x1
	v_pk_fma_f16 v92, v60, v90, v93
	v_pk_fma_f16 v93, v60, v64, v94
	;; [unrolled: 1-line block ×11, first 2 shown]
	s_wait_dscnt 0x0
	v_pk_fma_f16 v103, v68, v90, v104
	v_pk_fma_f16 v104, v68, v91, v105
	v_pk_fma_f16 v88, v68, v64, v88
	v_pk_fma_f16 v68, v68, v65, v52
	ds_load_2addr_b64 v[52:55], v49 offset0:128 offset1:160
	v_pk_fma_f16 v58, v60, v91, v58
	v_pk_fma_f16 v83, v61, v64, v83
	;; [unrolled: 1-line block ×12, first 2 shown]
	v_and_b32_e32 v80, 0xffff, v66
	v_lshrrev_b32_e32 v66, 16, v66
	v_and_b32_e32 v90, 0xffff, v67
	v_lshrrev_b32_e32 v67, 16, v67
	ds_load_2addr_b64 v[60:63], v49 offset0:192 offset1:224
	v_pk_fma_f16 v57, v69, v91, v57
	v_pk_fma_f16 v85, v71, v91, v85
	v_mul_u32_u24_e32 v80, 0x10001, v80
	v_mul_u32_u24_e32 v66, 0x10001, v66
	;; [unrolled: 1-line block ×4, first 2 shown]
	v_pk_fma_f16 v71, v71, v65, v81
	s_wait_dscnt 0x1
	v_pk_fma_f16 v81, v52, v80, v92
	v_pk_fma_f16 v58, v52, v66, v58
	;; [unrolled: 1-line block ×16, first 2 shown]
	ds_load_2addr_b64 v[52:55], v50 offset1:32
	v_pk_fma_f16 v69, v69, v65, v111
	v_pk_fma_f16 v70, v70, v65, v112
	s_wait_dscnt 0x1
	v_pk_fma_f16 v102, v60, v80, v103
	v_pk_fma_f16 v103, v60, v66, v104
	;; [unrolled: 1-line block ×15, first 2 shown]
	v_and_b32_e32 v85, 0xffff, v72
	v_lshrrev_b32_e32 v72, 16, v72
	v_and_b32_e32 v90, 0xffff, v73
	v_lshrrev_b32_e32 v73, 16, v73
	ds_load_2addr_b64 v[64:67], v50 offset0:64 offset1:96
	v_mul_u32_u24_e32 v85, 0x10001, v85
	v_mul_u32_u24_e32 v72, 0x10001, v72
	;; [unrolled: 1-line block ×4, first 2 shown]
	v_pk_fma_f16 v71, v63, v91, v71
	s_wait_dscnt 0x1
	v_pk_fma_f16 v81, v52, v85, v81
	v_pk_fma_f16 v58, v52, v72, v58
	;; [unrolled: 1-line block ×16, first 2 shown]
	ds_load_2addr_b64 v[52:55], v50 offset0:128 offset1:160
	s_wait_dscnt 0x1
	v_pk_fma_f16 v101, v64, v85, v102
	v_pk_fma_f16 v102, v64, v72, v103
	;; [unrolled: 1-line block ×15, first 2 shown]
	v_and_b32_e32 v82, 0xffff, v74
	v_lshrrev_b32_e32 v74, 16, v74
	v_and_b32_e32 v85, 0xffff, v75
	v_lshrrev_b32_e32 v75, 16, v75
	ds_load_2addr_b64 v[60:63], v50 offset0:192 offset1:224
	v_mul_u32_u24_e32 v82, 0x10001, v82
	v_mul_u32_u24_e32 v74, 0x10001, v74
	;; [unrolled: 1-line block ×4, first 2 shown]
	v_pk_fma_f16 v71, v67, v73, v71
	s_wait_dscnt 0x1
	v_pk_fma_f16 v73, v52, v82, v81
	v_pk_fma_f16 v58, v52, v74, v58
	;; [unrolled: 1-line block ×16, first 2 shown]
	ds_load_2addr_b64 v[52:55], v51 offset1:32
	s_wait_dscnt 0x1
	v_pk_fma_f16 v99, v60, v82, v101
	v_pk_fma_f16 v100, v60, v74, v102
	v_pk_fma_f16 v88, v60, v85, v88
	v_pk_fma_f16 v60, v60, v75, v64
	v_pk_fma_f16 v56, v61, v82, v56
	v_pk_fma_f16 v57, v61, v74, v57
	v_pk_fma_f16 v68, v61, v85, v68
	v_pk_fma_f16 v61, v61, v75, v65
	v_pk_fma_f16 v69, v62, v82, v69
	v_pk_fma_f16 v101, v62, v74, v103
	v_pk_fma_f16 v102, v62, v85, v104
	v_pk_fma_f16 v62, v62, v75, v66
	v_pk_fma_f16 v70, v63, v82, v70
	v_pk_fma_f16 v72, v63, v74, v72
	v_pk_fma_f16 v74, v63, v85, v80
	v_and_b32_e32 v80, 0xffff, v76
	v_lshrrev_b32_e32 v76, 16, v76
	v_and_b32_e32 v82, 0xffff, v77
	v_lshrrev_b32_e32 v77, 16, v77
	ds_load_2addr_b64 v[64:67], v51 offset0:64 offset1:96
	v_mul_u32_u24_e32 v80, 0x10001, v80
	v_mul_u32_u24_e32 v76, 0x10001, v76
	;; [unrolled: 1-line block ×4, first 2 shown]
	v_pk_fma_f16 v71, v63, v75, v71
	s_wait_dscnt 0x1
	v_pk_fma_f16 v73, v52, v80, v73
	v_pk_fma_f16 v58, v52, v76, v58
	;; [unrolled: 1-line block ×16, first 2 shown]
	ds_load_2addr_b64 v[52:55], v51 offset0:128 offset1:160
	s_or_b32 s26, s4, 32
	s_wait_dscnt 0x1
	v_pk_fma_f16 v97, v64, v80, v99
	v_pk_fma_f16 v98, v64, v76, v100
	;; [unrolled: 1-line block ×6, first 2 shown]
	v_and_b32_e32 v64, 0xffff, v79
	ds_load_2addr_b64 v[60:63], v51 offset0:192 offset1:224
	s_wait_alu 0xfffe
	s_ashr_i32 s27, s26, 31
	v_pk_fma_f16 v160, v65, v80, v56
	v_and_b32_e32 v56, 0xffff, v78
	s_wait_alu 0xfffe
	s_mul_u64 s[26:27], s[26:27], s[14:15]
	v_pk_fma_f16 v161, v65, v76, v57
	s_wait_alu 0xfffe
	s_lshl_b64 s[26:27], s[26:27], 2
	v_lshrrev_b32_e32 v57, 16, v78
	v_mul_u32_u24_e32 v173, 0x10001, v64
	s_wait_alu 0xfffe
	s_add_nc_u64 s[26:27], s[8:9], s[26:27]
	v_mul_u32_u24_e32 v171, 0x10001, v56
	s_wait_alu 0xfffe
	v_add_co_u32 v56, vcc_lo, s26, v27
	v_pk_fma_f16 v162, v65, v82, v68
	v_lshrrev_b32_e32 v65, 16, v79
	v_mul_u32_u24_e32 v172, 0x10001, v57
	s_wait_dscnt 0x1
	v_pk_fma_f16 v185, v54, v173, v84
	s_wait_alu 0xfffd
	v_add_co_ci_u32_e64 v57, null, s27, v28, vcc_lo
	v_add_co_u32 v84, vcc_lo, s26, v29
	v_pk_fma_f16 v179, v53, v171, v85
	s_wait_alu 0xfffd
	v_add_co_ci_u32_e64 v85, null, s27, v30, vcc_lo
	v_add_co_u32 v56, vcc_lo, v56, v86
	v_mul_u32_u24_e32 v174, 0x10001, v65
	s_wait_alu 0xfffd
	v_add_co_ci_u32_e64 v57, null, 0, v57, vcc_lo
	v_add_co_u32 v84, vcc_lo, v84, v86
	s_wait_alu 0xfffd
	v_add_co_ci_u32_e64 v85, null, 0, v85, vcc_lo
	v_pk_fma_f16 v164, v66, v80, v69
	v_pk_fma_f16 v165, v66, v76, v101
	;; [unrolled: 1-line block ×21, first 2 shown]
	s_wait_dscnt 0x0
	v_pk_fma_f16 v191, v60, v171, v97
	v_pk_fma_f16 v192, v60, v172, v98
	;; [unrolled: 1-line block ×3, first 2 shown]
	ds_load_2addr_b64 v[52:55], v48 offset1:32
	ds_load_2addr_b64 v[64:67], v48 offset0:64 offset1:96
	ds_load_2addr_b64 v[68:71], v48 offset0:128 offset1:160
	;; [unrolled: 1-line block ×3, first 2 shown]
	ds_load_2addr_b64 v[76:79], v15 offset1:32
	ds_load_2addr_b64 v[80:83], v15 offset0:64 offset1:96
	ds_load_b128 v[87:90], v42 offset:192
	ds_load_b128 v[91:94], v42 offset:208
	ds_load_2addr_b64 v[95:98], v15 offset0:128 offset1:160
	ds_load_2addr_b64 v[99:102], v15 offset0:192 offset1:224
	ds_load_2addr_b64 v[103:106], v14 offset1:32
	ds_load_2addr_b64 v[107:110], v14 offset0:64 offset1:96
	ds_load_2addr_b64 v[111:114], v14 offset0:128 offset1:160
	;; [unrolled: 1-line block ×3, first 2 shown]
	ds_load_2addr_b64 v[119:122], v13 offset1:32
	ds_load_2addr_b64 v[123:126], v13 offset0:64 offset1:96
	ds_load_b128 v[127:130], v42 offset:224
	ds_load_b128 v[131:134], v42 offset:240
	ds_load_2addr_b64 v[135:138], v13 offset0:128 offset1:160
	ds_load_2addr_b64 v[139:142], v13 offset0:192 offset1:224
	s_wait_loadcnt_dscnt 0x0
	s_barrier_signal -1
	s_barrier_wait -1
	global_inv scope:SCOPE_SE
	s_clause 0x3
	global_load_b128 v[143:146], v[56:57], off
	global_load_b128 v[147:150], v[56:57], off offset:512
	global_load_b128 v[151:154], v[84:85], off
	global_load_b128 v[155:158], v[84:85], off offset:512
	v_pk_fma_f16 v56, v60, v174, v159
	v_pk_fma_f16 v57, v61, v171, v160
	;; [unrolled: 1-line block ×6, first 2 shown]
	v_and_b32_e32 v163, 0xffff, v87
	v_lshrrev_b32_e32 v87, 16, v87
	v_and_b32_e32 v164, 0xffff, v88
	v_lshrrev_b32_e32 v88, 16, v88
	v_pk_fma_f16 v159, v62, v172, v165
	v_pk_fma_f16 v160, v62, v173, v166
	v_mul_u32_u24_e32 v163, 0x10001, v163
	v_mul_u32_u24_e32 v87, 0x10001, v87
	;; [unrolled: 1-line block ×4, first 2 shown]
	v_pk_fma_f16 v62, v62, v174, v167
	v_pk_fma_f16 v161, v63, v171, v168
	;; [unrolled: 1-line block ×19, first 2 shown]
	v_and_b32_e32 v159, 0xffff, v89
	v_lshrrev_b32_e32 v89, 16, v89
	v_and_b32_e32 v160, 0xffff, v90
	v_lshrrev_b32_e32 v90, 16, v90
	v_pk_fma_f16 v165, v63, v173, v170
	v_pk_fma_f16 v63, v63, v174, v175
	;; [unrolled: 1-line block ×15, first 2 shown]
	v_mul_u32_u24_e32 v159, 0x10001, v159
	v_mul_u32_u24_e32 v89, 0x10001, v89
	;; [unrolled: 1-line block ×4, first 2 shown]
	v_pk_fma_f16 v66, v67, v163, v161
	v_pk_fma_f16 v161, v67, v164, v165
	;; [unrolled: 1-line block ×32, first 2 shown]
	v_and_b32_e32 v84, 0xffff, v91
	v_lshrrev_b32_e32 v85, 16, v91
	v_and_b32_e32 v87, 0xffff, v92
	v_lshrrev_b32_e32 v89, 16, v92
	v_pk_fma_f16 v66, v75, v159, v66
	v_mul_u32_u24_e32 v84, 0x10001, v84
	v_mul_u32_u24_e32 v85, 0x10001, v85
	;; [unrolled: 1-line block ×4, first 2 shown]
	v_pk_fma_f16 v91, v75, v160, v161
	v_pk_fma_f16 v57, v81, v84, v57
	;; [unrolled: 1-line block ×5, first 2 shown]
	v_lshrrev_b32_e32 v81, 16, v93
	v_pk_fma_f16 v63, v75, v90, v63
	v_pk_fma_f16 v67, v76, v84, v67
	;; [unrolled: 1-line block ×20, first 2 shown]
	v_mul_u32_u24_e32 v81, 0x10001, v81
	v_pk_fma_f16 v65, v82, v84, v65
	v_pk_fma_f16 v73, v82, v87, v73
	;; [unrolled: 1-line block ×3, first 2 shown]
	v_and_b32_e32 v82, 0xffff, v94
	v_pk_fma_f16 v58, v95, v81, v58
	v_pk_fma_f16 v76, v96, v81, v76
	;; [unrolled: 1-line block ×8, first 2 shown]
	v_lshrrev_b32_e32 v81, 16, v127
	v_pk_fma_f16 v71, v80, v84, v71
	v_pk_fma_f16 v159, v80, v87, v169
	;; [unrolled: 1-line block ×3, first 2 shown]
	v_and_b32_e32 v80, 0xffff, v93
	v_mul_u32_u24_e32 v82, 0x10001, v82
	v_mul_u32_u24_e32 v81, 0x10001, v81
	v_pk_fma_f16 v66, v83, v84, v66
	v_lshrrev_b32_e32 v84, 16, v94
	v_pk_fma_f16 v85, v83, v87, v91
	v_mul_u32_u24_e32 v80, 0x10001, v80
	v_pk_fma_f16 v87, v97, v82, v90
	v_and_b32_e32 v90, 0xffff, v128
	v_pk_fma_f16 v58, v103, v81, v58
	v_pk_fma_f16 v76, v104, v81, v76
	;; [unrolled: 1-line block ×8, first 2 shown]
	v_lshrrev_b32_e32 v81, 16, v129
	v_mul_u32_u24_e32 v84, 0x10001, v84
	v_pk_fma_f16 v63, v83, v89, v63
	v_pk_fma_f16 v67, v95, v80, v67
	;; [unrolled: 1-line block ×15, first 2 shown]
	v_and_b32_e32 v80, 0xffff, v127
	v_lshrrev_b32_e32 v91, 16, v128
	v_pk_fma_f16 v82, v102, v82, v85
	v_mul_u32_u24_e32 v85, 0x10001, v90
	v_mul_u32_u24_e32 v81, 0x10001, v81
	v_pk_fma_f16 v52, v95, v84, v52
	v_pk_fma_f16 v53, v96, v84, v53
	;; [unrolled: 1-line block ×7, first 2 shown]
	v_mul_u32_u24_e32 v80, 0x10001, v80
	v_mul_u32_u24_e32 v90, 0x10001, v91
	v_pk_fma_f16 v63, v102, v84, v63
	v_pk_fma_f16 v84, v105, v85, v87
	;; [unrolled: 1-line block ×4, first 2 shown]
	v_and_b32_e32 v89, 0xffff, v130
	v_lshrrev_b32_e32 v91, 16, v130
	v_pk_fma_f16 v58, v111, v81, v58
	v_pk_fma_f16 v76, v112, v81, v76
	v_pk_fma_f16 v77, v113, v81, v77
	v_pk_fma_f16 v78, v114, v81, v78
	v_pk_fma_f16 v79, v115, v81, v79
	v_pk_fma_f16 v60, v116, v81, v60
	v_pk_fma_f16 v72, v117, v81, v72
	v_pk_fma_f16 v74, v118, v81, v74
	v_lshrrev_b32_e32 v81, 16, v131
	v_pk_fma_f16 v67, v103, v80, v67
	v_pk_fma_f16 v75, v103, v85, v75
	;; [unrolled: 1-line block ×19, first 2 shown]
	v_and_b32_e32 v80, 0xffff, v129
	v_pk_fma_f16 v82, v110, v85, v82
	v_mul_u32_u24_e32 v85, 0x10001, v89
	v_mul_u32_u24_e32 v89, 0x10001, v91
	v_pk_fma_f16 v63, v110, v90, v63
	v_and_b32_e32 v90, 0xffff, v132
	v_lshrrev_b32_e32 v91, 16, v132
	v_mul_u32_u24_e32 v81, 0x10001, v81
	v_mul_u32_u24_e32 v80, 0x10001, v80
	v_pk_fma_f16 v75, v111, v85, v75
	v_pk_fma_f16 v52, v111, v89, v52
	;; [unrolled: 1-line block ×12, first 2 shown]
	v_mul_u32_u24_e32 v85, 0x10001, v90
	v_mul_u32_u24_e32 v90, 0x10001, v91
	v_pk_fma_f16 v58, v119, v81, v58
	v_pk_fma_f16 v76, v120, v81, v76
	;; [unrolled: 1-line block ×8, first 2 shown]
	v_lshrrev_b32_e32 v81, 16, v134
	v_pk_fma_f16 v67, v111, v80, v67
	v_pk_fma_f16 v68, v112, v80, v68
	;; [unrolled: 1-line block ×11, first 2 shown]
	v_and_b32_e32 v80, 0xffff, v131
	v_pk_fma_f16 v63, v118, v89, v63
	v_pk_fma_f16 v52, v119, v90, v52
	;; [unrolled: 1-line block ×5, first 2 shown]
	v_and_b32_e32 v55, 0xffff, v133
	v_mul_u32_u24_e32 v81, 0x10001, v81
	v_mul_u32_u24_e32 v80, 0x10001, v80
	v_pk_fma_f16 v75, v119, v85, v75
	v_pk_fma_f16 v83, v120, v85, v83
	;; [unrolled: 1-line block ×8, first 2 shown]
	v_lshrrev_b32_e32 v62, 16, v133
	v_pk_fma_f16 v82, v126, v85, v82
	v_mul_u32_u24_e32 v85, 0x10001, v55
	v_pk_fma_f16 v95, v135, v81, v52
	v_pk_fma_f16 v98, v136, v81, v53
	;; [unrolled: 1-line block ×3, first 2 shown]
	s_wait_loadcnt 0x3
	ds_store_b128 v43, v[143:146]
	s_wait_loadcnt 0x2
	ds_store_b128 v44, v[147:150]
	;; [unrolled: 2-line block ×4, first 2 shown]
	s_wait_dscnt 0x0
	s_barrier_signal -1
	s_barrier_wait -1
	global_inv scope:SCOPE_SE
	ds_load_b128 v[52:55], v42 offset:256
	v_pk_fma_f16 v68, v120, v80, v68
	v_pk_fma_f16 v69, v121, v80, v69
	;; [unrolled: 1-line block ×5, first 2 shown]
	v_mul_u32_u24_e32 v92, 0x10001, v62
	v_pk_fma_f16 v67, v119, v80, v67
	v_pk_fma_f16 v56, v123, v90, v56
	;; [unrolled: 1-line block ×5, first 2 shown]
	v_and_b32_e32 v80, 0xffff, v134
	v_pk_fma_f16 v90, v126, v90, v63
	v_pk_fma_f16 v96, v136, v85, v68
	;; [unrolled: 1-line block ×7, first 2 shown]
	ds_load_2addr_b64 v[60:63], v59 offset1:32
	ds_load_2addr_b64 v[68:71], v59 offset0:64 offset1:96
	v_mul_u32_u24_e32 v80, 0x10001, v80
	v_pk_fma_f16 v93, v135, v85, v67
	v_pk_fma_f16 v57, v140, v85, v57
	;; [unrolled: 1-line block ×7, first 2 shown]
	ds_load_b128 v[64:67], v42 offset:272
	s_wait_dscnt 0x3
	v_and_b32_e32 v72, 0xffff, v52
	v_lshrrev_b32_e32 v52, 16, v52
	v_and_b32_e32 v73, 0xffff, v53
	v_lshrrev_b32_e32 v53, 16, v53
	v_pk_fma_f16 v58, v135, v92, v58
	v_pk_fma_f16 v94, v135, v80, v75
	;; [unrolled: 1-line block ×16, first 2 shown]
	v_mul_u32_u24_e32 v82, 0x10001, v72
	v_mul_u32_u24_e32 v52, 0x10001, v52
	;; [unrolled: 1-line block ×4, first 2 shown]
	ds_load_b128 v[72:75], v42 offset:288
	ds_load_b128 v[76:79], v42 offset:304
	s_wait_dscnt 0x4
	v_pk_fma_f16 v93, v60, v82, v93
	v_pk_fma_f16 v58, v60, v52, v58
	;; [unrolled: 1-line block ×16, first 2 shown]
	s_wait_dscnt 0x3
	v_pk_fma_f16 v104, v68, v82, v104
	v_pk_fma_f16 v105, v68, v52, v105
	;; [unrolled: 1-line block ×6, first 2 shown]
	ds_load_2addr_b64 v[60:63], v59 offset0:128 offset1:160
	v_pk_fma_f16 v106, v69, v90, v107
	v_pk_fma_f16 v69, v69, v112, v108
	;; [unrolled: 1-line block ×9, first 2 shown]
	v_and_b32_e32 v90, 0xffff, v54
	v_lshrrev_b32_e32 v91, 16, v54
	v_and_b32_e32 v92, 0xffff, v55
	v_lshrrev_b32_e32 v110, 16, v55
	ds_load_2addr_b64 v[52:55], v59 offset0:192 offset1:224
	v_mul_u32_u24_e32 v90, 0x10001, v90
	v_mul_u32_u24_e32 v91, 0x10001, v91
	;; [unrolled: 1-line block ×4, first 2 shown]
	v_pk_fma_f16 v81, v71, v112, v81
	s_wait_dscnt 0x1
	v_pk_fma_f16 v93, v60, v90, v93
	v_pk_fma_f16 v58, v60, v91, v58
	;; [unrolled: 1-line block ×16, first 2 shown]
	s_wait_dscnt 0x0
	v_pk_fma_f16 v104, v52, v90, v104
	v_pk_fma_f16 v105, v52, v91, v105
	;; [unrolled: 1-line block ×6, first 2 shown]
	ds_load_2addr_b64 v[60:63], v49 offset1:32
	v_pk_fma_f16 v111, v53, v110, v69
	v_pk_fma_f16 v112, v54, v110, v70
	ds_load_2addr_b64 v[68:71], v49 offset0:64 offset1:96
	v_pk_fma_f16 v106, v53, v92, v106
	v_pk_fma_f16 v107, v54, v90, v107
	;; [unrolled: 1-line block ×4, first 2 shown]
	v_and_b32_e32 v53, 0xffff, v64
	v_lshrrev_b32_e32 v54, 16, v64
	v_and_b32_e32 v64, 0xffff, v65
	v_lshrrev_b32_e32 v65, 16, v65
	v_pk_fma_f16 v82, v55, v90, v82
	v_pk_fma_f16 v85, v55, v91, v85
	v_mul_u32_u24_e32 v90, 0x10001, v53
	v_mul_u32_u24_e32 v91, 0x10001, v54
	;; [unrolled: 1-line block ×4, first 2 shown]
	v_pk_fma_f16 v80, v55, v92, v80
	v_pk_fma_f16 v81, v55, v110, v81
	s_wait_dscnt 0x1
	v_pk_fma_f16 v92, v60, v90, v93
	v_pk_fma_f16 v93, v60, v64, v94
	;; [unrolled: 1-line block ×11, first 2 shown]
	s_wait_dscnt 0x0
	v_pk_fma_f16 v103, v68, v90, v104
	v_pk_fma_f16 v104, v68, v91, v105
	v_pk_fma_f16 v88, v68, v64, v88
	v_pk_fma_f16 v68, v68, v65, v52
	ds_load_2addr_b64 v[52:55], v49 offset0:128 offset1:160
	v_pk_fma_f16 v58, v60, v91, v58
	v_pk_fma_f16 v83, v61, v64, v83
	;; [unrolled: 1-line block ×12, first 2 shown]
	v_and_b32_e32 v80, 0xffff, v66
	v_lshrrev_b32_e32 v66, 16, v66
	v_and_b32_e32 v90, 0xffff, v67
	v_lshrrev_b32_e32 v67, 16, v67
	ds_load_2addr_b64 v[60:63], v49 offset0:192 offset1:224
	v_pk_fma_f16 v57, v69, v91, v57
	v_pk_fma_f16 v85, v71, v91, v85
	v_mul_u32_u24_e32 v80, 0x10001, v80
	v_mul_u32_u24_e32 v66, 0x10001, v66
	;; [unrolled: 1-line block ×4, first 2 shown]
	v_pk_fma_f16 v71, v71, v65, v81
	s_wait_dscnt 0x1
	v_pk_fma_f16 v81, v52, v80, v92
	v_pk_fma_f16 v58, v52, v66, v58
	v_pk_fma_f16 v92, v52, v90, v93
	v_pk_fma_f16 v93, v52, v91, v94
	v_pk_fma_f16 v94, v53, v80, v95
	v_pk_fma_f16 v95, v53, v66, v96
	v_pk_fma_f16 v83, v53, v90, v83
	v_pk_fma_f16 v96, v53, v91, v97
	v_pk_fma_f16 v97, v54, v80, v98
	v_pk_fma_f16 v98, v54, v66, v99
	v_pk_fma_f16 v84, v54, v90, v84
	v_pk_fma_f16 v99, v54, v91, v100
	v_pk_fma_f16 v100, v55, v80, v101
	v_pk_fma_f16 v101, v55, v66, v102
	v_pk_fma_f16 v87, v55, v90, v87
	v_pk_fma_f16 v89, v55, v91, v89
	ds_load_2addr_b64 v[52:55], v50 offset1:32
	v_pk_fma_f16 v69, v69, v65, v111
	v_pk_fma_f16 v70, v70, v65, v112
	s_wait_dscnt 0x1
	v_pk_fma_f16 v102, v60, v80, v103
	v_pk_fma_f16 v103, v60, v66, v104
	;; [unrolled: 1-line block ×15, first 2 shown]
	v_and_b32_e32 v85, 0xffff, v72
	v_lshrrev_b32_e32 v72, 16, v72
	v_and_b32_e32 v90, 0xffff, v73
	v_lshrrev_b32_e32 v73, 16, v73
	ds_load_2addr_b64 v[64:67], v50 offset0:64 offset1:96
	v_mul_u32_u24_e32 v85, 0x10001, v85
	v_mul_u32_u24_e32 v72, 0x10001, v72
	;; [unrolled: 1-line block ×4, first 2 shown]
	v_pk_fma_f16 v71, v63, v91, v71
	s_wait_dscnt 0x1
	v_pk_fma_f16 v81, v52, v85, v81
	v_pk_fma_f16 v58, v52, v72, v58
	;; [unrolled: 1-line block ×16, first 2 shown]
	ds_load_2addr_b64 v[52:55], v50 offset0:128 offset1:160
	s_wait_dscnt 0x1
	v_pk_fma_f16 v101, v64, v85, v102
	v_pk_fma_f16 v102, v64, v72, v103
	;; [unrolled: 1-line block ×15, first 2 shown]
	v_and_b32_e32 v82, 0xffff, v74
	v_lshrrev_b32_e32 v74, 16, v74
	v_and_b32_e32 v85, 0xffff, v75
	v_lshrrev_b32_e32 v75, 16, v75
	ds_load_2addr_b64 v[60:63], v50 offset0:192 offset1:224
	v_mul_u32_u24_e32 v82, 0x10001, v82
	v_mul_u32_u24_e32 v74, 0x10001, v74
	;; [unrolled: 1-line block ×4, first 2 shown]
	v_pk_fma_f16 v71, v67, v73, v71
	s_wait_dscnt 0x1
	v_pk_fma_f16 v73, v52, v82, v81
	v_pk_fma_f16 v58, v52, v74, v58
	;; [unrolled: 1-line block ×16, first 2 shown]
	ds_load_2addr_b64 v[52:55], v51 offset1:32
	s_wait_dscnt 0x1
	v_pk_fma_f16 v99, v60, v82, v101
	v_pk_fma_f16 v100, v60, v74, v102
	;; [unrolled: 1-line block ×15, first 2 shown]
	v_and_b32_e32 v80, 0xffff, v76
	v_lshrrev_b32_e32 v76, 16, v76
	v_and_b32_e32 v82, 0xffff, v77
	v_lshrrev_b32_e32 v77, 16, v77
	ds_load_2addr_b64 v[64:67], v51 offset0:64 offset1:96
	v_mul_u32_u24_e32 v80, 0x10001, v80
	v_mul_u32_u24_e32 v76, 0x10001, v76
	;; [unrolled: 1-line block ×4, first 2 shown]
	v_pk_fma_f16 v71, v63, v75, v71
	s_wait_dscnt 0x1
	v_pk_fma_f16 v73, v52, v80, v73
	v_pk_fma_f16 v58, v52, v76, v58
	;; [unrolled: 1-line block ×16, first 2 shown]
	ds_load_2addr_b64 v[52:55], v51 offset0:128 offset1:160
	s_or_b32 s26, s4, 48
	s_wait_dscnt 0x1
	v_pk_fma_f16 v97, v64, v80, v99
	v_pk_fma_f16 v98, v64, v76, v100
	;; [unrolled: 1-line block ×6, first 2 shown]
	v_and_b32_e32 v64, 0xffff, v79
	ds_load_2addr_b64 v[60:63], v51 offset0:192 offset1:224
	s_wait_alu 0xfffe
	s_ashr_i32 s27, s26, 31
	v_pk_fma_f16 v160, v65, v80, v56
	v_and_b32_e32 v56, 0xffff, v78
	s_wait_alu 0xfffe
	s_mul_u64 s[26:27], s[26:27], s[14:15]
	v_pk_fma_f16 v161, v65, v76, v57
	s_wait_alu 0xfffe
	s_lshl_b64 s[26:27], s[26:27], 2
	v_lshrrev_b32_e32 v57, 16, v78
	v_mul_u32_u24_e32 v173, 0x10001, v64
	s_wait_alu 0xfffe
	s_add_nc_u64 s[26:27], s[8:9], s[26:27]
	v_mul_u32_u24_e32 v171, 0x10001, v56
	s_wait_alu 0xfffe
	v_add_co_u32 v56, vcc_lo, s26, v27
	v_pk_fma_f16 v162, v65, v82, v68
	v_lshrrev_b32_e32 v65, 16, v79
	v_mul_u32_u24_e32 v172, 0x10001, v57
	s_wait_dscnt 0x1
	v_pk_fma_f16 v185, v54, v173, v84
	s_wait_alu 0xfffd
	v_add_co_ci_u32_e64 v57, null, s27, v28, vcc_lo
	v_add_co_u32 v84, vcc_lo, s26, v29
	v_pk_fma_f16 v179, v53, v171, v85
	s_wait_alu 0xfffd
	v_add_co_ci_u32_e64 v85, null, s27, v30, vcc_lo
	v_add_co_u32 v56, vcc_lo, v56, v86
	v_mul_u32_u24_e32 v174, 0x10001, v65
	s_wait_alu 0xfffd
	v_add_co_ci_u32_e64 v57, null, 0, v57, vcc_lo
	v_add_co_u32 v84, vcc_lo, v84, v86
	s_wait_alu 0xfffd
	v_add_co_ci_u32_e64 v85, null, 0, v85, vcc_lo
	v_pk_fma_f16 v164, v66, v80, v69
	v_pk_fma_f16 v165, v66, v76, v101
	;; [unrolled: 1-line block ×21, first 2 shown]
	s_wait_dscnt 0x0
	v_pk_fma_f16 v191, v60, v171, v97
	v_pk_fma_f16 v192, v60, v172, v98
	;; [unrolled: 1-line block ×3, first 2 shown]
	ds_load_2addr_b64 v[52:55], v48 offset1:32
	ds_load_2addr_b64 v[64:67], v48 offset0:64 offset1:96
	ds_load_2addr_b64 v[68:71], v48 offset0:128 offset1:160
	;; [unrolled: 1-line block ×3, first 2 shown]
	ds_load_2addr_b64 v[76:79], v15 offset1:32
	ds_load_2addr_b64 v[80:83], v15 offset0:64 offset1:96
	ds_load_b128 v[87:90], v42 offset:320
	ds_load_b128 v[91:94], v42 offset:336
	ds_load_2addr_b64 v[95:98], v15 offset0:128 offset1:160
	ds_load_2addr_b64 v[99:102], v15 offset0:192 offset1:224
	ds_load_2addr_b64 v[103:106], v14 offset1:32
	ds_load_2addr_b64 v[107:110], v14 offset0:64 offset1:96
	ds_load_2addr_b64 v[111:114], v14 offset0:128 offset1:160
	;; [unrolled: 1-line block ×3, first 2 shown]
	ds_load_2addr_b64 v[119:122], v13 offset1:32
	ds_load_2addr_b64 v[123:126], v13 offset0:64 offset1:96
	ds_load_b128 v[127:130], v42 offset:352
	ds_load_b128 v[131:134], v42 offset:368
	ds_load_2addr_b64 v[135:138], v13 offset0:128 offset1:160
	ds_load_2addr_b64 v[139:142], v13 offset0:192 offset1:224
	s_wait_loadcnt_dscnt 0x0
	s_barrier_signal -1
	s_barrier_wait -1
	global_inv scope:SCOPE_SE
	s_clause 0x3
	global_load_b128 v[143:146], v[56:57], off
	global_load_b128 v[147:150], v[56:57], off offset:512
	global_load_b128 v[151:154], v[84:85], off
	global_load_b128 v[155:158], v[84:85], off offset:512
	v_pk_fma_f16 v56, v60, v174, v159
	v_pk_fma_f16 v57, v61, v171, v160
	;; [unrolled: 1-line block ×6, first 2 shown]
	v_and_b32_e32 v163, 0xffff, v87
	v_lshrrev_b32_e32 v87, 16, v87
	v_and_b32_e32 v164, 0xffff, v88
	v_lshrrev_b32_e32 v88, 16, v88
	v_pk_fma_f16 v159, v62, v172, v165
	v_pk_fma_f16 v160, v62, v173, v166
	v_mul_u32_u24_e32 v163, 0x10001, v163
	v_mul_u32_u24_e32 v87, 0x10001, v87
	;; [unrolled: 1-line block ×4, first 2 shown]
	v_pk_fma_f16 v62, v62, v174, v167
	v_pk_fma_f16 v161, v63, v171, v168
	;; [unrolled: 1-line block ×19, first 2 shown]
	v_and_b32_e32 v159, 0xffff, v89
	v_lshrrev_b32_e32 v89, 16, v89
	v_and_b32_e32 v160, 0xffff, v90
	v_lshrrev_b32_e32 v90, 16, v90
	v_pk_fma_f16 v165, v63, v173, v170
	v_pk_fma_f16 v63, v63, v174, v175
	;; [unrolled: 1-line block ×15, first 2 shown]
	v_mul_u32_u24_e32 v159, 0x10001, v159
	v_mul_u32_u24_e32 v89, 0x10001, v89
	;; [unrolled: 1-line block ×4, first 2 shown]
	v_pk_fma_f16 v66, v67, v163, v161
	v_pk_fma_f16 v161, v67, v164, v165
	;; [unrolled: 1-line block ×32, first 2 shown]
	v_and_b32_e32 v84, 0xffff, v91
	v_lshrrev_b32_e32 v85, 16, v91
	v_and_b32_e32 v87, 0xffff, v92
	v_lshrrev_b32_e32 v89, 16, v92
	v_pk_fma_f16 v66, v75, v159, v66
	v_mul_u32_u24_e32 v84, 0x10001, v84
	v_mul_u32_u24_e32 v85, 0x10001, v85
	;; [unrolled: 1-line block ×4, first 2 shown]
	v_pk_fma_f16 v91, v75, v160, v161
	v_pk_fma_f16 v57, v81, v84, v57
	;; [unrolled: 1-line block ×5, first 2 shown]
	v_lshrrev_b32_e32 v81, 16, v93
	v_pk_fma_f16 v63, v75, v90, v63
	v_pk_fma_f16 v67, v76, v84, v67
	;; [unrolled: 1-line block ×20, first 2 shown]
	v_mul_u32_u24_e32 v81, 0x10001, v81
	v_pk_fma_f16 v65, v82, v84, v65
	v_pk_fma_f16 v73, v82, v87, v73
	;; [unrolled: 1-line block ×3, first 2 shown]
	v_and_b32_e32 v82, 0xffff, v94
	v_pk_fma_f16 v58, v95, v81, v58
	v_pk_fma_f16 v76, v96, v81, v76
	;; [unrolled: 1-line block ×8, first 2 shown]
	v_lshrrev_b32_e32 v81, 16, v127
	v_pk_fma_f16 v71, v80, v84, v71
	v_pk_fma_f16 v159, v80, v87, v169
	v_pk_fma_f16 v56, v80, v89, v56
	v_and_b32_e32 v80, 0xffff, v93
	v_mul_u32_u24_e32 v82, 0x10001, v82
	v_mul_u32_u24_e32 v81, 0x10001, v81
	v_pk_fma_f16 v66, v83, v84, v66
	v_lshrrev_b32_e32 v84, 16, v94
	v_pk_fma_f16 v85, v83, v87, v91
	v_mul_u32_u24_e32 v80, 0x10001, v80
	v_pk_fma_f16 v87, v97, v82, v90
	v_and_b32_e32 v90, 0xffff, v128
	v_pk_fma_f16 v58, v103, v81, v58
	v_pk_fma_f16 v76, v104, v81, v76
	;; [unrolled: 1-line block ×8, first 2 shown]
	v_lshrrev_b32_e32 v81, 16, v129
	v_mul_u32_u24_e32 v84, 0x10001, v84
	v_pk_fma_f16 v63, v83, v89, v63
	v_pk_fma_f16 v67, v95, v80, v67
	;; [unrolled: 1-line block ×15, first 2 shown]
	v_and_b32_e32 v80, 0xffff, v127
	v_lshrrev_b32_e32 v91, 16, v128
	v_pk_fma_f16 v82, v102, v82, v85
	v_mul_u32_u24_e32 v85, 0x10001, v90
	v_mul_u32_u24_e32 v81, 0x10001, v81
	v_pk_fma_f16 v52, v95, v84, v52
	v_pk_fma_f16 v53, v96, v84, v53
	;; [unrolled: 1-line block ×7, first 2 shown]
	v_mul_u32_u24_e32 v80, 0x10001, v80
	v_mul_u32_u24_e32 v90, 0x10001, v91
	v_pk_fma_f16 v63, v102, v84, v63
	v_pk_fma_f16 v84, v105, v85, v87
	;; [unrolled: 1-line block ×4, first 2 shown]
	v_and_b32_e32 v89, 0xffff, v130
	v_lshrrev_b32_e32 v91, 16, v130
	v_pk_fma_f16 v58, v111, v81, v58
	v_pk_fma_f16 v76, v112, v81, v76
	;; [unrolled: 1-line block ×8, first 2 shown]
	v_lshrrev_b32_e32 v81, 16, v131
	v_pk_fma_f16 v67, v103, v80, v67
	v_pk_fma_f16 v75, v103, v85, v75
	;; [unrolled: 1-line block ×19, first 2 shown]
	v_and_b32_e32 v80, 0xffff, v129
	v_pk_fma_f16 v82, v110, v85, v82
	v_mul_u32_u24_e32 v85, 0x10001, v89
	v_mul_u32_u24_e32 v89, 0x10001, v91
	v_pk_fma_f16 v63, v110, v90, v63
	v_and_b32_e32 v90, 0xffff, v132
	v_lshrrev_b32_e32 v91, 16, v132
	v_mul_u32_u24_e32 v81, 0x10001, v81
	v_mul_u32_u24_e32 v80, 0x10001, v80
	v_pk_fma_f16 v75, v111, v85, v75
	v_pk_fma_f16 v52, v111, v89, v52
	v_pk_fma_f16 v83, v112, v85, v83
	v_pk_fma_f16 v53, v112, v89, v53
	v_pk_fma_f16 v84, v113, v85, v84
	v_pk_fma_f16 v54, v113, v89, v54
	v_pk_fma_f16 v87, v114, v85, v87
	v_pk_fma_f16 v55, v114, v89, v55
	v_pk_fma_f16 v88, v115, v85, v88
	v_pk_fma_f16 v64, v116, v85, v64
	v_pk_fma_f16 v73, v117, v85, v73
	v_pk_fma_f16 v82, v118, v85, v82
	v_mul_u32_u24_e32 v85, 0x10001, v90
	v_mul_u32_u24_e32 v90, 0x10001, v91
	v_pk_fma_f16 v58, v119, v81, v58
	v_pk_fma_f16 v76, v120, v81, v76
	v_pk_fma_f16 v77, v121, v81, v77
	v_pk_fma_f16 v78, v122, v81, v78
	v_pk_fma_f16 v79, v123, v81, v79
	v_pk_fma_f16 v60, v124, v81, v60
	v_pk_fma_f16 v72, v125, v81, v72
	v_pk_fma_f16 v74, v126, v81, v74
	v_lshrrev_b32_e32 v81, 16, v134
	v_pk_fma_f16 v67, v111, v80, v67
	v_pk_fma_f16 v68, v112, v80, v68
	;; [unrolled: 1-line block ×11, first 2 shown]
	v_and_b32_e32 v80, 0xffff, v131
	v_pk_fma_f16 v63, v118, v89, v63
	v_pk_fma_f16 v52, v119, v90, v52
	;; [unrolled: 1-line block ×5, first 2 shown]
	v_and_b32_e32 v55, 0xffff, v133
	v_mul_u32_u24_e32 v81, 0x10001, v81
	v_mul_u32_u24_e32 v80, 0x10001, v80
	v_pk_fma_f16 v75, v119, v85, v75
	v_pk_fma_f16 v83, v120, v85, v83
	;; [unrolled: 1-line block ×8, first 2 shown]
	v_lshrrev_b32_e32 v62, 16, v133
	v_pk_fma_f16 v82, v126, v85, v82
	v_mul_u32_u24_e32 v85, 0x10001, v55
	v_pk_fma_f16 v95, v135, v81, v52
	v_pk_fma_f16 v98, v136, v81, v53
	;; [unrolled: 1-line block ×3, first 2 shown]
	s_wait_loadcnt 0x3
	ds_store_b128 v43, v[143:146]
	s_wait_loadcnt 0x2
	ds_store_b128 v44, v[147:150]
	;; [unrolled: 2-line block ×4, first 2 shown]
	s_wait_dscnt 0x0
	s_barrier_signal -1
	s_barrier_wait -1
	global_inv scope:SCOPE_SE
	ds_load_b128 v[52:55], v42 offset:384
	v_pk_fma_f16 v68, v120, v80, v68
	v_pk_fma_f16 v69, v121, v80, v69
	v_pk_fma_f16 v70, v122, v80, v70
	v_pk_fma_f16 v71, v123, v80, v71
	v_pk_fma_f16 v61, v124, v90, v61
	v_mul_u32_u24_e32 v92, 0x10001, v62
	v_pk_fma_f16 v67, v119, v80, v67
	v_pk_fma_f16 v56, v123, v90, v56
	;; [unrolled: 1-line block ×5, first 2 shown]
	v_and_b32_e32 v80, 0xffff, v134
	v_pk_fma_f16 v90, v126, v90, v63
	v_pk_fma_f16 v96, v136, v85, v68
	;; [unrolled: 1-line block ×7, first 2 shown]
	ds_load_2addr_b64 v[60:63], v59 offset1:32
	ds_load_2addr_b64 v[68:71], v59 offset0:64 offset1:96
	v_mul_u32_u24_e32 v80, 0x10001, v80
	v_pk_fma_f16 v93, v135, v85, v67
	v_pk_fma_f16 v57, v140, v85, v57
	;; [unrolled: 1-line block ×7, first 2 shown]
	ds_load_b128 v[64:67], v42 offset:400
	s_wait_dscnt 0x3
	v_and_b32_e32 v72, 0xffff, v52
	v_lshrrev_b32_e32 v52, 16, v52
	v_and_b32_e32 v73, 0xffff, v53
	v_lshrrev_b32_e32 v53, 16, v53
	v_pk_fma_f16 v58, v135, v92, v58
	v_pk_fma_f16 v94, v135, v80, v75
	;; [unrolled: 1-line block ×16, first 2 shown]
	v_mul_u32_u24_e32 v82, 0x10001, v72
	v_mul_u32_u24_e32 v52, 0x10001, v52
	v_mul_u32_u24_e32 v90, 0x10001, v73
	v_mul_u32_u24_e32 v112, 0x10001, v53
	ds_load_b128 v[72:75], v42 offset:416
	ds_load_b128 v[76:79], v42 offset:432
	s_wait_dscnt 0x4
	v_pk_fma_f16 v93, v60, v82, v93
	v_pk_fma_f16 v58, v60, v52, v58
	;; [unrolled: 1-line block ×16, first 2 shown]
	s_wait_dscnt 0x3
	v_pk_fma_f16 v104, v68, v82, v104
	v_pk_fma_f16 v105, v68, v52, v105
	;; [unrolled: 1-line block ×6, first 2 shown]
	ds_load_2addr_b64 v[60:63], v59 offset0:128 offset1:160
	v_pk_fma_f16 v106, v69, v90, v107
	v_pk_fma_f16 v69, v69, v112, v108
	;; [unrolled: 1-line block ×9, first 2 shown]
	v_and_b32_e32 v90, 0xffff, v54
	v_lshrrev_b32_e32 v91, 16, v54
	v_and_b32_e32 v92, 0xffff, v55
	v_lshrrev_b32_e32 v110, 16, v55
	ds_load_2addr_b64 v[52:55], v59 offset0:192 offset1:224
	v_mul_u32_u24_e32 v90, 0x10001, v90
	v_mul_u32_u24_e32 v91, 0x10001, v91
	v_mul_u32_u24_e32 v92, 0x10001, v92
	v_mul_u32_u24_e32 v110, 0x10001, v110
	v_pk_fma_f16 v81, v71, v112, v81
	s_wait_dscnt 0x1
	v_pk_fma_f16 v93, v60, v90, v93
	v_pk_fma_f16 v58, v60, v91, v58
	;; [unrolled: 1-line block ×16, first 2 shown]
	s_wait_dscnt 0x0
	v_pk_fma_f16 v104, v52, v90, v104
	v_pk_fma_f16 v105, v52, v91, v105
	;; [unrolled: 1-line block ×6, first 2 shown]
	ds_load_2addr_b64 v[60:63], v49 offset1:32
	v_pk_fma_f16 v111, v53, v110, v69
	v_pk_fma_f16 v112, v54, v110, v70
	ds_load_2addr_b64 v[68:71], v49 offset0:64 offset1:96
	v_pk_fma_f16 v106, v53, v92, v106
	v_pk_fma_f16 v107, v54, v90, v107
	;; [unrolled: 1-line block ×4, first 2 shown]
	v_and_b32_e32 v53, 0xffff, v64
	v_lshrrev_b32_e32 v54, 16, v64
	v_and_b32_e32 v64, 0xffff, v65
	v_lshrrev_b32_e32 v65, 16, v65
	v_pk_fma_f16 v82, v55, v90, v82
	v_pk_fma_f16 v85, v55, v91, v85
	v_mul_u32_u24_e32 v90, 0x10001, v53
	v_mul_u32_u24_e32 v91, 0x10001, v54
	;; [unrolled: 1-line block ×4, first 2 shown]
	v_pk_fma_f16 v80, v55, v92, v80
	v_pk_fma_f16 v81, v55, v110, v81
	s_wait_dscnt 0x1
	v_pk_fma_f16 v92, v60, v90, v93
	v_pk_fma_f16 v93, v60, v64, v94
	;; [unrolled: 1-line block ×11, first 2 shown]
	s_wait_dscnt 0x0
	v_pk_fma_f16 v103, v68, v90, v104
	v_pk_fma_f16 v104, v68, v91, v105
	v_pk_fma_f16 v88, v68, v64, v88
	v_pk_fma_f16 v68, v68, v65, v52
	ds_load_2addr_b64 v[52:55], v49 offset0:128 offset1:160
	v_pk_fma_f16 v58, v60, v91, v58
	v_pk_fma_f16 v83, v61, v64, v83
	v_pk_fma_f16 v84, v62, v64, v84
	v_pk_fma_f16 v87, v63, v64, v87
	v_pk_fma_f16 v89, v63, v65, v89
	v_pk_fma_f16 v56, v69, v90, v56
	v_pk_fma_f16 v105, v69, v64, v106
	v_pk_fma_f16 v106, v70, v90, v107
	v_pk_fma_f16 v107, v70, v91, v108
	v_pk_fma_f16 v108, v70, v64, v109
	v_pk_fma_f16 v82, v71, v90, v82
	v_pk_fma_f16 v64, v71, v64, v80
	v_and_b32_e32 v80, 0xffff, v66
	v_lshrrev_b32_e32 v66, 16, v66
	v_and_b32_e32 v90, 0xffff, v67
	v_lshrrev_b32_e32 v67, 16, v67
	ds_load_2addr_b64 v[60:63], v49 offset0:192 offset1:224
	v_pk_fma_f16 v57, v69, v91, v57
	v_pk_fma_f16 v85, v71, v91, v85
	v_mul_u32_u24_e32 v80, 0x10001, v80
	v_mul_u32_u24_e32 v66, 0x10001, v66
	v_mul_u32_u24_e32 v90, 0x10001, v90
	v_mul_u32_u24_e32 v91, 0x10001, v67
	v_pk_fma_f16 v71, v71, v65, v81
	s_wait_dscnt 0x1
	v_pk_fma_f16 v81, v52, v80, v92
	v_pk_fma_f16 v58, v52, v66, v58
	;; [unrolled: 1-line block ×16, first 2 shown]
	ds_load_2addr_b64 v[52:55], v50 offset1:32
	v_pk_fma_f16 v69, v69, v65, v111
	v_pk_fma_f16 v70, v70, v65, v112
	s_wait_dscnt 0x1
	v_pk_fma_f16 v102, v60, v80, v103
	v_pk_fma_f16 v103, v60, v66, v104
	;; [unrolled: 1-line block ×15, first 2 shown]
	v_and_b32_e32 v85, 0xffff, v72
	v_lshrrev_b32_e32 v72, 16, v72
	v_and_b32_e32 v90, 0xffff, v73
	v_lshrrev_b32_e32 v73, 16, v73
	ds_load_2addr_b64 v[64:67], v50 offset0:64 offset1:96
	v_mul_u32_u24_e32 v85, 0x10001, v85
	v_mul_u32_u24_e32 v72, 0x10001, v72
	v_mul_u32_u24_e32 v90, 0x10001, v90
	v_mul_u32_u24_e32 v73, 0x10001, v73
	v_pk_fma_f16 v71, v63, v91, v71
	s_wait_dscnt 0x1
	v_pk_fma_f16 v81, v52, v85, v81
	v_pk_fma_f16 v58, v52, v72, v58
	v_pk_fma_f16 v91, v52, v90, v92
	v_pk_fma_f16 v92, v52, v73, v93
	v_pk_fma_f16 v93, v53, v85, v94
	v_pk_fma_f16 v94, v53, v72, v95
	v_pk_fma_f16 v83, v53, v90, v83
	v_pk_fma_f16 v95, v53, v73, v96
	v_pk_fma_f16 v96, v54, v85, v97
	v_pk_fma_f16 v97, v54, v72, v98
	v_pk_fma_f16 v84, v54, v90, v84
	v_pk_fma_f16 v98, v54, v73, v99
	v_pk_fma_f16 v99, v55, v85, v100
	v_pk_fma_f16 v100, v55, v72, v101
	v_pk_fma_f16 v87, v55, v90, v87
	v_pk_fma_f16 v89, v55, v73, v89
	ds_load_2addr_b64 v[52:55], v50 offset0:128 offset1:160
	s_wait_dscnt 0x1
	v_pk_fma_f16 v101, v64, v85, v102
	v_pk_fma_f16 v102, v64, v72, v103
	;; [unrolled: 1-line block ×15, first 2 shown]
	v_and_b32_e32 v82, 0xffff, v74
	v_lshrrev_b32_e32 v74, 16, v74
	v_and_b32_e32 v85, 0xffff, v75
	v_lshrrev_b32_e32 v75, 16, v75
	ds_load_2addr_b64 v[60:63], v50 offset0:192 offset1:224
	v_mul_u32_u24_e32 v82, 0x10001, v82
	v_mul_u32_u24_e32 v74, 0x10001, v74
	;; [unrolled: 1-line block ×4, first 2 shown]
	v_pk_fma_f16 v71, v67, v73, v71
	s_wait_dscnt 0x1
	v_pk_fma_f16 v73, v52, v82, v81
	v_pk_fma_f16 v58, v52, v74, v58
	;; [unrolled: 1-line block ×16, first 2 shown]
	ds_load_2addr_b64 v[52:55], v51 offset1:32
	s_wait_dscnt 0x1
	v_pk_fma_f16 v99, v60, v82, v101
	v_pk_fma_f16 v100, v60, v74, v102
	;; [unrolled: 1-line block ×15, first 2 shown]
	v_and_b32_e32 v80, 0xffff, v76
	v_lshrrev_b32_e32 v76, 16, v76
	v_and_b32_e32 v82, 0xffff, v77
	v_lshrrev_b32_e32 v77, 16, v77
	ds_load_2addr_b64 v[64:67], v51 offset0:64 offset1:96
	v_mul_u32_u24_e32 v80, 0x10001, v80
	v_mul_u32_u24_e32 v76, 0x10001, v76
	v_mul_u32_u24_e32 v82, 0x10001, v82
	v_mul_u32_u24_e32 v77, 0x10001, v77
	v_pk_fma_f16 v71, v63, v75, v71
	s_wait_dscnt 0x1
	v_pk_fma_f16 v73, v52, v80, v73
	v_pk_fma_f16 v58, v52, v76, v58
	;; [unrolled: 1-line block ×16, first 2 shown]
	ds_load_2addr_b64 v[52:55], v51 offset0:128 offset1:160
	s_or_b32 s26, s4, 64
	s_wait_dscnt 0x1
	v_pk_fma_f16 v97, v64, v80, v99
	v_pk_fma_f16 v98, v64, v76, v100
	;; [unrolled: 1-line block ×6, first 2 shown]
	v_and_b32_e32 v64, 0xffff, v79
	ds_load_2addr_b64 v[60:63], v51 offset0:192 offset1:224
	s_wait_alu 0xfffe
	s_ashr_i32 s27, s26, 31
	v_pk_fma_f16 v160, v65, v80, v56
	v_and_b32_e32 v56, 0xffff, v78
	s_wait_alu 0xfffe
	s_mul_u64 s[26:27], s[26:27], s[14:15]
	v_pk_fma_f16 v161, v65, v76, v57
	s_wait_alu 0xfffe
	s_lshl_b64 s[26:27], s[26:27], 2
	v_lshrrev_b32_e32 v57, 16, v78
	v_mul_u32_u24_e32 v173, 0x10001, v64
	s_wait_alu 0xfffe
	s_add_nc_u64 s[26:27], s[8:9], s[26:27]
	v_mul_u32_u24_e32 v171, 0x10001, v56
	s_wait_alu 0xfffe
	v_add_co_u32 v56, vcc_lo, s26, v27
	v_pk_fma_f16 v162, v65, v82, v68
	v_lshrrev_b32_e32 v65, 16, v79
	v_mul_u32_u24_e32 v172, 0x10001, v57
	s_wait_dscnt 0x1
	v_pk_fma_f16 v185, v54, v173, v84
	s_wait_alu 0xfffd
	v_add_co_ci_u32_e64 v57, null, s27, v28, vcc_lo
	v_add_co_u32 v84, vcc_lo, s26, v29
	v_pk_fma_f16 v179, v53, v171, v85
	s_wait_alu 0xfffd
	v_add_co_ci_u32_e64 v85, null, s27, v30, vcc_lo
	v_add_co_u32 v56, vcc_lo, v56, v86
	v_mul_u32_u24_e32 v174, 0x10001, v65
	s_wait_alu 0xfffd
	v_add_co_ci_u32_e64 v57, null, 0, v57, vcc_lo
	v_add_co_u32 v84, vcc_lo, v84, v86
	s_wait_alu 0xfffd
	v_add_co_ci_u32_e64 v85, null, 0, v85, vcc_lo
	v_pk_fma_f16 v164, v66, v80, v69
	v_pk_fma_f16 v165, v66, v76, v101
	v_pk_fma_f16 v166, v66, v82, v102
	v_pk_fma_f16 v168, v67, v80, v70
	v_pk_fma_f16 v169, v67, v76, v72
	v_pk_fma_f16 v170, v67, v82, v74
	v_pk_fma_f16 v175, v67, v77, v71
	v_pk_fma_f16 v176, v52, v171, v73
	v_pk_fma_f16 v58, v52, v172, v58
	v_pk_fma_f16 v177, v52, v173, v75
	v_pk_fma_f16 v178, v52, v174, v81
	v_pk_fma_f16 v180, v53, v172, v90
	v_pk_fma_f16 v181, v53, v173, v83
	v_pk_fma_f16 v182, v53, v174, v91
	v_pk_fma_f16 v183, v54, v171, v92
	v_pk_fma_f16 v184, v54, v172, v93
	v_pk_fma_f16 v186, v54, v174, v94
	v_pk_fma_f16 v187, v55, v171, v95
	v_pk_fma_f16 v188, v55, v172, v96
	v_pk_fma_f16 v189, v55, v173, v87
	v_pk_fma_f16 v190, v55, v174, v89
	s_wait_dscnt 0x0
	v_pk_fma_f16 v191, v60, v171, v97
	v_pk_fma_f16 v192, v60, v172, v98
	;; [unrolled: 1-line block ×3, first 2 shown]
	ds_load_2addr_b64 v[52:55], v48 offset1:32
	ds_load_2addr_b64 v[64:67], v48 offset0:64 offset1:96
	ds_load_2addr_b64 v[68:71], v48 offset0:128 offset1:160
	;; [unrolled: 1-line block ×3, first 2 shown]
	ds_load_2addr_b64 v[76:79], v15 offset1:32
	ds_load_2addr_b64 v[80:83], v15 offset0:64 offset1:96
	ds_load_b128 v[87:90], v42 offset:448
	ds_load_b128 v[91:94], v42 offset:464
	ds_load_2addr_b64 v[95:98], v15 offset0:128 offset1:160
	ds_load_2addr_b64 v[99:102], v15 offset0:192 offset1:224
	ds_load_2addr_b64 v[103:106], v14 offset1:32
	ds_load_2addr_b64 v[107:110], v14 offset0:64 offset1:96
	ds_load_2addr_b64 v[111:114], v14 offset0:128 offset1:160
	ds_load_2addr_b64 v[115:118], v14 offset0:192 offset1:224
	ds_load_2addr_b64 v[119:122], v13 offset1:32
	ds_load_2addr_b64 v[123:126], v13 offset0:64 offset1:96
	ds_load_b128 v[127:130], v42 offset:480
	ds_load_b128 v[131:134], v42 offset:496
	ds_load_2addr_b64 v[135:138], v13 offset0:128 offset1:160
	ds_load_2addr_b64 v[139:142], v13 offset0:192 offset1:224
	s_wait_loadcnt_dscnt 0x0
	s_barrier_signal -1
	s_barrier_wait -1
	global_inv scope:SCOPE_SE
	s_clause 0x3
	global_load_b128 v[143:146], v[56:57], off
	global_load_b128 v[147:150], v[56:57], off offset:512
	global_load_b128 v[151:154], v[84:85], off
	global_load_b128 v[155:158], v[84:85], off offset:512
	v_pk_fma_f16 v56, v60, v174, v159
	v_pk_fma_f16 v57, v61, v171, v160
	v_pk_fma_f16 v60, v61, v172, v161
	v_pk_fma_f16 v84, v61, v173, v162
	v_pk_fma_f16 v61, v61, v174, v163
	v_pk_fma_f16 v85, v62, v171, v164
	v_and_b32_e32 v163, 0xffff, v87
	v_lshrrev_b32_e32 v87, 16, v87
	v_and_b32_e32 v164, 0xffff, v88
	v_lshrrev_b32_e32 v88, 16, v88
	v_pk_fma_f16 v159, v62, v172, v165
	v_pk_fma_f16 v160, v62, v173, v166
	v_mul_u32_u24_e32 v163, 0x10001, v163
	v_mul_u32_u24_e32 v87, 0x10001, v87
	;; [unrolled: 1-line block ×4, first 2 shown]
	v_pk_fma_f16 v62, v62, v174, v167
	v_pk_fma_f16 v161, v63, v171, v168
	v_pk_fma_f16 v162, v63, v172, v169
	v_pk_fma_f16 v166, v52, v163, v176
	v_pk_fma_f16 v58, v52, v87, v58
	v_pk_fma_f16 v167, v52, v164, v177
	v_pk_fma_f16 v52, v52, v88, v178
	v_pk_fma_f16 v168, v53, v163, v179
	v_pk_fma_f16 v177, v64, v163, v191
	v_pk_fma_f16 v178, v64, v87, v192
	v_pk_fma_f16 v179, v64, v164, v193
	v_pk_fma_f16 v56, v64, v88, v56
	v_pk_fma_f16 v57, v65, v163, v57
	v_pk_fma_f16 v60, v65, v87, v60
	v_pk_fma_f16 v64, v65, v164, v84
	v_pk_fma_f16 v61, v65, v88, v61
	v_pk_fma_f16 v65, v66, v163, v85
	v_pk_fma_f16 v84, v66, v87, v159
	v_pk_fma_f16 v85, v66, v164, v160
	v_and_b32_e32 v159, 0xffff, v89
	v_lshrrev_b32_e32 v89, 16, v89
	v_and_b32_e32 v160, 0xffff, v90
	v_lshrrev_b32_e32 v90, 16, v90
	v_pk_fma_f16 v165, v63, v173, v170
	v_pk_fma_f16 v63, v63, v174, v175
	;; [unrolled: 1-line block ×15, first 2 shown]
	v_mul_u32_u24_e32 v159, 0x10001, v159
	v_mul_u32_u24_e32 v89, 0x10001, v89
	;; [unrolled: 1-line block ×4, first 2 shown]
	v_pk_fma_f16 v66, v67, v163, v161
	v_pk_fma_f16 v161, v67, v164, v165
	v_pk_fma_f16 v63, v67, v88, v63
	v_pk_fma_f16 v67, v68, v159, v166
	v_pk_fma_f16 v58, v68, v89, v58
	v_pk_fma_f16 v88, v68, v160, v167
	v_pk_fma_f16 v52, v68, v90, v52
	v_pk_fma_f16 v68, v69, v159, v168
	v_pk_fma_f16 v162, v69, v89, v169
	v_pk_fma_f16 v163, v69, v160, v170
	v_pk_fma_f16 v53, v69, v90, v53
	v_pk_fma_f16 v69, v70, v159, v171
	v_pk_fma_f16 v164, v70, v89, v172
	v_pk_fma_f16 v165, v70, v160, v173
	v_pk_fma_f16 v54, v70, v90, v54
	v_pk_fma_f16 v70, v71, v159, v174
	v_pk_fma_f16 v166, v71, v89, v175
	v_pk_fma_f16 v167, v71, v160, v176
	v_pk_fma_f16 v55, v71, v90, v55
	v_pk_fma_f16 v71, v72, v159, v177
	v_pk_fma_f16 v168, v72, v89, v178
	v_pk_fma_f16 v169, v72, v160, v179
	v_pk_fma_f16 v56, v72, v90, v56
	v_pk_fma_f16 v57, v73, v159, v57
	v_pk_fma_f16 v60, v73, v89, v60
	v_pk_fma_f16 v64, v73, v160, v64
	v_pk_fma_f16 v61, v73, v90, v61
	v_pk_fma_f16 v65, v74, v159, v65
	v_pk_fma_f16 v72, v74, v89, v84
	v_pk_fma_f16 v73, v74, v160, v85
	v_pk_fma_f16 v62, v74, v90, v62
	v_pk_fma_f16 v74, v75, v89, v87
	v_and_b32_e32 v84, 0xffff, v91
	v_lshrrev_b32_e32 v85, 16, v91
	v_and_b32_e32 v87, 0xffff, v92
	v_lshrrev_b32_e32 v89, 16, v92
	v_pk_fma_f16 v66, v75, v159, v66
	v_mul_u32_u24_e32 v84, 0x10001, v84
	v_mul_u32_u24_e32 v85, 0x10001, v85
	v_mul_u32_u24_e32 v87, 0x10001, v87
	v_mul_u32_u24_e32 v89, 0x10001, v89
	v_pk_fma_f16 v91, v75, v160, v161
	v_pk_fma_f16 v57, v81, v84, v57
	;; [unrolled: 1-line block ×5, first 2 shown]
	v_lshrrev_b32_e32 v81, 16, v93
	v_pk_fma_f16 v63, v75, v90, v63
	v_pk_fma_f16 v67, v76, v84, v67
	;; [unrolled: 1-line block ×20, first 2 shown]
	v_mul_u32_u24_e32 v81, 0x10001, v81
	v_pk_fma_f16 v65, v82, v84, v65
	v_pk_fma_f16 v73, v82, v87, v73
	;; [unrolled: 1-line block ×3, first 2 shown]
	v_and_b32_e32 v82, 0xffff, v94
	v_pk_fma_f16 v58, v95, v81, v58
	v_pk_fma_f16 v76, v96, v81, v76
	;; [unrolled: 1-line block ×8, first 2 shown]
	v_lshrrev_b32_e32 v81, 16, v127
	v_pk_fma_f16 v71, v80, v84, v71
	v_pk_fma_f16 v159, v80, v87, v169
	;; [unrolled: 1-line block ×3, first 2 shown]
	v_and_b32_e32 v80, 0xffff, v93
	v_mul_u32_u24_e32 v82, 0x10001, v82
	v_mul_u32_u24_e32 v81, 0x10001, v81
	v_pk_fma_f16 v66, v83, v84, v66
	v_lshrrev_b32_e32 v84, 16, v94
	v_pk_fma_f16 v85, v83, v87, v91
	v_mul_u32_u24_e32 v80, 0x10001, v80
	v_pk_fma_f16 v87, v97, v82, v90
	v_and_b32_e32 v90, 0xffff, v128
	v_pk_fma_f16 v58, v103, v81, v58
	v_pk_fma_f16 v76, v104, v81, v76
	;; [unrolled: 1-line block ×8, first 2 shown]
	v_lshrrev_b32_e32 v81, 16, v129
	v_mul_u32_u24_e32 v84, 0x10001, v84
	v_pk_fma_f16 v63, v83, v89, v63
	v_pk_fma_f16 v67, v95, v80, v67
	;; [unrolled: 1-line block ×15, first 2 shown]
	v_and_b32_e32 v80, 0xffff, v127
	v_lshrrev_b32_e32 v91, 16, v128
	v_pk_fma_f16 v82, v102, v82, v85
	v_mul_u32_u24_e32 v85, 0x10001, v90
	v_mul_u32_u24_e32 v81, 0x10001, v81
	v_pk_fma_f16 v52, v95, v84, v52
	v_pk_fma_f16 v53, v96, v84, v53
	;; [unrolled: 1-line block ×7, first 2 shown]
	v_mul_u32_u24_e32 v80, 0x10001, v80
	v_mul_u32_u24_e32 v90, 0x10001, v91
	v_pk_fma_f16 v63, v102, v84, v63
	v_pk_fma_f16 v84, v105, v85, v87
	;; [unrolled: 1-line block ×4, first 2 shown]
	v_and_b32_e32 v89, 0xffff, v130
	v_lshrrev_b32_e32 v91, 16, v130
	v_pk_fma_f16 v58, v111, v81, v58
	v_pk_fma_f16 v76, v112, v81, v76
	;; [unrolled: 1-line block ×8, first 2 shown]
	v_lshrrev_b32_e32 v81, 16, v131
	v_pk_fma_f16 v67, v103, v80, v67
	v_pk_fma_f16 v75, v103, v85, v75
	;; [unrolled: 1-line block ×19, first 2 shown]
	v_and_b32_e32 v80, 0xffff, v129
	v_pk_fma_f16 v82, v110, v85, v82
	v_mul_u32_u24_e32 v85, 0x10001, v89
	v_mul_u32_u24_e32 v89, 0x10001, v91
	v_pk_fma_f16 v63, v110, v90, v63
	v_and_b32_e32 v90, 0xffff, v132
	v_lshrrev_b32_e32 v91, 16, v132
	v_mul_u32_u24_e32 v81, 0x10001, v81
	v_mul_u32_u24_e32 v80, 0x10001, v80
	v_pk_fma_f16 v75, v111, v85, v75
	v_pk_fma_f16 v52, v111, v89, v52
	;; [unrolled: 1-line block ×12, first 2 shown]
	v_mul_u32_u24_e32 v85, 0x10001, v90
	v_mul_u32_u24_e32 v90, 0x10001, v91
	v_pk_fma_f16 v58, v119, v81, v58
	v_pk_fma_f16 v76, v120, v81, v76
	;; [unrolled: 1-line block ×8, first 2 shown]
	v_lshrrev_b32_e32 v81, 16, v134
	v_pk_fma_f16 v67, v111, v80, v67
	v_pk_fma_f16 v68, v112, v80, v68
	v_pk_fma_f16 v69, v113, v80, v69
	v_pk_fma_f16 v70, v114, v80, v70
	v_pk_fma_f16 v71, v115, v80, v71
	v_pk_fma_f16 v56, v115, v89, v56
	v_pk_fma_f16 v57, v116, v80, v57
	v_pk_fma_f16 v61, v116, v89, v61
	v_pk_fma_f16 v65, v117, v80, v65
	v_pk_fma_f16 v62, v117, v89, v62
	v_pk_fma_f16 v66, v118, v80, v66
	v_and_b32_e32 v80, 0xffff, v131
	v_pk_fma_f16 v63, v118, v89, v63
	v_pk_fma_f16 v52, v119, v90, v52
	;; [unrolled: 1-line block ×5, first 2 shown]
	v_and_b32_e32 v55, 0xffff, v133
	v_mul_u32_u24_e32 v81, 0x10001, v81
	v_mul_u32_u24_e32 v80, 0x10001, v80
	v_pk_fma_f16 v75, v119, v85, v75
	v_pk_fma_f16 v83, v120, v85, v83
	;; [unrolled: 1-line block ×8, first 2 shown]
	v_lshrrev_b32_e32 v62, 16, v133
	v_pk_fma_f16 v82, v126, v85, v82
	v_mul_u32_u24_e32 v85, 0x10001, v55
	v_pk_fma_f16 v95, v135, v81, v52
	v_pk_fma_f16 v98, v136, v81, v53
	;; [unrolled: 1-line block ×3, first 2 shown]
	s_wait_loadcnt 0x3
	ds_store_b128 v43, v[143:146]
	s_wait_loadcnt 0x2
	ds_store_b128 v44, v[147:150]
	;; [unrolled: 2-line block ×4, first 2 shown]
	s_wait_dscnt 0x0
	s_barrier_signal -1
	s_barrier_wait -1
	global_inv scope:SCOPE_SE
	ds_load_b128 v[52:55], v42 offset:512
	v_pk_fma_f16 v68, v120, v80, v68
	v_pk_fma_f16 v69, v121, v80, v69
	;; [unrolled: 1-line block ×5, first 2 shown]
	v_mul_u32_u24_e32 v92, 0x10001, v62
	v_pk_fma_f16 v67, v119, v80, v67
	v_pk_fma_f16 v56, v123, v90, v56
	;; [unrolled: 1-line block ×5, first 2 shown]
	v_and_b32_e32 v80, 0xffff, v134
	v_pk_fma_f16 v90, v126, v90, v63
	v_pk_fma_f16 v96, v136, v85, v68
	v_pk_fma_f16 v99, v137, v85, v69
	v_pk_fma_f16 v102, v138, v85, v70
	v_pk_fma_f16 v104, v139, v85, v71
	v_pk_fma_f16 v106, v140, v92, v60
	v_pk_fma_f16 v108, v140, v81, v61
	ds_load_2addr_b64 v[60:63], v59 offset1:32
	ds_load_2addr_b64 v[68:71], v59 offset0:64 offset1:96
	v_mul_u32_u24_e32 v80, 0x10001, v80
	v_pk_fma_f16 v93, v135, v85, v67
	v_pk_fma_f16 v57, v140, v85, v57
	;; [unrolled: 1-line block ×7, first 2 shown]
	ds_load_b128 v[64:67], v42 offset:528
	s_wait_dscnt 0x3
	v_and_b32_e32 v72, 0xffff, v52
	v_lshrrev_b32_e32 v52, 16, v52
	v_and_b32_e32 v73, 0xffff, v53
	v_lshrrev_b32_e32 v53, 16, v53
	v_pk_fma_f16 v58, v135, v92, v58
	v_pk_fma_f16 v94, v135, v80, v75
	;; [unrolled: 1-line block ×16, first 2 shown]
	v_mul_u32_u24_e32 v82, 0x10001, v72
	v_mul_u32_u24_e32 v52, 0x10001, v52
	;; [unrolled: 1-line block ×4, first 2 shown]
	ds_load_b128 v[72:75], v42 offset:544
	ds_load_b128 v[76:79], v42 offset:560
	s_wait_dscnt 0x4
	v_pk_fma_f16 v93, v60, v82, v93
	v_pk_fma_f16 v58, v60, v52, v58
	;; [unrolled: 1-line block ×16, first 2 shown]
	s_wait_dscnt 0x3
	v_pk_fma_f16 v104, v68, v82, v104
	v_pk_fma_f16 v105, v68, v52, v105
	;; [unrolled: 1-line block ×6, first 2 shown]
	ds_load_2addr_b64 v[60:63], v59 offset0:128 offset1:160
	v_pk_fma_f16 v106, v69, v90, v107
	v_pk_fma_f16 v69, v69, v112, v108
	;; [unrolled: 1-line block ×9, first 2 shown]
	v_and_b32_e32 v90, 0xffff, v54
	v_lshrrev_b32_e32 v91, 16, v54
	v_and_b32_e32 v92, 0xffff, v55
	v_lshrrev_b32_e32 v110, 16, v55
	ds_load_2addr_b64 v[52:55], v59 offset0:192 offset1:224
	v_mul_u32_u24_e32 v90, 0x10001, v90
	v_mul_u32_u24_e32 v91, 0x10001, v91
	;; [unrolled: 1-line block ×4, first 2 shown]
	v_pk_fma_f16 v81, v71, v112, v81
	s_wait_dscnt 0x1
	v_pk_fma_f16 v93, v60, v90, v93
	v_pk_fma_f16 v58, v60, v91, v58
	;; [unrolled: 1-line block ×16, first 2 shown]
	s_wait_dscnt 0x0
	v_pk_fma_f16 v104, v52, v90, v104
	v_pk_fma_f16 v105, v52, v91, v105
	;; [unrolled: 1-line block ×6, first 2 shown]
	ds_load_2addr_b64 v[60:63], v49 offset1:32
	v_pk_fma_f16 v111, v53, v110, v69
	v_pk_fma_f16 v112, v54, v110, v70
	ds_load_2addr_b64 v[68:71], v49 offset0:64 offset1:96
	v_pk_fma_f16 v106, v53, v92, v106
	v_pk_fma_f16 v107, v54, v90, v107
	;; [unrolled: 1-line block ×4, first 2 shown]
	v_and_b32_e32 v53, 0xffff, v64
	v_lshrrev_b32_e32 v54, 16, v64
	v_and_b32_e32 v64, 0xffff, v65
	v_lshrrev_b32_e32 v65, 16, v65
	v_pk_fma_f16 v82, v55, v90, v82
	v_pk_fma_f16 v85, v55, v91, v85
	v_mul_u32_u24_e32 v90, 0x10001, v53
	v_mul_u32_u24_e32 v91, 0x10001, v54
	;; [unrolled: 1-line block ×4, first 2 shown]
	v_pk_fma_f16 v80, v55, v92, v80
	v_pk_fma_f16 v81, v55, v110, v81
	s_wait_dscnt 0x1
	v_pk_fma_f16 v92, v60, v90, v93
	v_pk_fma_f16 v93, v60, v64, v94
	;; [unrolled: 1-line block ×11, first 2 shown]
	s_wait_dscnt 0x0
	v_pk_fma_f16 v103, v68, v90, v104
	v_pk_fma_f16 v104, v68, v91, v105
	;; [unrolled: 1-line block ×4, first 2 shown]
	ds_load_2addr_b64 v[52:55], v49 offset0:128 offset1:160
	v_pk_fma_f16 v58, v60, v91, v58
	v_pk_fma_f16 v83, v61, v64, v83
	;; [unrolled: 1-line block ×12, first 2 shown]
	v_and_b32_e32 v80, 0xffff, v66
	v_lshrrev_b32_e32 v66, 16, v66
	v_and_b32_e32 v90, 0xffff, v67
	v_lshrrev_b32_e32 v67, 16, v67
	ds_load_2addr_b64 v[60:63], v49 offset0:192 offset1:224
	v_pk_fma_f16 v57, v69, v91, v57
	v_pk_fma_f16 v85, v71, v91, v85
	v_mul_u32_u24_e32 v80, 0x10001, v80
	v_mul_u32_u24_e32 v66, 0x10001, v66
	;; [unrolled: 1-line block ×4, first 2 shown]
	v_pk_fma_f16 v71, v71, v65, v81
	s_wait_dscnt 0x1
	v_pk_fma_f16 v81, v52, v80, v92
	v_pk_fma_f16 v58, v52, v66, v58
	;; [unrolled: 1-line block ×16, first 2 shown]
	ds_load_2addr_b64 v[52:55], v50 offset1:32
	v_pk_fma_f16 v69, v69, v65, v111
	v_pk_fma_f16 v70, v70, v65, v112
	s_wait_dscnt 0x1
	v_pk_fma_f16 v102, v60, v80, v103
	v_pk_fma_f16 v103, v60, v66, v104
	;; [unrolled: 1-line block ×15, first 2 shown]
	v_and_b32_e32 v85, 0xffff, v72
	v_lshrrev_b32_e32 v72, 16, v72
	v_and_b32_e32 v90, 0xffff, v73
	v_lshrrev_b32_e32 v73, 16, v73
	ds_load_2addr_b64 v[64:67], v50 offset0:64 offset1:96
	v_mul_u32_u24_e32 v85, 0x10001, v85
	v_mul_u32_u24_e32 v72, 0x10001, v72
	;; [unrolled: 1-line block ×4, first 2 shown]
	v_pk_fma_f16 v71, v63, v91, v71
	s_wait_dscnt 0x1
	v_pk_fma_f16 v81, v52, v85, v81
	v_pk_fma_f16 v58, v52, v72, v58
	;; [unrolled: 1-line block ×16, first 2 shown]
	ds_load_2addr_b64 v[52:55], v50 offset0:128 offset1:160
	s_wait_dscnt 0x1
	v_pk_fma_f16 v101, v64, v85, v102
	v_pk_fma_f16 v102, v64, v72, v103
	;; [unrolled: 1-line block ×15, first 2 shown]
	v_and_b32_e32 v82, 0xffff, v74
	v_lshrrev_b32_e32 v74, 16, v74
	v_and_b32_e32 v85, 0xffff, v75
	v_lshrrev_b32_e32 v75, 16, v75
	ds_load_2addr_b64 v[60:63], v50 offset0:192 offset1:224
	v_mul_u32_u24_e32 v82, 0x10001, v82
	v_mul_u32_u24_e32 v74, 0x10001, v74
	;; [unrolled: 1-line block ×4, first 2 shown]
	v_pk_fma_f16 v71, v67, v73, v71
	s_wait_dscnt 0x1
	v_pk_fma_f16 v73, v52, v82, v81
	v_pk_fma_f16 v58, v52, v74, v58
	;; [unrolled: 1-line block ×16, first 2 shown]
	ds_load_2addr_b64 v[52:55], v51 offset1:32
	s_wait_dscnt 0x1
	v_pk_fma_f16 v99, v60, v82, v101
	v_pk_fma_f16 v100, v60, v74, v102
	;; [unrolled: 1-line block ×15, first 2 shown]
	v_and_b32_e32 v80, 0xffff, v76
	v_lshrrev_b32_e32 v76, 16, v76
	v_and_b32_e32 v82, 0xffff, v77
	v_lshrrev_b32_e32 v77, 16, v77
	ds_load_2addr_b64 v[64:67], v51 offset0:64 offset1:96
	v_mul_u32_u24_e32 v80, 0x10001, v80
	v_mul_u32_u24_e32 v76, 0x10001, v76
	;; [unrolled: 1-line block ×4, first 2 shown]
	v_pk_fma_f16 v71, v63, v75, v71
	s_wait_dscnt 0x1
	v_pk_fma_f16 v73, v52, v80, v73
	v_pk_fma_f16 v58, v52, v76, v58
	;; [unrolled: 1-line block ×16, first 2 shown]
	ds_load_2addr_b64 v[52:55], v51 offset0:128 offset1:160
	s_or_b32 s26, s4, 0x50
	s_wait_dscnt 0x1
	v_pk_fma_f16 v97, v64, v80, v99
	v_pk_fma_f16 v98, v64, v76, v100
	;; [unrolled: 1-line block ×6, first 2 shown]
	v_and_b32_e32 v64, 0xffff, v79
	ds_load_2addr_b64 v[60:63], v51 offset0:192 offset1:224
	s_wait_alu 0xfffe
	s_ashr_i32 s27, s26, 31
	v_pk_fma_f16 v160, v65, v80, v56
	v_and_b32_e32 v56, 0xffff, v78
	s_wait_alu 0xfffe
	s_mul_u64 s[26:27], s[26:27], s[14:15]
	v_pk_fma_f16 v161, v65, v76, v57
	s_wait_alu 0xfffe
	s_lshl_b64 s[26:27], s[26:27], 2
	v_lshrrev_b32_e32 v57, 16, v78
	v_mul_u32_u24_e32 v173, 0x10001, v64
	s_wait_alu 0xfffe
	s_add_nc_u64 s[26:27], s[8:9], s[26:27]
	v_mul_u32_u24_e32 v171, 0x10001, v56
	s_wait_alu 0xfffe
	v_add_co_u32 v56, vcc_lo, s26, v27
	v_pk_fma_f16 v162, v65, v82, v68
	v_lshrrev_b32_e32 v65, 16, v79
	v_mul_u32_u24_e32 v172, 0x10001, v57
	s_wait_dscnt 0x1
	v_pk_fma_f16 v185, v54, v173, v84
	s_wait_alu 0xfffd
	v_add_co_ci_u32_e64 v57, null, s27, v28, vcc_lo
	v_add_co_u32 v84, vcc_lo, s26, v29
	v_pk_fma_f16 v179, v53, v171, v85
	s_wait_alu 0xfffd
	v_add_co_ci_u32_e64 v85, null, s27, v30, vcc_lo
	v_add_co_u32 v56, vcc_lo, v56, v86
	v_mul_u32_u24_e32 v174, 0x10001, v65
	s_wait_alu 0xfffd
	v_add_co_ci_u32_e64 v57, null, 0, v57, vcc_lo
	v_add_co_u32 v84, vcc_lo, v84, v86
	s_wait_alu 0xfffd
	v_add_co_ci_u32_e64 v85, null, 0, v85, vcc_lo
	v_pk_fma_f16 v164, v66, v80, v69
	v_pk_fma_f16 v165, v66, v76, v101
	;; [unrolled: 1-line block ×21, first 2 shown]
	s_wait_dscnt 0x0
	v_pk_fma_f16 v191, v60, v171, v97
	v_pk_fma_f16 v192, v60, v172, v98
	;; [unrolled: 1-line block ×3, first 2 shown]
	ds_load_2addr_b64 v[52:55], v48 offset1:32
	ds_load_2addr_b64 v[64:67], v48 offset0:64 offset1:96
	ds_load_2addr_b64 v[68:71], v48 offset0:128 offset1:160
	;; [unrolled: 1-line block ×3, first 2 shown]
	ds_load_2addr_b64 v[76:79], v15 offset1:32
	ds_load_2addr_b64 v[80:83], v15 offset0:64 offset1:96
	ds_load_b128 v[87:90], v42 offset:576
	ds_load_b128 v[91:94], v42 offset:592
	ds_load_2addr_b64 v[95:98], v15 offset0:128 offset1:160
	ds_load_2addr_b64 v[99:102], v15 offset0:192 offset1:224
	ds_load_2addr_b64 v[103:106], v14 offset1:32
	ds_load_2addr_b64 v[107:110], v14 offset0:64 offset1:96
	ds_load_2addr_b64 v[111:114], v14 offset0:128 offset1:160
	;; [unrolled: 1-line block ×3, first 2 shown]
	ds_load_2addr_b64 v[119:122], v13 offset1:32
	ds_load_2addr_b64 v[123:126], v13 offset0:64 offset1:96
	ds_load_b128 v[127:130], v42 offset:608
	ds_load_b128 v[131:134], v42 offset:624
	ds_load_2addr_b64 v[135:138], v13 offset0:128 offset1:160
	ds_load_2addr_b64 v[139:142], v13 offset0:192 offset1:224
	s_wait_loadcnt_dscnt 0x0
	s_barrier_signal -1
	s_barrier_wait -1
	global_inv scope:SCOPE_SE
	s_clause 0x3
	global_load_b128 v[143:146], v[56:57], off
	global_load_b128 v[147:150], v[56:57], off offset:512
	global_load_b128 v[151:154], v[84:85], off
	global_load_b128 v[155:158], v[84:85], off offset:512
	v_pk_fma_f16 v56, v60, v174, v159
	v_pk_fma_f16 v57, v61, v171, v160
	;; [unrolled: 1-line block ×6, first 2 shown]
	v_and_b32_e32 v163, 0xffff, v87
	v_lshrrev_b32_e32 v87, 16, v87
	v_and_b32_e32 v164, 0xffff, v88
	v_lshrrev_b32_e32 v88, 16, v88
	v_pk_fma_f16 v159, v62, v172, v165
	v_pk_fma_f16 v160, v62, v173, v166
	v_mul_u32_u24_e32 v163, 0x10001, v163
	v_mul_u32_u24_e32 v87, 0x10001, v87
	v_mul_u32_u24_e32 v164, 0x10001, v164
	v_mul_u32_u24_e32 v88, 0x10001, v88
	v_pk_fma_f16 v62, v62, v174, v167
	v_pk_fma_f16 v161, v63, v171, v168
	;; [unrolled: 1-line block ×19, first 2 shown]
	v_and_b32_e32 v159, 0xffff, v89
	v_lshrrev_b32_e32 v89, 16, v89
	v_and_b32_e32 v160, 0xffff, v90
	v_lshrrev_b32_e32 v90, 16, v90
	v_pk_fma_f16 v165, v63, v173, v170
	v_pk_fma_f16 v63, v63, v174, v175
	;; [unrolled: 1-line block ×15, first 2 shown]
	v_mul_u32_u24_e32 v159, 0x10001, v159
	v_mul_u32_u24_e32 v89, 0x10001, v89
	;; [unrolled: 1-line block ×4, first 2 shown]
	v_pk_fma_f16 v66, v67, v163, v161
	v_pk_fma_f16 v161, v67, v164, v165
	;; [unrolled: 1-line block ×32, first 2 shown]
	v_and_b32_e32 v84, 0xffff, v91
	v_lshrrev_b32_e32 v85, 16, v91
	v_and_b32_e32 v87, 0xffff, v92
	v_lshrrev_b32_e32 v89, 16, v92
	v_pk_fma_f16 v66, v75, v159, v66
	v_mul_u32_u24_e32 v84, 0x10001, v84
	v_mul_u32_u24_e32 v85, 0x10001, v85
	;; [unrolled: 1-line block ×4, first 2 shown]
	v_pk_fma_f16 v91, v75, v160, v161
	v_pk_fma_f16 v57, v81, v84, v57
	;; [unrolled: 1-line block ×5, first 2 shown]
	v_lshrrev_b32_e32 v81, 16, v93
	v_pk_fma_f16 v63, v75, v90, v63
	v_pk_fma_f16 v67, v76, v84, v67
	v_pk_fma_f16 v58, v76, v85, v58
	v_pk_fma_f16 v75, v76, v87, v88
	v_pk_fma_f16 v52, v76, v89, v52
	v_pk_fma_f16 v68, v77, v84, v68
	v_pk_fma_f16 v76, v77, v85, v162
	v_pk_fma_f16 v88, v77, v87, v163
	v_pk_fma_f16 v53, v77, v89, v53
	v_pk_fma_f16 v69, v78, v84, v69
	v_pk_fma_f16 v77, v78, v85, v164
	v_pk_fma_f16 v90, v78, v87, v165
	v_pk_fma_f16 v54, v78, v89, v54
	v_pk_fma_f16 v70, v79, v84, v70
	v_pk_fma_f16 v78, v79, v85, v166
	v_pk_fma_f16 v92, v79, v87, v167
	v_pk_fma_f16 v55, v79, v89, v55
	v_pk_fma_f16 v79, v80, v85, v168
	v_pk_fma_f16 v72, v82, v85, v72
	v_pk_fma_f16 v74, v83, v85, v74
	v_mul_u32_u24_e32 v81, 0x10001, v81
	v_pk_fma_f16 v65, v82, v84, v65
	v_pk_fma_f16 v73, v82, v87, v73
	;; [unrolled: 1-line block ×3, first 2 shown]
	v_and_b32_e32 v82, 0xffff, v94
	v_pk_fma_f16 v58, v95, v81, v58
	v_pk_fma_f16 v76, v96, v81, v76
	;; [unrolled: 1-line block ×8, first 2 shown]
	v_lshrrev_b32_e32 v81, 16, v127
	v_pk_fma_f16 v71, v80, v84, v71
	v_pk_fma_f16 v159, v80, v87, v169
	;; [unrolled: 1-line block ×3, first 2 shown]
	v_and_b32_e32 v80, 0xffff, v93
	v_mul_u32_u24_e32 v82, 0x10001, v82
	v_mul_u32_u24_e32 v81, 0x10001, v81
	v_pk_fma_f16 v66, v83, v84, v66
	v_lshrrev_b32_e32 v84, 16, v94
	v_pk_fma_f16 v85, v83, v87, v91
	v_mul_u32_u24_e32 v80, 0x10001, v80
	v_pk_fma_f16 v87, v97, v82, v90
	v_and_b32_e32 v90, 0xffff, v128
	v_pk_fma_f16 v58, v103, v81, v58
	v_pk_fma_f16 v76, v104, v81, v76
	;; [unrolled: 1-line block ×8, first 2 shown]
	v_lshrrev_b32_e32 v81, 16, v129
	v_mul_u32_u24_e32 v84, 0x10001, v84
	v_pk_fma_f16 v63, v83, v89, v63
	v_pk_fma_f16 v67, v95, v80, v67
	;; [unrolled: 1-line block ×15, first 2 shown]
	v_and_b32_e32 v80, 0xffff, v127
	v_lshrrev_b32_e32 v91, 16, v128
	v_pk_fma_f16 v82, v102, v82, v85
	v_mul_u32_u24_e32 v85, 0x10001, v90
	v_mul_u32_u24_e32 v81, 0x10001, v81
	v_pk_fma_f16 v52, v95, v84, v52
	v_pk_fma_f16 v53, v96, v84, v53
	;; [unrolled: 1-line block ×7, first 2 shown]
	v_mul_u32_u24_e32 v80, 0x10001, v80
	v_mul_u32_u24_e32 v90, 0x10001, v91
	v_pk_fma_f16 v63, v102, v84, v63
	v_pk_fma_f16 v84, v105, v85, v87
	;; [unrolled: 1-line block ×4, first 2 shown]
	v_and_b32_e32 v89, 0xffff, v130
	v_lshrrev_b32_e32 v91, 16, v130
	v_pk_fma_f16 v58, v111, v81, v58
	v_pk_fma_f16 v76, v112, v81, v76
	;; [unrolled: 1-line block ×8, first 2 shown]
	v_lshrrev_b32_e32 v81, 16, v131
	v_pk_fma_f16 v67, v103, v80, v67
	v_pk_fma_f16 v75, v103, v85, v75
	;; [unrolled: 1-line block ×19, first 2 shown]
	v_and_b32_e32 v80, 0xffff, v129
	v_pk_fma_f16 v82, v110, v85, v82
	v_mul_u32_u24_e32 v85, 0x10001, v89
	v_mul_u32_u24_e32 v89, 0x10001, v91
	v_pk_fma_f16 v63, v110, v90, v63
	v_and_b32_e32 v90, 0xffff, v132
	v_lshrrev_b32_e32 v91, 16, v132
	v_mul_u32_u24_e32 v81, 0x10001, v81
	v_mul_u32_u24_e32 v80, 0x10001, v80
	v_pk_fma_f16 v75, v111, v85, v75
	v_pk_fma_f16 v52, v111, v89, v52
	;; [unrolled: 1-line block ×12, first 2 shown]
	v_mul_u32_u24_e32 v85, 0x10001, v90
	v_mul_u32_u24_e32 v90, 0x10001, v91
	v_pk_fma_f16 v58, v119, v81, v58
	v_pk_fma_f16 v76, v120, v81, v76
	;; [unrolled: 1-line block ×8, first 2 shown]
	v_lshrrev_b32_e32 v81, 16, v134
	v_pk_fma_f16 v67, v111, v80, v67
	v_pk_fma_f16 v68, v112, v80, v68
	;; [unrolled: 1-line block ×11, first 2 shown]
	v_and_b32_e32 v80, 0xffff, v131
	v_pk_fma_f16 v63, v118, v89, v63
	v_pk_fma_f16 v52, v119, v90, v52
	;; [unrolled: 1-line block ×5, first 2 shown]
	v_and_b32_e32 v55, 0xffff, v133
	v_mul_u32_u24_e32 v81, 0x10001, v81
	v_mul_u32_u24_e32 v80, 0x10001, v80
	v_pk_fma_f16 v75, v119, v85, v75
	v_pk_fma_f16 v83, v120, v85, v83
	;; [unrolled: 1-line block ×8, first 2 shown]
	v_lshrrev_b32_e32 v62, 16, v133
	v_pk_fma_f16 v82, v126, v85, v82
	v_mul_u32_u24_e32 v85, 0x10001, v55
	v_pk_fma_f16 v95, v135, v81, v52
	v_pk_fma_f16 v98, v136, v81, v53
	;; [unrolled: 1-line block ×3, first 2 shown]
	s_wait_loadcnt 0x3
	ds_store_b128 v43, v[143:146]
	s_wait_loadcnt 0x2
	ds_store_b128 v44, v[147:150]
	;; [unrolled: 2-line block ×4, first 2 shown]
	s_wait_dscnt 0x0
	s_barrier_signal -1
	s_barrier_wait -1
	global_inv scope:SCOPE_SE
	ds_load_b128 v[52:55], v42 offset:640
	v_pk_fma_f16 v68, v120, v80, v68
	v_pk_fma_f16 v69, v121, v80, v69
	;; [unrolled: 1-line block ×5, first 2 shown]
	v_mul_u32_u24_e32 v92, 0x10001, v62
	v_pk_fma_f16 v67, v119, v80, v67
	v_pk_fma_f16 v56, v123, v90, v56
	;; [unrolled: 1-line block ×5, first 2 shown]
	v_and_b32_e32 v80, 0xffff, v134
	v_pk_fma_f16 v90, v126, v90, v63
	v_pk_fma_f16 v96, v136, v85, v68
	;; [unrolled: 1-line block ×7, first 2 shown]
	ds_load_2addr_b64 v[60:63], v59 offset1:32
	ds_load_2addr_b64 v[68:71], v59 offset0:64 offset1:96
	v_mul_u32_u24_e32 v80, 0x10001, v80
	v_pk_fma_f16 v93, v135, v85, v67
	v_pk_fma_f16 v57, v140, v85, v57
	;; [unrolled: 1-line block ×7, first 2 shown]
	ds_load_b128 v[64:67], v42 offset:656
	s_wait_dscnt 0x3
	v_and_b32_e32 v72, 0xffff, v52
	v_lshrrev_b32_e32 v52, 16, v52
	v_and_b32_e32 v73, 0xffff, v53
	v_lshrrev_b32_e32 v53, 16, v53
	v_pk_fma_f16 v58, v135, v92, v58
	v_pk_fma_f16 v94, v135, v80, v75
	;; [unrolled: 1-line block ×16, first 2 shown]
	v_mul_u32_u24_e32 v82, 0x10001, v72
	v_mul_u32_u24_e32 v52, 0x10001, v52
	;; [unrolled: 1-line block ×4, first 2 shown]
	ds_load_b128 v[72:75], v42 offset:672
	ds_load_b128 v[76:79], v42 offset:688
	s_wait_dscnt 0x4
	v_pk_fma_f16 v93, v60, v82, v93
	v_pk_fma_f16 v58, v60, v52, v58
	;; [unrolled: 1-line block ×16, first 2 shown]
	s_wait_dscnt 0x3
	v_pk_fma_f16 v104, v68, v82, v104
	v_pk_fma_f16 v105, v68, v52, v105
	;; [unrolled: 1-line block ×6, first 2 shown]
	ds_load_2addr_b64 v[60:63], v59 offset0:128 offset1:160
	v_pk_fma_f16 v106, v69, v90, v107
	v_pk_fma_f16 v69, v69, v112, v108
	;; [unrolled: 1-line block ×9, first 2 shown]
	v_and_b32_e32 v90, 0xffff, v54
	v_lshrrev_b32_e32 v91, 16, v54
	v_and_b32_e32 v92, 0xffff, v55
	v_lshrrev_b32_e32 v110, 16, v55
	ds_load_2addr_b64 v[52:55], v59 offset0:192 offset1:224
	v_mul_u32_u24_e32 v90, 0x10001, v90
	v_mul_u32_u24_e32 v91, 0x10001, v91
	;; [unrolled: 1-line block ×4, first 2 shown]
	v_pk_fma_f16 v81, v71, v112, v81
	s_wait_dscnt 0x1
	v_pk_fma_f16 v93, v60, v90, v93
	v_pk_fma_f16 v58, v60, v91, v58
	;; [unrolled: 1-line block ×16, first 2 shown]
	s_wait_dscnt 0x0
	v_pk_fma_f16 v104, v52, v90, v104
	v_pk_fma_f16 v105, v52, v91, v105
	;; [unrolled: 1-line block ×6, first 2 shown]
	ds_load_2addr_b64 v[60:63], v49 offset1:32
	v_pk_fma_f16 v111, v53, v110, v69
	v_pk_fma_f16 v112, v54, v110, v70
	ds_load_2addr_b64 v[68:71], v49 offset0:64 offset1:96
	v_pk_fma_f16 v106, v53, v92, v106
	v_pk_fma_f16 v107, v54, v90, v107
	;; [unrolled: 1-line block ×4, first 2 shown]
	v_and_b32_e32 v53, 0xffff, v64
	v_lshrrev_b32_e32 v54, 16, v64
	v_and_b32_e32 v64, 0xffff, v65
	v_lshrrev_b32_e32 v65, 16, v65
	v_pk_fma_f16 v82, v55, v90, v82
	v_pk_fma_f16 v85, v55, v91, v85
	v_mul_u32_u24_e32 v90, 0x10001, v53
	v_mul_u32_u24_e32 v91, 0x10001, v54
	;; [unrolled: 1-line block ×4, first 2 shown]
	v_pk_fma_f16 v80, v55, v92, v80
	v_pk_fma_f16 v81, v55, v110, v81
	s_wait_dscnt 0x1
	v_pk_fma_f16 v92, v60, v90, v93
	v_pk_fma_f16 v93, v60, v64, v94
	;; [unrolled: 1-line block ×11, first 2 shown]
	s_wait_dscnt 0x0
	v_pk_fma_f16 v103, v68, v90, v104
	v_pk_fma_f16 v104, v68, v91, v105
	;; [unrolled: 1-line block ×4, first 2 shown]
	ds_load_2addr_b64 v[52:55], v49 offset0:128 offset1:160
	v_pk_fma_f16 v58, v60, v91, v58
	v_pk_fma_f16 v83, v61, v64, v83
	v_pk_fma_f16 v84, v62, v64, v84
	v_pk_fma_f16 v87, v63, v64, v87
	v_pk_fma_f16 v89, v63, v65, v89
	v_pk_fma_f16 v56, v69, v90, v56
	v_pk_fma_f16 v105, v69, v64, v106
	v_pk_fma_f16 v106, v70, v90, v107
	v_pk_fma_f16 v107, v70, v91, v108
	v_pk_fma_f16 v108, v70, v64, v109
	v_pk_fma_f16 v82, v71, v90, v82
	v_pk_fma_f16 v64, v71, v64, v80
	v_and_b32_e32 v80, 0xffff, v66
	v_lshrrev_b32_e32 v66, 16, v66
	v_and_b32_e32 v90, 0xffff, v67
	v_lshrrev_b32_e32 v67, 16, v67
	ds_load_2addr_b64 v[60:63], v49 offset0:192 offset1:224
	v_pk_fma_f16 v57, v69, v91, v57
	v_pk_fma_f16 v85, v71, v91, v85
	v_mul_u32_u24_e32 v80, 0x10001, v80
	v_mul_u32_u24_e32 v66, 0x10001, v66
	;; [unrolled: 1-line block ×4, first 2 shown]
	v_pk_fma_f16 v71, v71, v65, v81
	s_wait_dscnt 0x1
	v_pk_fma_f16 v81, v52, v80, v92
	v_pk_fma_f16 v58, v52, v66, v58
	;; [unrolled: 1-line block ×16, first 2 shown]
	ds_load_2addr_b64 v[52:55], v50 offset1:32
	v_pk_fma_f16 v69, v69, v65, v111
	v_pk_fma_f16 v70, v70, v65, v112
	s_wait_dscnt 0x1
	v_pk_fma_f16 v102, v60, v80, v103
	v_pk_fma_f16 v103, v60, v66, v104
	v_pk_fma_f16 v88, v60, v90, v88
	v_pk_fma_f16 v60, v60, v91, v68
	v_pk_fma_f16 v56, v61, v80, v56
	v_pk_fma_f16 v57, v61, v66, v57
	v_pk_fma_f16 v68, v61, v90, v105
	v_pk_fma_f16 v61, v61, v91, v69
	v_pk_fma_f16 v69, v62, v80, v106
	v_pk_fma_f16 v104, v62, v66, v107
	v_pk_fma_f16 v105, v62, v90, v108
	v_pk_fma_f16 v62, v62, v91, v70
	v_pk_fma_f16 v70, v63, v80, v82
	v_pk_fma_f16 v80, v63, v66, v85
	v_pk_fma_f16 v82, v63, v90, v64
	v_and_b32_e32 v85, 0xffff, v72
	v_lshrrev_b32_e32 v72, 16, v72
	v_and_b32_e32 v90, 0xffff, v73
	v_lshrrev_b32_e32 v73, 16, v73
	ds_load_2addr_b64 v[64:67], v50 offset0:64 offset1:96
	v_mul_u32_u24_e32 v85, 0x10001, v85
	v_mul_u32_u24_e32 v72, 0x10001, v72
	;; [unrolled: 1-line block ×4, first 2 shown]
	v_pk_fma_f16 v71, v63, v91, v71
	s_wait_dscnt 0x1
	v_pk_fma_f16 v81, v52, v85, v81
	v_pk_fma_f16 v58, v52, v72, v58
	;; [unrolled: 1-line block ×16, first 2 shown]
	ds_load_2addr_b64 v[52:55], v50 offset0:128 offset1:160
	s_wait_dscnt 0x1
	v_pk_fma_f16 v101, v64, v85, v102
	v_pk_fma_f16 v102, v64, v72, v103
	;; [unrolled: 1-line block ×15, first 2 shown]
	v_and_b32_e32 v82, 0xffff, v74
	v_lshrrev_b32_e32 v74, 16, v74
	v_and_b32_e32 v85, 0xffff, v75
	v_lshrrev_b32_e32 v75, 16, v75
	ds_load_2addr_b64 v[60:63], v50 offset0:192 offset1:224
	v_mul_u32_u24_e32 v82, 0x10001, v82
	v_mul_u32_u24_e32 v74, 0x10001, v74
	;; [unrolled: 1-line block ×4, first 2 shown]
	v_pk_fma_f16 v71, v67, v73, v71
	s_wait_dscnt 0x1
	v_pk_fma_f16 v73, v52, v82, v81
	v_pk_fma_f16 v58, v52, v74, v58
	;; [unrolled: 1-line block ×16, first 2 shown]
	ds_load_2addr_b64 v[52:55], v51 offset1:32
	s_wait_dscnt 0x1
	v_pk_fma_f16 v99, v60, v82, v101
	v_pk_fma_f16 v100, v60, v74, v102
	;; [unrolled: 1-line block ×15, first 2 shown]
	v_and_b32_e32 v80, 0xffff, v76
	v_lshrrev_b32_e32 v76, 16, v76
	v_and_b32_e32 v82, 0xffff, v77
	v_lshrrev_b32_e32 v77, 16, v77
	ds_load_2addr_b64 v[64:67], v51 offset0:64 offset1:96
	v_mul_u32_u24_e32 v80, 0x10001, v80
	v_mul_u32_u24_e32 v76, 0x10001, v76
	v_mul_u32_u24_e32 v82, 0x10001, v82
	v_mul_u32_u24_e32 v77, 0x10001, v77
	v_pk_fma_f16 v71, v63, v75, v71
	s_wait_dscnt 0x1
	v_pk_fma_f16 v73, v52, v80, v73
	v_pk_fma_f16 v58, v52, v76, v58
	;; [unrolled: 1-line block ×16, first 2 shown]
	ds_load_2addr_b64 v[52:55], v51 offset0:128 offset1:160
	s_or_b32 s26, s4, 0x60
	s_wait_dscnt 0x1
	v_pk_fma_f16 v97, v64, v80, v99
	v_pk_fma_f16 v98, v64, v76, v100
	;; [unrolled: 1-line block ×6, first 2 shown]
	v_and_b32_e32 v64, 0xffff, v79
	ds_load_2addr_b64 v[60:63], v51 offset0:192 offset1:224
	s_wait_alu 0xfffe
	s_ashr_i32 s27, s26, 31
	v_pk_fma_f16 v160, v65, v80, v56
	v_and_b32_e32 v56, 0xffff, v78
	s_wait_alu 0xfffe
	s_mul_u64 s[26:27], s[26:27], s[14:15]
	v_pk_fma_f16 v161, v65, v76, v57
	s_wait_alu 0xfffe
	s_lshl_b64 s[26:27], s[26:27], 2
	v_lshrrev_b32_e32 v57, 16, v78
	v_mul_u32_u24_e32 v173, 0x10001, v64
	s_wait_alu 0xfffe
	s_add_nc_u64 s[26:27], s[8:9], s[26:27]
	v_mul_u32_u24_e32 v171, 0x10001, v56
	s_wait_alu 0xfffe
	v_add_co_u32 v56, vcc_lo, s26, v27
	v_pk_fma_f16 v162, v65, v82, v68
	v_lshrrev_b32_e32 v65, 16, v79
	v_mul_u32_u24_e32 v172, 0x10001, v57
	s_wait_dscnt 0x1
	v_pk_fma_f16 v185, v54, v173, v84
	s_wait_alu 0xfffd
	v_add_co_ci_u32_e64 v57, null, s27, v28, vcc_lo
	v_add_co_u32 v84, vcc_lo, s26, v29
	v_pk_fma_f16 v179, v53, v171, v85
	s_wait_alu 0xfffd
	v_add_co_ci_u32_e64 v85, null, s27, v30, vcc_lo
	v_add_co_u32 v56, vcc_lo, v56, v86
	v_mul_u32_u24_e32 v174, 0x10001, v65
	s_wait_alu 0xfffd
	v_add_co_ci_u32_e64 v57, null, 0, v57, vcc_lo
	v_add_co_u32 v84, vcc_lo, v84, v86
	s_wait_alu 0xfffd
	v_add_co_ci_u32_e64 v85, null, 0, v85, vcc_lo
	v_pk_fma_f16 v164, v66, v80, v69
	v_pk_fma_f16 v165, v66, v76, v101
	;; [unrolled: 1-line block ×21, first 2 shown]
	s_wait_dscnt 0x0
	v_pk_fma_f16 v191, v60, v171, v97
	v_pk_fma_f16 v192, v60, v172, v98
	;; [unrolled: 1-line block ×3, first 2 shown]
	ds_load_2addr_b64 v[52:55], v48 offset1:32
	ds_load_2addr_b64 v[64:67], v48 offset0:64 offset1:96
	ds_load_2addr_b64 v[68:71], v48 offset0:128 offset1:160
	ds_load_2addr_b64 v[72:75], v48 offset0:192 offset1:224
	ds_load_2addr_b64 v[76:79], v15 offset1:32
	ds_load_2addr_b64 v[80:83], v15 offset0:64 offset1:96
	ds_load_b128 v[87:90], v42 offset:704
	ds_load_b128 v[91:94], v42 offset:720
	ds_load_2addr_b64 v[95:98], v15 offset0:128 offset1:160
	ds_load_2addr_b64 v[99:102], v15 offset0:192 offset1:224
	ds_load_2addr_b64 v[103:106], v14 offset1:32
	ds_load_2addr_b64 v[107:110], v14 offset0:64 offset1:96
	ds_load_2addr_b64 v[111:114], v14 offset0:128 offset1:160
	ds_load_2addr_b64 v[115:118], v14 offset0:192 offset1:224
	ds_load_2addr_b64 v[119:122], v13 offset1:32
	ds_load_2addr_b64 v[123:126], v13 offset0:64 offset1:96
	ds_load_b128 v[127:130], v42 offset:736
	ds_load_b128 v[131:134], v42 offset:752
	ds_load_2addr_b64 v[135:138], v13 offset0:128 offset1:160
	ds_load_2addr_b64 v[139:142], v13 offset0:192 offset1:224
	s_wait_loadcnt_dscnt 0x0
	s_barrier_signal -1
	s_barrier_wait -1
	global_inv scope:SCOPE_SE
	s_clause 0x3
	global_load_b128 v[143:146], v[56:57], off
	global_load_b128 v[147:150], v[56:57], off offset:512
	global_load_b128 v[151:154], v[84:85], off
	global_load_b128 v[155:158], v[84:85], off offset:512
	v_pk_fma_f16 v56, v60, v174, v159
	v_pk_fma_f16 v57, v61, v171, v160
	;; [unrolled: 1-line block ×6, first 2 shown]
	v_and_b32_e32 v163, 0xffff, v87
	v_lshrrev_b32_e32 v87, 16, v87
	v_and_b32_e32 v164, 0xffff, v88
	v_lshrrev_b32_e32 v88, 16, v88
	v_pk_fma_f16 v159, v62, v172, v165
	v_pk_fma_f16 v160, v62, v173, v166
	v_mul_u32_u24_e32 v163, 0x10001, v163
	v_mul_u32_u24_e32 v87, 0x10001, v87
	;; [unrolled: 1-line block ×4, first 2 shown]
	v_pk_fma_f16 v62, v62, v174, v167
	v_pk_fma_f16 v161, v63, v171, v168
	;; [unrolled: 1-line block ×19, first 2 shown]
	v_and_b32_e32 v159, 0xffff, v89
	v_lshrrev_b32_e32 v89, 16, v89
	v_and_b32_e32 v160, 0xffff, v90
	v_lshrrev_b32_e32 v90, 16, v90
	v_pk_fma_f16 v165, v63, v173, v170
	v_pk_fma_f16 v63, v63, v174, v175
	;; [unrolled: 1-line block ×15, first 2 shown]
	v_mul_u32_u24_e32 v159, 0x10001, v159
	v_mul_u32_u24_e32 v89, 0x10001, v89
	;; [unrolled: 1-line block ×4, first 2 shown]
	v_pk_fma_f16 v66, v67, v163, v161
	v_pk_fma_f16 v161, v67, v164, v165
	;; [unrolled: 1-line block ×32, first 2 shown]
	v_and_b32_e32 v84, 0xffff, v91
	v_lshrrev_b32_e32 v85, 16, v91
	v_and_b32_e32 v87, 0xffff, v92
	v_lshrrev_b32_e32 v89, 16, v92
	v_pk_fma_f16 v66, v75, v159, v66
	v_mul_u32_u24_e32 v84, 0x10001, v84
	v_mul_u32_u24_e32 v85, 0x10001, v85
	;; [unrolled: 1-line block ×4, first 2 shown]
	v_pk_fma_f16 v91, v75, v160, v161
	v_pk_fma_f16 v57, v81, v84, v57
	;; [unrolled: 1-line block ×5, first 2 shown]
	v_lshrrev_b32_e32 v81, 16, v93
	v_pk_fma_f16 v63, v75, v90, v63
	v_pk_fma_f16 v67, v76, v84, v67
	;; [unrolled: 1-line block ×20, first 2 shown]
	v_mul_u32_u24_e32 v81, 0x10001, v81
	v_pk_fma_f16 v65, v82, v84, v65
	v_pk_fma_f16 v73, v82, v87, v73
	;; [unrolled: 1-line block ×3, first 2 shown]
	v_and_b32_e32 v82, 0xffff, v94
	v_pk_fma_f16 v58, v95, v81, v58
	v_pk_fma_f16 v76, v96, v81, v76
	;; [unrolled: 1-line block ×8, first 2 shown]
	v_lshrrev_b32_e32 v81, 16, v127
	v_pk_fma_f16 v71, v80, v84, v71
	v_pk_fma_f16 v159, v80, v87, v169
	;; [unrolled: 1-line block ×3, first 2 shown]
	v_and_b32_e32 v80, 0xffff, v93
	v_mul_u32_u24_e32 v82, 0x10001, v82
	v_mul_u32_u24_e32 v81, 0x10001, v81
	v_pk_fma_f16 v66, v83, v84, v66
	v_lshrrev_b32_e32 v84, 16, v94
	v_pk_fma_f16 v85, v83, v87, v91
	v_mul_u32_u24_e32 v80, 0x10001, v80
	v_pk_fma_f16 v87, v97, v82, v90
	v_and_b32_e32 v90, 0xffff, v128
	v_pk_fma_f16 v58, v103, v81, v58
	v_pk_fma_f16 v76, v104, v81, v76
	;; [unrolled: 1-line block ×8, first 2 shown]
	v_lshrrev_b32_e32 v81, 16, v129
	v_mul_u32_u24_e32 v84, 0x10001, v84
	v_pk_fma_f16 v63, v83, v89, v63
	v_pk_fma_f16 v67, v95, v80, v67
	;; [unrolled: 1-line block ×15, first 2 shown]
	v_and_b32_e32 v80, 0xffff, v127
	v_lshrrev_b32_e32 v91, 16, v128
	v_pk_fma_f16 v82, v102, v82, v85
	v_mul_u32_u24_e32 v85, 0x10001, v90
	v_mul_u32_u24_e32 v81, 0x10001, v81
	v_pk_fma_f16 v52, v95, v84, v52
	v_pk_fma_f16 v53, v96, v84, v53
	;; [unrolled: 1-line block ×7, first 2 shown]
	v_mul_u32_u24_e32 v80, 0x10001, v80
	v_mul_u32_u24_e32 v90, 0x10001, v91
	v_pk_fma_f16 v63, v102, v84, v63
	v_pk_fma_f16 v84, v105, v85, v87
	;; [unrolled: 1-line block ×4, first 2 shown]
	v_and_b32_e32 v89, 0xffff, v130
	v_lshrrev_b32_e32 v91, 16, v130
	v_pk_fma_f16 v58, v111, v81, v58
	v_pk_fma_f16 v76, v112, v81, v76
	v_pk_fma_f16 v77, v113, v81, v77
	v_pk_fma_f16 v78, v114, v81, v78
	v_pk_fma_f16 v79, v115, v81, v79
	v_pk_fma_f16 v60, v116, v81, v60
	v_pk_fma_f16 v72, v117, v81, v72
	v_pk_fma_f16 v74, v118, v81, v74
	v_lshrrev_b32_e32 v81, 16, v131
	v_pk_fma_f16 v67, v103, v80, v67
	v_pk_fma_f16 v75, v103, v85, v75
	;; [unrolled: 1-line block ×19, first 2 shown]
	v_and_b32_e32 v80, 0xffff, v129
	v_pk_fma_f16 v82, v110, v85, v82
	v_mul_u32_u24_e32 v85, 0x10001, v89
	v_mul_u32_u24_e32 v89, 0x10001, v91
	v_pk_fma_f16 v63, v110, v90, v63
	v_and_b32_e32 v90, 0xffff, v132
	v_lshrrev_b32_e32 v91, 16, v132
	v_mul_u32_u24_e32 v81, 0x10001, v81
	v_mul_u32_u24_e32 v80, 0x10001, v80
	v_pk_fma_f16 v75, v111, v85, v75
	v_pk_fma_f16 v52, v111, v89, v52
	;; [unrolled: 1-line block ×12, first 2 shown]
	v_mul_u32_u24_e32 v85, 0x10001, v90
	v_mul_u32_u24_e32 v90, 0x10001, v91
	v_pk_fma_f16 v58, v119, v81, v58
	v_pk_fma_f16 v76, v120, v81, v76
	;; [unrolled: 1-line block ×8, first 2 shown]
	v_lshrrev_b32_e32 v81, 16, v134
	v_pk_fma_f16 v67, v111, v80, v67
	v_pk_fma_f16 v68, v112, v80, v68
	v_pk_fma_f16 v69, v113, v80, v69
	v_pk_fma_f16 v70, v114, v80, v70
	v_pk_fma_f16 v71, v115, v80, v71
	v_pk_fma_f16 v56, v115, v89, v56
	v_pk_fma_f16 v57, v116, v80, v57
	v_pk_fma_f16 v61, v116, v89, v61
	v_pk_fma_f16 v65, v117, v80, v65
	v_pk_fma_f16 v62, v117, v89, v62
	v_pk_fma_f16 v66, v118, v80, v66
	v_and_b32_e32 v80, 0xffff, v131
	v_pk_fma_f16 v63, v118, v89, v63
	v_pk_fma_f16 v52, v119, v90, v52
	v_pk_fma_f16 v53, v120, v90, v53
	v_pk_fma_f16 v54, v121, v90, v54
	v_pk_fma_f16 v89, v122, v90, v55
	v_and_b32_e32 v55, 0xffff, v133
	v_mul_u32_u24_e32 v81, 0x10001, v81
	v_mul_u32_u24_e32 v80, 0x10001, v80
	v_pk_fma_f16 v75, v119, v85, v75
	v_pk_fma_f16 v83, v120, v85, v83
	;; [unrolled: 1-line block ×8, first 2 shown]
	v_lshrrev_b32_e32 v62, 16, v133
	v_pk_fma_f16 v82, v126, v85, v82
	v_mul_u32_u24_e32 v85, 0x10001, v55
	v_pk_fma_f16 v95, v135, v81, v52
	v_pk_fma_f16 v98, v136, v81, v53
	;; [unrolled: 1-line block ×3, first 2 shown]
	s_wait_loadcnt 0x3
	ds_store_b128 v43, v[143:146]
	s_wait_loadcnt 0x2
	ds_store_b128 v44, v[147:150]
	;; [unrolled: 2-line block ×4, first 2 shown]
	s_wait_dscnt 0x0
	s_barrier_signal -1
	s_barrier_wait -1
	global_inv scope:SCOPE_SE
	ds_load_b128 v[52:55], v42 offset:768
	v_pk_fma_f16 v68, v120, v80, v68
	v_pk_fma_f16 v69, v121, v80, v69
	;; [unrolled: 1-line block ×5, first 2 shown]
	v_mul_u32_u24_e32 v92, 0x10001, v62
	v_pk_fma_f16 v67, v119, v80, v67
	v_pk_fma_f16 v56, v123, v90, v56
	;; [unrolled: 1-line block ×5, first 2 shown]
	v_and_b32_e32 v80, 0xffff, v134
	v_pk_fma_f16 v90, v126, v90, v63
	v_pk_fma_f16 v96, v136, v85, v68
	;; [unrolled: 1-line block ×7, first 2 shown]
	ds_load_2addr_b64 v[60:63], v59 offset1:32
	ds_load_2addr_b64 v[68:71], v59 offset0:64 offset1:96
	v_mul_u32_u24_e32 v80, 0x10001, v80
	v_pk_fma_f16 v93, v135, v85, v67
	v_pk_fma_f16 v57, v140, v85, v57
	v_pk_fma_f16 v109, v141, v85, v65
	v_pk_fma_f16 v110, v141, v92, v72
	v_pk_fma_f16 v107, v140, v80, v64
	v_pk_fma_f16 v111, v141, v80, v73
	v_pk_fma_f16 v85, v142, v85, v66
	ds_load_b128 v[64:67], v42 offset:784
	s_wait_dscnt 0x3
	v_and_b32_e32 v72, 0xffff, v52
	v_lshrrev_b32_e32 v52, 16, v52
	v_and_b32_e32 v73, 0xffff, v53
	v_lshrrev_b32_e32 v53, 16, v53
	v_pk_fma_f16 v58, v135, v92, v58
	v_pk_fma_f16 v94, v135, v80, v75
	;; [unrolled: 1-line block ×16, first 2 shown]
	v_mul_u32_u24_e32 v82, 0x10001, v72
	v_mul_u32_u24_e32 v52, 0x10001, v52
	;; [unrolled: 1-line block ×4, first 2 shown]
	ds_load_b128 v[72:75], v42 offset:800
	ds_load_b128 v[76:79], v42 offset:816
	s_wait_dscnt 0x4
	v_pk_fma_f16 v93, v60, v82, v93
	v_pk_fma_f16 v58, v60, v52, v58
	;; [unrolled: 1-line block ×16, first 2 shown]
	s_wait_dscnt 0x3
	v_pk_fma_f16 v104, v68, v82, v104
	v_pk_fma_f16 v105, v68, v52, v105
	;; [unrolled: 1-line block ×6, first 2 shown]
	ds_load_2addr_b64 v[60:63], v59 offset0:128 offset1:160
	v_pk_fma_f16 v106, v69, v90, v107
	v_pk_fma_f16 v69, v69, v112, v108
	;; [unrolled: 1-line block ×9, first 2 shown]
	v_and_b32_e32 v90, 0xffff, v54
	v_lshrrev_b32_e32 v91, 16, v54
	v_and_b32_e32 v92, 0xffff, v55
	v_lshrrev_b32_e32 v110, 16, v55
	ds_load_2addr_b64 v[52:55], v59 offset0:192 offset1:224
	v_mul_u32_u24_e32 v90, 0x10001, v90
	v_mul_u32_u24_e32 v91, 0x10001, v91
	;; [unrolled: 1-line block ×4, first 2 shown]
	v_pk_fma_f16 v81, v71, v112, v81
	s_wait_dscnt 0x1
	v_pk_fma_f16 v93, v60, v90, v93
	v_pk_fma_f16 v58, v60, v91, v58
	;; [unrolled: 1-line block ×16, first 2 shown]
	s_wait_dscnt 0x0
	v_pk_fma_f16 v104, v52, v90, v104
	v_pk_fma_f16 v105, v52, v91, v105
	;; [unrolled: 1-line block ×6, first 2 shown]
	ds_load_2addr_b64 v[60:63], v49 offset1:32
	v_pk_fma_f16 v111, v53, v110, v69
	v_pk_fma_f16 v112, v54, v110, v70
	ds_load_2addr_b64 v[68:71], v49 offset0:64 offset1:96
	v_pk_fma_f16 v106, v53, v92, v106
	v_pk_fma_f16 v107, v54, v90, v107
	;; [unrolled: 1-line block ×4, first 2 shown]
	v_and_b32_e32 v53, 0xffff, v64
	v_lshrrev_b32_e32 v54, 16, v64
	v_and_b32_e32 v64, 0xffff, v65
	v_lshrrev_b32_e32 v65, 16, v65
	v_pk_fma_f16 v82, v55, v90, v82
	v_pk_fma_f16 v85, v55, v91, v85
	v_mul_u32_u24_e32 v90, 0x10001, v53
	v_mul_u32_u24_e32 v91, 0x10001, v54
	;; [unrolled: 1-line block ×4, first 2 shown]
	v_pk_fma_f16 v80, v55, v92, v80
	v_pk_fma_f16 v81, v55, v110, v81
	s_wait_dscnt 0x1
	v_pk_fma_f16 v92, v60, v90, v93
	v_pk_fma_f16 v93, v60, v64, v94
	;; [unrolled: 1-line block ×11, first 2 shown]
	s_wait_dscnt 0x0
	v_pk_fma_f16 v103, v68, v90, v104
	v_pk_fma_f16 v104, v68, v91, v105
	;; [unrolled: 1-line block ×4, first 2 shown]
	ds_load_2addr_b64 v[52:55], v49 offset0:128 offset1:160
	v_pk_fma_f16 v58, v60, v91, v58
	v_pk_fma_f16 v83, v61, v64, v83
	;; [unrolled: 1-line block ×12, first 2 shown]
	v_and_b32_e32 v80, 0xffff, v66
	v_lshrrev_b32_e32 v66, 16, v66
	v_and_b32_e32 v90, 0xffff, v67
	v_lshrrev_b32_e32 v67, 16, v67
	ds_load_2addr_b64 v[60:63], v49 offset0:192 offset1:224
	v_pk_fma_f16 v57, v69, v91, v57
	v_pk_fma_f16 v85, v71, v91, v85
	v_mul_u32_u24_e32 v80, 0x10001, v80
	v_mul_u32_u24_e32 v66, 0x10001, v66
	;; [unrolled: 1-line block ×4, first 2 shown]
	v_pk_fma_f16 v71, v71, v65, v81
	s_wait_dscnt 0x1
	v_pk_fma_f16 v81, v52, v80, v92
	v_pk_fma_f16 v58, v52, v66, v58
	;; [unrolled: 1-line block ×16, first 2 shown]
	ds_load_2addr_b64 v[52:55], v50 offset1:32
	v_pk_fma_f16 v69, v69, v65, v111
	v_pk_fma_f16 v70, v70, v65, v112
	s_wait_dscnt 0x1
	v_pk_fma_f16 v102, v60, v80, v103
	v_pk_fma_f16 v103, v60, v66, v104
	;; [unrolled: 1-line block ×15, first 2 shown]
	v_and_b32_e32 v85, 0xffff, v72
	v_lshrrev_b32_e32 v72, 16, v72
	v_and_b32_e32 v90, 0xffff, v73
	v_lshrrev_b32_e32 v73, 16, v73
	ds_load_2addr_b64 v[64:67], v50 offset0:64 offset1:96
	v_mul_u32_u24_e32 v85, 0x10001, v85
	v_mul_u32_u24_e32 v72, 0x10001, v72
	v_mul_u32_u24_e32 v90, 0x10001, v90
	v_mul_u32_u24_e32 v73, 0x10001, v73
	v_pk_fma_f16 v71, v63, v91, v71
	s_wait_dscnt 0x1
	v_pk_fma_f16 v81, v52, v85, v81
	v_pk_fma_f16 v58, v52, v72, v58
	;; [unrolled: 1-line block ×16, first 2 shown]
	ds_load_2addr_b64 v[52:55], v50 offset0:128 offset1:160
	s_wait_dscnt 0x1
	v_pk_fma_f16 v101, v64, v85, v102
	v_pk_fma_f16 v102, v64, v72, v103
	;; [unrolled: 1-line block ×15, first 2 shown]
	v_and_b32_e32 v82, 0xffff, v74
	v_lshrrev_b32_e32 v74, 16, v74
	v_and_b32_e32 v85, 0xffff, v75
	v_lshrrev_b32_e32 v75, 16, v75
	ds_load_2addr_b64 v[60:63], v50 offset0:192 offset1:224
	v_mul_u32_u24_e32 v82, 0x10001, v82
	v_mul_u32_u24_e32 v74, 0x10001, v74
	;; [unrolled: 1-line block ×4, first 2 shown]
	v_pk_fma_f16 v71, v67, v73, v71
	s_wait_dscnt 0x1
	v_pk_fma_f16 v73, v52, v82, v81
	v_pk_fma_f16 v58, v52, v74, v58
	;; [unrolled: 1-line block ×16, first 2 shown]
	ds_load_2addr_b64 v[52:55], v51 offset1:32
	s_wait_dscnt 0x1
	v_pk_fma_f16 v99, v60, v82, v101
	v_pk_fma_f16 v100, v60, v74, v102
	;; [unrolled: 1-line block ×15, first 2 shown]
	v_and_b32_e32 v80, 0xffff, v76
	v_lshrrev_b32_e32 v76, 16, v76
	v_and_b32_e32 v82, 0xffff, v77
	v_lshrrev_b32_e32 v77, 16, v77
	ds_load_2addr_b64 v[64:67], v51 offset0:64 offset1:96
	v_mul_u32_u24_e32 v80, 0x10001, v80
	v_mul_u32_u24_e32 v76, 0x10001, v76
	v_mul_u32_u24_e32 v82, 0x10001, v82
	v_mul_u32_u24_e32 v77, 0x10001, v77
	v_pk_fma_f16 v71, v63, v75, v71
	s_wait_dscnt 0x1
	v_pk_fma_f16 v73, v52, v80, v73
	v_pk_fma_f16 v58, v52, v76, v58
	;; [unrolled: 1-line block ×16, first 2 shown]
	ds_load_2addr_b64 v[52:55], v51 offset0:128 offset1:160
	s_or_b32 s26, s4, 0x70
	s_wait_dscnt 0x1
	v_pk_fma_f16 v97, v64, v80, v99
	v_pk_fma_f16 v98, v64, v76, v100
	;; [unrolled: 1-line block ×6, first 2 shown]
	v_and_b32_e32 v64, 0xffff, v79
	ds_load_2addr_b64 v[60:63], v51 offset0:192 offset1:224
	s_wait_alu 0xfffe
	s_ashr_i32 s27, s26, 31
	v_pk_fma_f16 v160, v65, v80, v56
	v_and_b32_e32 v56, 0xffff, v78
	s_wait_alu 0xfffe
	s_mul_u64 s[26:27], s[26:27], s[14:15]
	v_pk_fma_f16 v161, v65, v76, v57
	s_wait_alu 0xfffe
	s_lshl_b64 s[26:27], s[26:27], 2
	v_lshrrev_b32_e32 v57, 16, v78
	v_mul_u32_u24_e32 v173, 0x10001, v64
	s_wait_alu 0xfffe
	s_add_nc_u64 s[26:27], s[8:9], s[26:27]
	v_mul_u32_u24_e32 v171, 0x10001, v56
	s_wait_alu 0xfffe
	v_add_co_u32 v56, vcc_lo, s26, v27
	v_pk_fma_f16 v162, v65, v82, v68
	v_lshrrev_b32_e32 v65, 16, v79
	v_mul_u32_u24_e32 v172, 0x10001, v57
	s_wait_dscnt 0x1
	v_pk_fma_f16 v185, v54, v173, v84
	s_wait_alu 0xfffd
	v_add_co_ci_u32_e64 v57, null, s27, v28, vcc_lo
	v_add_co_u32 v84, vcc_lo, s26, v29
	v_pk_fma_f16 v179, v53, v171, v85
	s_wait_alu 0xfffd
	v_add_co_ci_u32_e64 v85, null, s27, v30, vcc_lo
	v_add_co_u32 v56, vcc_lo, v56, v86
	v_mul_u32_u24_e32 v174, 0x10001, v65
	s_wait_alu 0xfffd
	v_add_co_ci_u32_e64 v57, null, 0, v57, vcc_lo
	v_add_co_u32 v84, vcc_lo, v84, v86
	s_wait_alu 0xfffd
	v_add_co_ci_u32_e64 v85, null, 0, v85, vcc_lo
	v_pk_fma_f16 v164, v66, v80, v69
	v_pk_fma_f16 v165, v66, v76, v101
	;; [unrolled: 1-line block ×21, first 2 shown]
	s_wait_dscnt 0x0
	v_pk_fma_f16 v191, v60, v171, v97
	v_pk_fma_f16 v192, v60, v172, v98
	;; [unrolled: 1-line block ×3, first 2 shown]
	ds_load_2addr_b64 v[52:55], v48 offset1:32
	ds_load_2addr_b64 v[64:67], v48 offset0:64 offset1:96
	ds_load_2addr_b64 v[68:71], v48 offset0:128 offset1:160
	;; [unrolled: 1-line block ×3, first 2 shown]
	ds_load_2addr_b64 v[76:79], v15 offset1:32
	ds_load_2addr_b64 v[80:83], v15 offset0:64 offset1:96
	ds_load_b128 v[87:90], v42 offset:832
	ds_load_b128 v[91:94], v42 offset:848
	ds_load_2addr_b64 v[95:98], v15 offset0:128 offset1:160
	ds_load_2addr_b64 v[99:102], v15 offset0:192 offset1:224
	ds_load_2addr_b64 v[103:106], v14 offset1:32
	ds_load_2addr_b64 v[107:110], v14 offset0:64 offset1:96
	ds_load_2addr_b64 v[111:114], v14 offset0:128 offset1:160
	;; [unrolled: 1-line block ×3, first 2 shown]
	ds_load_2addr_b64 v[119:122], v13 offset1:32
	ds_load_2addr_b64 v[123:126], v13 offset0:64 offset1:96
	ds_load_b128 v[127:130], v42 offset:864
	ds_load_b128 v[131:134], v42 offset:880
	ds_load_2addr_b64 v[135:138], v13 offset0:128 offset1:160
	ds_load_2addr_b64 v[139:142], v13 offset0:192 offset1:224
	s_wait_loadcnt_dscnt 0x0
	s_barrier_signal -1
	s_barrier_wait -1
	global_inv scope:SCOPE_SE
	s_clause 0x3
	global_load_b128 v[143:146], v[56:57], off
	global_load_b128 v[147:150], v[56:57], off offset:512
	global_load_b128 v[151:154], v[84:85], off
	global_load_b128 v[155:158], v[84:85], off offset:512
	v_pk_fma_f16 v56, v60, v174, v159
	v_pk_fma_f16 v57, v61, v171, v160
	;; [unrolled: 1-line block ×5, first 2 shown]
	v_and_b32_e32 v162, 0xffff, v87
	v_lshrrev_b32_e32 v87, 16, v87
	v_and_b32_e32 v163, 0xffff, v88
	v_lshrrev_b32_e32 v88, 16, v88
	v_pk_fma_f16 v85, v62, v171, v164
	v_pk_fma_f16 v86, v62, v172, v165
	;; [unrolled: 1-line block ×4, first 2 shown]
	v_mul_u32_u24_e32 v162, 0x10001, v162
	v_mul_u32_u24_e32 v87, 0x10001, v87
	;; [unrolled: 1-line block ×4, first 2 shown]
	v_pk_fma_f16 v62, v62, v174, v167
	v_pk_fma_f16 v160, v63, v171, v168
	;; [unrolled: 1-line block ×23, first 2 shown]
	v_and_b32_e32 v87, 0xffff, v89
	v_lshrrev_b32_e32 v89, 16, v89
	v_and_b32_e32 v159, 0xffff, v90
	v_lshrrev_b32_e32 v90, 16, v90
	v_pk_fma_f16 v167, v53, v162, v179
	v_pk_fma_f16 v169, v53, v163, v181
	;; [unrolled: 1-line block ×11, first 2 shown]
	v_mul_u32_u24_e32 v87, 0x10001, v87
	v_mul_u32_u24_e32 v89, 0x10001, v89
	;; [unrolled: 1-line block ×4, first 2 shown]
	v_pk_fma_f16 v160, v67, v163, v164
	v_pk_fma_f16 v63, v67, v88, v63
	;; [unrolled: 1-line block ×32, first 2 shown]
	v_and_b32_e32 v84, 0xffff, v91
	v_lshrrev_b32_e32 v85, 16, v91
	v_and_b32_e32 v86, 0xffff, v92
	v_lshrrev_b32_e32 v87, 16, v92
	v_pk_fma_f16 v89, v75, v159, v160
	v_mul_u32_u24_e32 v84, 0x10001, v84
	v_mul_u32_u24_e32 v85, 0x10001, v85
	;; [unrolled: 1-line block ×4, first 2 shown]
	v_pk_fma_f16 v63, v75, v90, v63
	v_pk_fma_f16 v57, v81, v84, v57
	;; [unrolled: 1-line block ×5, first 2 shown]
	v_lshrrev_b32_e32 v81, 16, v93
	v_pk_fma_f16 v67, v76, v84, v67
	v_pk_fma_f16 v58, v76, v85, v58
	;; [unrolled: 1-line block ×19, first 2 shown]
	v_mul_u32_u24_e32 v81, 0x10001, v81
	v_pk_fma_f16 v71, v80, v84, v71
	v_pk_fma_f16 v92, v80, v86, v168
	v_pk_fma_f16 v56, v80, v87, v56
	v_pk_fma_f16 v65, v82, v84, v65
	v_pk_fma_f16 v58, v95, v81, v58
	v_pk_fma_f16 v76, v96, v81, v76
	v_pk_fma_f16 v77, v97, v81, v77
	v_pk_fma_f16 v78, v98, v81, v78
	v_pk_fma_f16 v79, v99, v81, v79
	v_pk_fma_f16 v60, v100, v81, v60
	v_pk_fma_f16 v72, v101, v81, v72
	v_pk_fma_f16 v74, v102, v81, v74
	v_lshrrev_b32_e32 v81, 16, v127
	v_pk_fma_f16 v73, v82, v86, v73
	v_pk_fma_f16 v62, v82, v87, v62
	v_and_b32_e32 v80, 0xffff, v93
	v_and_b32_e32 v82, 0xffff, v94
	v_mul_u32_u24_e32 v81, 0x10001, v81
	v_pk_fma_f16 v66, v83, v84, v66
	v_lshrrev_b32_e32 v84, 16, v94
	v_pk_fma_f16 v85, v83, v86, v89
	v_mul_u32_u24_e32 v80, 0x10001, v80
	v_mul_u32_u24_e32 v82, 0x10001, v82
	v_and_b32_e32 v89, 0xffff, v128
	v_pk_fma_f16 v58, v103, v81, v58
	v_pk_fma_f16 v76, v104, v81, v76
	;; [unrolled: 1-line block ×8, first 2 shown]
	v_lshrrev_b32_e32 v81, 16, v129
	v_mul_u32_u24_e32 v84, 0x10001, v84
	v_pk_fma_f16 v63, v83, v87, v63
	v_pk_fma_f16 v67, v95, v80, v67
	;; [unrolled: 1-line block ×16, first 2 shown]
	v_and_b32_e32 v80, 0xffff, v127
	v_lshrrev_b32_e32 v90, 16, v128
	v_pk_fma_f16 v82, v102, v82, v85
	v_mul_u32_u24_e32 v85, 0x10001, v89
	v_mul_u32_u24_e32 v81, 0x10001, v81
	v_pk_fma_f16 v52, v95, v84, v52
	v_pk_fma_f16 v53, v96, v84, v53
	v_pk_fma_f16 v54, v97, v84, v54
	v_pk_fma_f16 v55, v98, v84, v55
	v_pk_fma_f16 v56, v99, v84, v56
	v_pk_fma_f16 v61, v100, v84, v61
	v_pk_fma_f16 v62, v101, v84, v62
	v_mul_u32_u24_e32 v80, 0x10001, v80
	v_mul_u32_u24_e32 v89, 0x10001, v90
	v_pk_fma_f16 v63, v102, v84, v63
	v_pk_fma_f16 v84, v105, v85, v86
	;; [unrolled: 1-line block ×4, first 2 shown]
	v_and_b32_e32 v88, 0xffff, v130
	v_lshrrev_b32_e32 v90, 16, v130
	v_pk_fma_f16 v58, v111, v81, v58
	v_pk_fma_f16 v76, v112, v81, v76
	;; [unrolled: 1-line block ×8, first 2 shown]
	v_lshrrev_b32_e32 v81, 16, v131
	v_pk_fma_f16 v67, v103, v80, v67
	v_pk_fma_f16 v75, v103, v85, v75
	v_pk_fma_f16 v52, v103, v89, v52
	v_pk_fma_f16 v68, v104, v80, v68
	v_pk_fma_f16 v83, v104, v85, v83
	v_pk_fma_f16 v53, v104, v89, v53
	v_pk_fma_f16 v69, v105, v80, v69
	v_pk_fma_f16 v54, v105, v89, v54
	v_pk_fma_f16 v70, v106, v80, v70
	v_pk_fma_f16 v55, v106, v89, v55
	v_pk_fma_f16 v71, v107, v80, v71
	v_pk_fma_f16 v56, v107, v89, v56
	v_pk_fma_f16 v57, v108, v80, v57
	v_pk_fma_f16 v64, v108, v85, v64
	v_pk_fma_f16 v61, v108, v89, v61
	v_pk_fma_f16 v65, v109, v80, v65
	v_pk_fma_f16 v73, v109, v85, v73
	v_pk_fma_f16 v62, v109, v89, v62
	v_pk_fma_f16 v66, v110, v80, v66
	v_and_b32_e32 v80, 0xffff, v129
	v_pk_fma_f16 v82, v110, v85, v82
	v_mul_u32_u24_e32 v85, 0x10001, v88
	v_mul_u32_u24_e32 v88, 0x10001, v90
	v_pk_fma_f16 v63, v110, v89, v63
	v_and_b32_e32 v89, 0xffff, v132
	v_lshrrev_b32_e32 v90, 16, v132
	v_mul_u32_u24_e32 v81, 0x10001, v81
	v_mul_u32_u24_e32 v80, 0x10001, v80
	v_pk_fma_f16 v75, v111, v85, v75
	v_pk_fma_f16 v52, v111, v88, v52
	;; [unrolled: 1-line block ×12, first 2 shown]
	v_mul_u32_u24_e32 v85, 0x10001, v89
	v_mul_u32_u24_e32 v89, 0x10001, v90
	v_pk_fma_f16 v58, v119, v81, v58
	v_pk_fma_f16 v76, v120, v81, v76
	;; [unrolled: 1-line block ×8, first 2 shown]
	v_lshrrev_b32_e32 v81, 16, v134
	v_pk_fma_f16 v67, v111, v80, v67
	v_pk_fma_f16 v68, v112, v80, v68
	;; [unrolled: 1-line block ×11, first 2 shown]
	v_and_b32_e32 v80, 0xffff, v131
	v_pk_fma_f16 v63, v118, v88, v63
	v_pk_fma_f16 v52, v119, v89, v52
	;; [unrolled: 1-line block ×5, first 2 shown]
	v_and_b32_e32 v55, 0xffff, v133
	v_mul_u32_u24_e32 v81, 0x10001, v81
	v_mul_u32_u24_e32 v80, 0x10001, v80
	v_pk_fma_f16 v75, v119, v85, v75
	v_pk_fma_f16 v83, v120, v85, v83
	;; [unrolled: 1-line block ×8, first 2 shown]
	v_lshrrev_b32_e32 v62, 16, v133
	v_pk_fma_f16 v82, v126, v85, v82
	v_mul_u32_u24_e32 v85, 0x10001, v55
	v_pk_fma_f16 v94, v135, v81, v52
	v_pk_fma_f16 v97, v136, v81, v53
	;; [unrolled: 1-line block ×3, first 2 shown]
	s_wait_loadcnt 0x3
	ds_store_b128 v43, v[143:146]
	s_wait_loadcnt 0x2
	ds_store_b128 v44, v[147:150]
	;; [unrolled: 2-line block ×4, first 2 shown]
	s_wait_dscnt 0x0
	s_barrier_signal -1
	s_barrier_wait -1
	global_inv scope:SCOPE_SE
	ds_load_b128 v[52:55], v42 offset:896
	v_pk_fma_f16 v68, v120, v80, v68
	v_pk_fma_f16 v69, v121, v80, v69
	;; [unrolled: 1-line block ×5, first 2 shown]
	v_mul_u32_u24_e32 v91, 0x10001, v62
	v_pk_fma_f16 v67, v119, v80, v67
	v_pk_fma_f16 v56, v123, v89, v56
	;; [unrolled: 1-line block ×5, first 2 shown]
	v_and_b32_e32 v80, 0xffff, v134
	v_pk_fma_f16 v89, v126, v89, v63
	v_pk_fma_f16 v95, v136, v85, v68
	;; [unrolled: 1-line block ×7, first 2 shown]
	ds_load_2addr_b64 v[60:63], v59 offset1:32
	ds_load_2addr_b64 v[68:71], v59 offset0:64 offset1:96
	v_mul_u32_u24_e32 v80, 0x10001, v80
	v_pk_fma_f16 v92, v135, v85, v67
	v_pk_fma_f16 v57, v140, v85, v57
	v_pk_fma_f16 v108, v141, v85, v65
	v_pk_fma_f16 v109, v141, v91, v72
	v_pk_fma_f16 v106, v140, v80, v64
	v_pk_fma_f16 v110, v141, v80, v73
	v_pk_fma_f16 v85, v142, v85, v66
	ds_load_b128 v[64:67], v42 offset:912
	s_wait_dscnt 0x3
	v_and_b32_e32 v72, 0xffff, v52
	v_lshrrev_b32_e32 v52, 16, v52
	v_and_b32_e32 v73, 0xffff, v53
	v_lshrrev_b32_e32 v53, 16, v53
	v_pk_fma_f16 v58, v135, v91, v58
	v_pk_fma_f16 v93, v135, v80, v75
	;; [unrolled: 1-line block ×16, first 2 shown]
	v_mul_u32_u24_e32 v82, 0x10001, v72
	v_mul_u32_u24_e32 v52, 0x10001, v52
	v_mul_u32_u24_e32 v89, 0x10001, v73
	v_mul_u32_u24_e32 v111, 0x10001, v53
	ds_load_b128 v[72:75], v42 offset:928
	ds_load_b128 v[76:79], v42 offset:944
	s_wait_dscnt 0x4
	v_pk_fma_f16 v92, v60, v82, v92
	v_pk_fma_f16 v58, v60, v52, v58
	;; [unrolled: 1-line block ×16, first 2 shown]
	s_wait_dscnt 0x3
	v_pk_fma_f16 v103, v68, v82, v103
	v_pk_fma_f16 v104, v68, v52, v104
	;; [unrolled: 1-line block ×6, first 2 shown]
	ds_load_2addr_b64 v[60:63], v59 offset0:128 offset1:160
	v_pk_fma_f16 v105, v69, v89, v106
	v_pk_fma_f16 v69, v69, v111, v107
	;; [unrolled: 1-line block ×9, first 2 shown]
	v_and_b32_e32 v89, 0xffff, v54
	v_lshrrev_b32_e32 v90, 16, v54
	v_and_b32_e32 v91, 0xffff, v55
	v_lshrrev_b32_e32 v109, 16, v55
	ds_load_2addr_b64 v[52:55], v59 offset0:192 offset1:224
	v_mul_u32_u24_e32 v89, 0x10001, v89
	v_mul_u32_u24_e32 v90, 0x10001, v90
	;; [unrolled: 1-line block ×4, first 2 shown]
	v_pk_fma_f16 v71, v71, v111, v81
	s_wait_dscnt 0x1
	v_pk_fma_f16 v81, v60, v89, v92
	v_pk_fma_f16 v92, v60, v90, v58
	;; [unrolled: 1-line block ×16, first 2 shown]
	s_wait_dscnt 0x0
	v_pk_fma_f16 v103, v52, v89, v103
	v_pk_fma_f16 v104, v52, v90, v104
	;; [unrolled: 1-line block ×5, first 2 shown]
	ds_load_2addr_b64 v[56:59], v49 offset1:32
	ds_load_2addr_b64 v[60:63], v49 offset0:64 offset1:96
	v_pk_fma_f16 v68, v53, v90, v68
	v_pk_fma_f16 v105, v53, v91, v105
	;; [unrolled: 1-line block ×7, first 2 shown]
	v_and_b32_e32 v53, 0xffff, v64
	v_lshrrev_b32_e32 v54, 16, v64
	v_and_b32_e32 v64, 0xffff, v65
	v_lshrrev_b32_e32 v65, 16, v65
	v_pk_fma_f16 v82, v55, v89, v82
	v_pk_fma_f16 v85, v55, v90, v85
	v_mul_u32_u24_e32 v89, 0x10001, v53
	v_mul_u32_u24_e32 v90, 0x10001, v54
	;; [unrolled: 1-line block ×4, first 2 shown]
	v_pk_fma_f16 v80, v55, v91, v80
	v_pk_fma_f16 v71, v55, v109, v71
	s_wait_dscnt 0x1
	v_pk_fma_f16 v91, v56, v90, v92
	v_pk_fma_f16 v92, v56, v64, v93
	;; [unrolled: 1-line block ×11, first 2 shown]
	s_wait_dscnt 0x0
	v_pk_fma_f16 v102, v60, v89, v103
	v_pk_fma_f16 v103, v60, v90, v104
	;; [unrolled: 1-line block ×4, first 2 shown]
	ds_load_2addr_b64 v[52:55], v49 offset0:128 offset1:160
	v_pk_fma_f16 v81, v56, v89, v81
	v_pk_fma_f16 v83, v57, v64, v83
	v_pk_fma_f16 v84, v58, v64, v84
	v_pk_fma_f16 v86, v59, v64, v86
	v_pk_fma_f16 v88, v59, v65, v88
	v_pk_fma_f16 v104, v61, v89, v110
	v_pk_fma_f16 v68, v61, v90, v68
	v_pk_fma_f16 v105, v61, v64, v105
	v_pk_fma_f16 v61, v61, v65, v69
	v_pk_fma_f16 v69, v62, v89, v106
	v_pk_fma_f16 v106, v62, v90, v107
	v_pk_fma_f16 v107, v62, v64, v108
	v_pk_fma_f16 v62, v62, v65, v70
	v_pk_fma_f16 v70, v63, v89, v82
	v_pk_fma_f16 v82, v63, v90, v85
	v_pk_fma_f16 v64, v63, v64, v80
	v_and_b32_e32 v80, 0xffff, v66
	v_lshrrev_b32_e32 v66, 16, v66
	v_and_b32_e32 v85, 0xffff, v67
	v_lshrrev_b32_e32 v67, 16, v67
	ds_load_2addr_b64 v[56:59], v49 offset0:192 offset1:224
	v_mul_u32_u24_e32 v49, 0x10001, v80
	v_mul_u32_u24_e32 v66, 0x10001, v66
	;; [unrolled: 1-line block ×4, first 2 shown]
	v_pk_fma_f16 v65, v63, v65, v71
	s_wait_dscnt 0x1
	v_pk_fma_f16 v71, v52, v49, v81
	v_pk_fma_f16 v81, v52, v66, v91
	;; [unrolled: 1-line block ×16, first 2 shown]
	ds_load_2addr_b64 v[52:55], v50 offset1:32
	s_wait_dscnt 0x1
	v_pk_fma_f16 v98, v56, v49, v102
	v_pk_fma_f16 v99, v56, v66, v103
	;; [unrolled: 1-line block ×14, first 2 shown]
	v_and_b32_e32 v70, 0xffff, v72
	v_lshrrev_b32_e32 v72, 16, v72
	v_and_b32_e32 v80, 0xffff, v73
	v_lshrrev_b32_e32 v73, 16, v73
	ds_load_2addr_b64 v[60:63], v50 offset0:64 offset1:96
	v_mul_u32_u24_e32 v70, 0x10001, v70
	v_mul_u32_u24_e32 v72, 0x10001, v72
	;; [unrolled: 1-line block ×4, first 2 shown]
	v_pk_fma_f16 v66, v59, v66, v82
	v_pk_fma_f16 v65, v59, v67, v65
	s_wait_dscnt 0x1
	v_pk_fma_f16 v67, v52, v70, v71
	v_pk_fma_f16 v71, v52, v72, v81
	;; [unrolled: 1-line block ×16, first 2 shown]
	ds_load_2addr_b64 v[52:55], v50 offset0:128 offset1:160
	s_wait_dscnt 0x1
	v_pk_fma_f16 v96, v60, v70, v98
	v_pk_fma_f16 v97, v60, v72, v99
	v_pk_fma_f16 v87, v60, v80, v87
	v_pk_fma_f16 v60, v60, v73, v56
	v_pk_fma_f16 v98, v61, v70, v100
	v_pk_fma_f16 v68, v61, v72, v68
	v_pk_fma_f16 v99, v61, v80, v101
	v_pk_fma_f16 v61, v61, v73, v57
	v_pk_fma_f16 v69, v62, v70, v69
	v_pk_fma_f16 v100, v62, v72, v102
	v_pk_fma_f16 v101, v62, v80, v103
	v_pk_fma_f16 v62, v62, v73, v58
	v_pk_fma_f16 v49, v63, v70, v49
	v_pk_fma_f16 v66, v63, v72, v66
	v_and_b32_e32 v70, 0xffff, v74
	v_lshrrev_b32_e32 v72, 16, v74
	v_and_b32_e32 v74, 0xffff, v75
	v_lshrrev_b32_e32 v75, 16, v75
	ds_load_2addr_b64 v[56:59], v50 offset0:192 offset1:224
	v_mul_u32_u24_e32 v50, 0x10001, v70
	v_mul_u32_u24_e32 v70, 0x10001, v72
	;; [unrolled: 1-line block ×4, first 2 shown]
	v_pk_fma_f16 v64, v63, v80, v64
	v_pk_fma_f16 v65, v63, v73, v65
	s_wait_dscnt 0x1
	v_pk_fma_f16 v67, v52, v50, v67
	v_pk_fma_f16 v71, v52, v70, v71
	;; [unrolled: 1-line block ×16, first 2 shown]
	ds_load_2addr_b64 v[52:55], v51 offset1:32
	s_wait_dscnt 0x1
	v_pk_fma_f16 v93, v56, v50, v96
	v_pk_fma_f16 v94, v56, v70, v97
	;; [unrolled: 1-line block ×15, first 2 shown]
	v_and_b32_e32 v66, 0xffff, v76
	v_lshrrev_b32_e32 v70, 16, v76
	v_and_b32_e32 v72, 0xffff, v77
	v_lshrrev_b32_e32 v76, 16, v77
	ds_load_2addr_b64 v[60:63], v51 offset0:64 offset1:96
	v_mul_u32_u24_e32 v66, 0x10001, v66
	v_mul_u32_u24_e32 v70, 0x10001, v70
	;; [unrolled: 1-line block ×4, first 2 shown]
	v_pk_fma_f16 v65, v59, v74, v65
	s_wait_dscnt 0x1
	v_pk_fma_f16 v67, v52, v66, v67
	v_pk_fma_f16 v71, v52, v70, v71
	;; [unrolled: 1-line block ×16, first 2 shown]
	ds_load_2addr_b64 v[52:55], v51 offset0:128 offset1:160
	s_wait_dscnt 0x1
	v_pk_fma_f16 v91, v60, v66, v93
	v_pk_fma_f16 v92, v60, v70, v94
	;; [unrolled: 1-line block ×15, first 2 shown]
	v_and_b32_e32 v49, 0xffff, v78
	v_lshrrev_b32_e32 v50, 16, v78
	v_and_b32_e32 v72, 0xffff, v79
	v_lshrrev_b32_e32 v78, 16, v79
	ds_load_2addr_b64 v[56:59], v51 offset0:192 offset1:224
	v_mul_u32_u24_e32 v79, 0x10001, v49
	v_mul_u32_u24_e32 v97, 0x10001, v50
	;; [unrolled: 1-line block ×4, first 2 shown]
	v_pk_fma_f16 v76, v63, v76, v65
	s_wait_dscnt 0x1
	v_pk_fma_f16 v98, v52, v79, v67
	v_pk_fma_f16 v71, v52, v97, v71
	;; [unrolled: 1-line block ×4, first 2 shown]
	ds_load_b128 v[49:52], v42 offset:960
	v_pk_fma_f16 v75, v53, v79, v75
	v_pk_fma_f16 v77, v53, v97, v77
	;; [unrolled: 1-line block ×12, first 2 shown]
	s_wait_dscnt 0x1
	v_pk_fma_f16 v91, v56, v79, v91
	v_pk_fma_f16 v92, v56, v97, v92
	;; [unrolled: 1-line block ×6, first 2 shown]
	ds_load_2addr_b64 v[53:56], v48 offset1:32
	v_pk_fma_f16 v69, v58, v79, v69
	v_pk_fma_f16 v96, v58, v72, v96
	v_pk_fma_f16 v79, v59, v79, v66
	v_pk_fma_f16 v72, v59, v72, v64
	ds_load_2addr_b64 v[64:67], v48 offset0:64 offset1:96
	v_pk_fma_f16 v68, v57, v97, v68
	v_pk_fma_f16 v57, v57, v78, v61
	;; [unrolled: 1-line block ×5, first 2 shown]
	ds_load_b128 v[60:63], v42 offset:976
	s_wait_dscnt 0x3
	v_and_b32_e32 v97, 0xffff, v49
	v_lshrrev_b32_e32 v49, 16, v49
	v_and_b32_e32 v100, 0xffff, v50
	v_lshrrev_b32_e32 v50, 16, v50
	v_pk_fma_f16 v59, v59, v78, v76
	v_mul_u32_u24_e32 v97, 0x10001, v97
	v_mul_u32_u24_e32 v49, 0x10001, v49
	;; [unrolled: 1-line block ×4, first 2 shown]
	s_wait_dscnt 0x2
	v_pk_fma_f16 v76, v53, v97, v98
	v_pk_fma_f16 v71, v53, v49, v71
	;; [unrolled: 1-line block ×16, first 2 shown]
	s_wait_dscnt 0x1
	v_pk_fma_f16 v90, v64, v97, v91
	v_pk_fma_f16 v91, v64, v49, v92
	;; [unrolled: 1-line block ×4, first 2 shown]
	ds_load_2addr_b64 v[53:56], v48 offset0:128 offset1:160
	v_pk_fma_f16 v93, v65, v100, v94
	v_pk_fma_f16 v57, v65, v101, v57
	;; [unrolled: 1-line block ×8, first 2 shown]
	v_and_b32_e32 v79, 0xffff, v51
	v_lshrrev_b32_e32 v95, 16, v51
	ds_load_2addr_b64 v[48:51], v48 offset0:192 offset1:224
	v_and_b32_e32 v96, 0xffff, v52
	v_lshrrev_b32_e32 v52, 16, v52
	v_pk_fma_f16 v87, v64, v100, v87
	v_pk_fma_f16 v64, v64, v101, v99
	v_mul_u32_u24_e32 v79, 0x10001, v79
	v_mul_u32_u24_e32 v95, 0x10001, v95
	;; [unrolled: 1-line block ×4, first 2 shown]
	v_pk_fma_f16 v72, v67, v100, v72
	v_pk_fma_f16 v67, v67, v101, v59
	s_wait_dscnt 0x1
	v_pk_fma_f16 v76, v53, v79, v76
	v_pk_fma_f16 v71, v53, v95, v71
	;; [unrolled: 1-line block ×16, first 2 shown]
	s_wait_dscnt 0x0
	v_pk_fma_f16 v90, v48, v79, v90
	v_pk_fma_f16 v91, v48, v95, v91
	;; [unrolled: 1-line block ×5, first 2 shown]
	ds_load_2addr_b64 v[52:55], v15 offset1:32
	v_pk_fma_f16 v92, v49, v96, v93
	v_pk_fma_f16 v93, v49, v97, v57
	;; [unrolled: 1-line block ×3, first 2 shown]
	ds_load_2addr_b64 v[56:59], v15 offset0:64 offset1:96
	v_pk_fma_f16 v68, v49, v95, v68
	v_pk_fma_f16 v65, v50, v79, v65
	v_pk_fma_f16 v69, v50, v95, v69
	v_pk_fma_f16 v94, v50, v96, v94
	v_and_b32_e32 v49, 0xffff, v60
	v_lshrrev_b32_e32 v50, 16, v60
	v_and_b32_e32 v60, 0xffff, v61
	v_lshrrev_b32_e32 v61, 16, v61
	v_pk_fma_f16 v66, v51, v79, v66
	v_pk_fma_f16 v70, v51, v95, v70
	v_mul_u32_u24_e32 v79, 0x10001, v49
	v_mul_u32_u24_e32 v95, 0x10001, v50
	v_mul_u32_u24_e32 v60, 0x10001, v60
	v_mul_u32_u24_e32 v61, 0x10001, v61
	v_pk_fma_f16 v72, v51, v96, v72
	v_pk_fma_f16 v67, v51, v97, v67
	s_wait_dscnt 0x1
	v_pk_fma_f16 v76, v52, v79, v76
	v_pk_fma_f16 v71, v52, v95, v71
	;; [unrolled: 1-line block ×16, first 2 shown]
	s_wait_dscnt 0x0
	v_pk_fma_f16 v96, v56, v61, v48
	ds_load_2addr_b64 v[48:51], v15 offset0:128 offset1:160
	ds_load_2addr_b64 v[52:55], v15 offset0:192 offset1:224
	v_pk_fma_f16 v90, v56, v79, v90
	v_pk_fma_f16 v91, v56, v95, v91
	;; [unrolled: 1-line block ×11, first 2 shown]
	v_and_b32_e32 v56, 0xffff, v62
	v_lshrrev_b32_e32 v57, 16, v62
	v_and_b32_e32 v58, 0xffff, v63
	v_pk_fma_f16 v66, v59, v79, v66
	v_pk_fma_f16 v70, v59, v95, v70
	;; [unrolled: 1-line block ×3, first 2 shown]
	v_lshrrev_b32_e32 v62, 16, v63
	v_mul_u32_u24_e32 v15, 0x10001, v56
	v_mul_u32_u24_e32 v63, 0x10001, v57
	;; [unrolled: 1-line block ×3, first 2 shown]
	v_pk_fma_f16 v95, v59, v61, v67
	ds_load_b128 v[56:59], v42 offset:992
	v_mul_u32_u24_e32 v79, 0x10001, v62
	s_wait_dscnt 0x2
	v_pk_fma_f16 v76, v48, v15, v76
	v_pk_fma_f16 v71, v48, v63, v71
	;; [unrolled: 1-line block ×16, first 2 shown]
	s_wait_dscnt 0x1
	v_pk_fma_f16 v90, v52, v15, v90
	v_pk_fma_f16 v91, v52, v63, v91
	;; [unrolled: 1-line block ×7, first 2 shown]
	ds_load_2addr_b64 v[48:51], v14 offset1:32
	v_pk_fma_f16 v53, v53, v79, v93
	v_pk_fma_f16 v93, v54, v15, v65
	;; [unrolled: 1-line block ×3, first 2 shown]
	ds_load_2addr_b64 v[64:67], v14 offset0:64 offset1:96
	v_pk_fma_f16 v69, v54, v63, v69
	v_pk_fma_f16 v94, v54, v72, v94
	;; [unrolled: 1-line block ×5, first 2 shown]
	ds_load_b128 v[60:63], v42 offset:1008
	s_wait_dscnt 0x3
	v_and_b32_e32 v97, 0xffff, v56
	v_lshrrev_b32_e32 v56, 16, v56
	v_and_b32_e32 v98, 0xffff, v57
	v_lshrrev_b32_e32 v57, 16, v57
	v_pk_fma_f16 v79, v55, v79, v95
	v_mul_u32_u24_e32 v97, 0x10001, v97
	v_mul_u32_u24_e32 v56, 0x10001, v56
	;; [unrolled: 1-line block ×4, first 2 shown]
	s_wait_dscnt 0x2
	v_pk_fma_f16 v76, v48, v97, v76
	v_pk_fma_f16 v71, v48, v56, v71
	;; [unrolled: 1-line block ×16, first 2 shown]
	s_wait_dscnt 0x1
	v_pk_fma_f16 v90, v64, v97, v90
	v_pk_fma_f16 v91, v64, v56, v91
	;; [unrolled: 1-line block ×6, first 2 shown]
	ds_load_2addr_b64 v[48:51], v14 offset0:128 offset1:160
	v_pk_fma_f16 v92, v65, v98, v92
	v_pk_fma_f16 v65, v65, v57, v53
	;; [unrolled: 1-line block ×6, first 2 shown]
	ds_load_2addr_b64 v[52:55], v14 offset0:192 offset1:224
	v_pk_fma_f16 v56, v67, v56, v70
	v_pk_fma_f16 v70, v67, v98, v72
	v_and_b32_e32 v72, 0xffff, v58
	v_lshrrev_b32_e32 v58, 16, v58
	v_and_b32_e32 v96, 0xffff, v59
	v_lshrrev_b32_e32 v59, 16, v59
	v_pk_fma_f16 v15, v67, v97, v15
	v_mul_u32_u24_e32 v14, 0x10001, v72
	v_mul_u32_u24_e32 v58, 0x10001, v58
	;; [unrolled: 1-line block ×4, first 2 shown]
	v_pk_fma_f16 v67, v67, v57, v79
	s_wait_dscnt 0x1
	v_pk_fma_f16 v76, v48, v14, v76
	v_pk_fma_f16 v71, v48, v58, v71
	;; [unrolled: 1-line block ×16, first 2 shown]
	s_wait_dscnt 0x0
	v_pk_fma_f16 v89, v52, v14, v90
	v_pk_fma_f16 v90, v52, v58, v91
	;; [unrolled: 1-line block ×6, first 2 shown]
	ds_load_2addr_b64 v[48:51], v13 offset1:32
	v_pk_fma_f16 v91, v53, v72, v92
	v_pk_fma_f16 v53, v53, v96, v65
	;; [unrolled: 1-line block ×6, first 2 shown]
	ds_load_2addr_b64 v[56:59], v13 offset0:64 offset1:96
	v_pk_fma_f16 v92, v54, v72, v94
	v_pk_fma_f16 v54, v54, v96, v66
	;; [unrolled: 1-line block ×3, first 2 shown]
	v_and_b32_e32 v70, 0xffff, v60
	v_lshrrev_b32_e32 v60, 16, v60
	v_and_b32_e32 v72, 0xffff, v61
	v_lshrrev_b32_e32 v61, 16, v61
	v_pk_fma_f16 v55, v55, v96, v67
	v_mul_u32_u24_e32 v70, 0x10001, v70
	v_mul_u32_u24_e32 v60, 0x10001, v60
	;; [unrolled: 1-line block ×4, first 2 shown]
	s_wait_dscnt 0x1
	v_pk_fma_f16 v67, v48, v70, v76
	v_pk_fma_f16 v71, v48, v60, v71
	v_pk_fma_f16 v73, v48, v72, v73
	v_pk_fma_f16 v48, v48, v61, v74
	v_pk_fma_f16 v74, v49, v70, v75
	v_pk_fma_f16 v75, v49, v60, v77
	v_pk_fma_f16 v76, v49, v72, v78
	v_pk_fma_f16 v77, v49, v61, v79
	v_pk_fma_f16 v79, v50, v70, v80
	v_pk_fma_f16 v93, v50, v60, v81
	v_pk_fma_f16 v94, v50, v72, v82
	v_pk_fma_f16 v95, v50, v61, v83
	v_pk_fma_f16 v84, v51, v70, v84
	v_pk_fma_f16 v85, v51, v60, v85
	v_pk_fma_f16 v86, v51, v72, v86
	v_pk_fma_f16 v88, v51, v61, v88
	s_wait_dscnt 0x0
	v_pk_fma_f16 v89, v56, v70, v89
	v_pk_fma_f16 v90, v56, v60, v90
	;; [unrolled: 1-line block ×4, first 2 shown]
	ds_load_2addr_b64 v[49:52], v13 offset0:128 offset1:160
	ds_load_2addr_b64 v[80:83], v13 offset0:192 offset1:224
	s_wait_loadcnt_dscnt 0x0
	s_barrier_signal -1
	s_barrier_wait -1
	global_inv scope:SCOPE_SE
	s_load_b32 s5, s[24:25], 0x4
	v_pk_fma_f16 v96, v57, v70, v64
	v_pk_fma_f16 v97, v57, v60, v68
	;; [unrolled: 1-line block ×9, first 2 shown]
	v_and_b32_e32 v53, 0xffff, v62
	v_lshrrev_b32_e32 v54, 16, v62
	v_and_b32_e32 v58, 0xffff, v63
	v_lshrrev_b32_e32 v60, 16, v63
	v_pk_fma_f16 v14, v59, v70, v14
	v_pk_fma_f16 v100, v59, v72, v66
	;; [unrolled: 1-line block ×3, first 2 shown]
	v_mul_u32_u24_e32 v66, 0x10001, v53
	v_mul_u32_u24_e32 v102, 0x10001, v54
	;; [unrolled: 1-line block ×4, first 2 shown]
	s_wait_kmcnt 0x0
	s_lshl_b32 s5, s5, 7
	v_pk_fma_f16 v67, v49, v66, v67
	v_pk_fma_f16 v64, v49, v102, v71
	;; [unrolled: 1-line block ×32, first 2 shown]
	s_wait_alu 0xfffe
	s_add_co_i32 s4, s5, s4
	s_wait_alu 0xfffe
	s_cmp_ge_i32 s4, s30
	s_cbranch_scc1 .LBB23_87
; %bb.86:                               ;   in Loop: Header=BB23_17 Depth=1
	v_dual_mov_b32 v88, v0 :: v_dual_mov_b32 v85, v1
	v_dual_mov_b32 v83, v2 :: v_dual_mov_b32 v84, v10
	;; [unrolled: 1-line block ×4, first 2 shown]
	s_branch .LBB23_17
.LBB23_87:
	v_mov_b32_e32 v13, v36
.LBB23_88:
	v_cmp_lt_i32_e32 vcc_lo, v8, v35
	s_cmp_lg_u64 s[12:13], 0
	s_cselect_b32 s3, -1, 0
	s_cmp_eq_u32 s2, 0
	s_wait_alu 0xfffd
	v_cndmask_b32_e32 v8, v13, v8, vcc_lo
	v_cmp_lt_i32_e32 vcc_lo, v7, v35
	s_cselect_b32 s4, -1, 0
	s_wait_alu 0xfffe
	s_and_b32 s3, s4, s3
	s_wait_alu 0xfffd
	v_cndmask_b32_e32 v7, v13, v7, vcc_lo
	v_cmp_lt_i32_e32 vcc_lo, v6, v35
	s_delay_alu instid0(VALU_DEP_2)
	v_lshlrev_b32_e32 v7, 2, v7
	v_lshlrev_b32_e32 v8, 2, v8
	ds_bpermute_b32 v14, v8, v9
	s_wait_dscnt 0x0
	v_add_f32_e32 v9, v9, v14
	ds_bpermute_b32 v15, v8, v10
	ds_bpermute_b32 v18, v8, v11
	;; [unrolled: 1-line block ×3, first 2 shown]
	s_wait_dscnt 0x1
	v_dual_add_f32 v10, v10, v15 :: v_dual_add_f32 v11, v11, v18
	s_wait_dscnt 0x0
	v_add_f32_e32 v8, v12, v8
	ds_bpermute_b32 v12, v7, v9
	ds_bpermute_b32 v14, v7, v10
	;; [unrolled: 1-line block ×4, first 2 shown]
	s_wait_alu 0xfffd
	v_cndmask_b32_e32 v6, v13, v6, vcc_lo
	v_cmp_lt_i32_e32 vcc_lo, v5, v35
	s_wait_dscnt 0x2
	v_dual_add_f32 v9, v9, v12 :: v_dual_add_f32 v10, v10, v14
	s_wait_dscnt 0x1
	v_dual_add_f32 v11, v11, v15 :: v_dual_lshlrev_b32 v6, 2, v6
	s_wait_dscnt 0x0
	v_add_f32_e32 v7, v8, v7
	ds_bpermute_b32 v8, v6, v9
	ds_bpermute_b32 v12, v6, v10
	;; [unrolled: 1-line block ×4, first 2 shown]
	s_wait_alu 0xfffd
	v_cndmask_b32_e32 v5, v13, v5, vcc_lo
	v_cmp_lt_i32_e32 vcc_lo, v4, v35
	s_wait_dscnt 0x3
	v_add_f32_e32 v8, v9, v8
	s_wait_dscnt 0x1
	v_dual_add_f32 v9, v10, v12 :: v_dual_add_f32 v10, v11, v14
	s_wait_dscnt 0x0
	v_dual_add_f32 v6, v7, v6 :: v_dual_lshlrev_b32 v5, 2, v5
	ds_bpermute_b32 v7, v5, v8
	ds_bpermute_b32 v11, v5, v9
	;; [unrolled: 1-line block ×4, first 2 shown]
	s_wait_alu 0xfffd
	v_cndmask_b32_e32 v4, v13, v4, vcc_lo
	s_wait_alu 0xfffe
	s_and_b32 vcc_lo, exec_lo, s3
	s_wait_dscnt 0x3
	v_add_f32_e32 v7, v8, v7
	s_wait_dscnt 0x1
	v_dual_add_f32 v8, v9, v11 :: v_dual_add_f32 v9, v10, v12
	v_lshlrev_b32_e32 v4, 2, v4
	s_wait_dscnt 0x0
	v_add_f32_e32 v10, v6, v5
	ds_bpermute_b32 v5, v4, v7
	ds_bpermute_b32 v6, v4, v8
	;; [unrolled: 1-line block ×4, first 2 shown]
	s_wait_dscnt 0x2
	v_dual_add_f32 v4, v7, v5 :: v_dual_add_f32 v5, v8, v6
	s_wait_dscnt 0x0
	v_dual_add_f32 v6, v9, v11 :: v_dual_add_f32 v7, v10, v12
	s_wait_alu 0xfffe
	s_cbranch_vccz .LBB23_91
; %bb.89:
	v_dual_max_num_f32 v13, v1, v1 :: v_dual_add_nc_u32 v8, s33, v31
	s_delay_alu instid0(VALU_DEP_1) | instskip(NEXT) | instid1(VALU_DEP_1)
	v_ashrrev_i32_e32 v9, 31, v8
	v_lshlrev_b64_e32 v[8:9], 2, v[8:9]
	s_delay_alu instid0(VALU_DEP_1) | instskip(SKIP_1) | instid1(VALU_DEP_2)
	v_add_co_u32 v8, vcc_lo, s12, v8
	s_wait_alu 0xfffd
	v_add_co_ci_u32_e64 v9, null, s13, v9, vcc_lo
	global_load_b128 v[8:11], v[8:9], off
	v_max_num_f32_e32 v12, v0, v0
	s_wait_loadcnt 0x0
	v_dual_max_num_f32 v14, v2, v2 :: v_dual_max_num_f32 v15, v8, v8
	v_dual_max_num_f32 v19, v9, v9 :: v_dual_max_num_f32 v20, v10, v10
	v_max_num_f32_e32 v21, v11, v11
	s_delay_alu instid0(VALU_DEP_2) | instskip(NEXT) | instid1(VALU_DEP_1)
	v_dual_max_num_f32 v13, v13, v19 :: v_dual_max_num_f32 v14, v14, v20
	v_dual_max_num_f32 v18, v3, v3 :: v_dual_sub_f32 v19, v1, v13
	s_delay_alu instid0(VALU_DEP_1) | instskip(NEXT) | instid1(VALU_DEP_3)
	v_dual_max_num_f32 v12, v12, v15 :: v_dual_max_num_f32 v15, v18, v21
	v_sub_f32_e32 v10, v10, v14
	v_dual_sub_f32 v20, v2, v14 :: v_dual_sub_f32 v9, v9, v13
	s_delay_alu instid0(VALU_DEP_3) | instskip(NEXT) | instid1(VALU_DEP_4)
	v_sub_f32_e32 v18, v0, v12
	v_dual_sub_f32 v8, v8, v12 :: v_dual_sub_f32 v21, v3, v15
	v_dual_mov_b32 v0, v12 :: v_dual_mov_b32 v3, v15
	v_dual_mov_b32 v1, v13 :: v_dual_mov_b32 v2, v14
	s_delay_alu instid0(VALU_DEP_3) | instskip(SKIP_3) | instid1(VALU_DEP_4)
	v_dual_mul_f32 v13, 0x3fb8aa3b, v8 :: v_dual_mul_f32 v12, 0x3fb8aa3b, v18
	v_dual_mul_f32 v14, 0x3fb8aa3b, v19 :: v_dual_mul_f32 v23, 0x3fb8aa3b, v10
	v_sub_f32_e32 v11, v11, v15
	v_mul_f32_e32 v15, 0x3fb8aa3b, v9
	v_fma_f32 v26, 0x3fb8aa3b, v18, -v12
	v_rndne_f32_e32 v27, v12
	v_fma_f32 v28, 0x3fb8aa3b, v8, -v13
	v_rndne_f32_e32 v29, v13
	v_rndne_f32_e32 v39, v23
	v_fma_f32 v38, 0x3fb8aa3b, v10, -v23
	v_fmac_f32_e32 v26, 0x32a5705f, v18
	s_delay_alu instid0(VALU_DEP_4) | instskip(NEXT) | instid1(VALU_DEP_4)
	v_dual_fmac_f32 v28, 0x32a5705f, v8 :: v_dual_sub_f32 v13, v13, v29
	v_sub_f32_e32 v23, v23, v39
	v_sub_f32_e32 v12, v12, v27
	v_cvt_i32_f32_e32 v27, v27
	v_cvt_i32_f32_e32 v29, v29
	v_add_f32_e32 v13, v13, v28
	v_cmp_ngt_f32_e32 vcc_lo, 0xc2ce8ed0, v18
	v_add_f32_e32 v12, v12, v26
	v_dual_mul_f32 v22, 0x3fb8aa3b, v20 :: v_dual_mul_f32 v25, 0x3fb8aa3b, v11
	s_delay_alu instid0(VALU_DEP_4) | instskip(SKIP_1) | instid1(VALU_DEP_3)
	v_exp_f32_e32 v13, v13
	v_fma_f32 v30, 0x3fb8aa3b, v19, -v14
	v_exp_f32_e32 v12, v12
	v_rndne_f32_e32 v33, v14
	v_fma_f32 v34, 0x3fb8aa3b, v9, -v15
	v_rndne_f32_e32 v35, v15
	v_mul_f32_e32 v24, 0x3fb8aa3b, v21
	v_rndne_f32_e32 v43, v25
	v_sub_f32_e32 v14, v14, v33
	v_fma_f32 v42, 0x3fb8aa3b, v11, -v25
	v_ldexp_f32 v13, v13, v29
	v_sub_f32_e32 v15, v15, v35
	v_ldexp_f32 v12, v12, v27
	v_sub_f32_e32 v25, v25, v43
	v_cvt_i32_f32_e32 v33, v33
	v_fma_f32 v36, 0x3fb8aa3b, v20, -v22
	v_rndne_f32_e32 v37, v22
	s_wait_alu 0xfffd
	v_cndmask_b32_e32 v12, 0, v12, vcc_lo
	v_cmp_ngt_f32_e32 vcc_lo, 0xc2ce8ed0, v8
	v_fmac_f32_e32 v38, 0x32a5705f, v10
	v_cvt_i32_f32_e32 v35, v35
	v_fmac_f32_e32 v42, 0x32a5705f, v11
	s_wait_alu 0xfffd
	v_dual_fmac_f32 v36, 0x32a5705f, v20 :: v_dual_cndmask_b32 v13, 0, v13
	v_dual_fmac_f32 v34, 0x32a5705f, v9 :: v_dual_add_f32 v23, v23, v38
	v_fmac_f32_e32 v30, 0x32a5705f, v19
	v_cmp_ngt_f32_e32 vcc_lo, 0xc2ce8ed0, v19
	v_add_f32_e32 v25, v25, v42
	s_delay_alu instid0(VALU_DEP_4)
	v_add_f32_e32 v15, v15, v34
	v_exp_f32_e32 v23, v23
	v_add_f32_e32 v14, v14, v30
	v_fma_f32 v40, 0x3fb8aa3b, v21, -v24
	v_rndne_f32_e32 v41, v24
	v_exp_f32_e32 v15, v15
	v_cvt_i32_f32_e32 v39, v39
	v_exp_f32_e32 v14, v14
	v_exp_f32_e32 v25, v25
	v_cvt_i32_f32_e32 v26, v41
	v_cvt_i32_f32_e32 v28, v43
	v_ldexp_f32 v23, v23, v39
	s_delay_alu instid0(TRANS32_DEP_3) | instskip(NEXT) | instid1(TRANS32_DEP_2)
	v_ldexp_f32 v15, v15, v35
	v_ldexp_f32 v14, v14, v33
	s_delay_alu instid0(TRANS32_DEP_1) | instid1(VALU_DEP_4)
	v_ldexp_f32 v25, v25, v28
	s_wait_alu 0xfffd
	s_delay_alu instid0(VALU_DEP_2)
	v_cndmask_b32_e32 v14, 0, v14, vcc_lo
	v_cmp_ngt_f32_e32 vcc_lo, 0xc2ce8ed0, v9
	v_sub_f32_e32 v22, v22, v37
	v_cvt_i32_f32_e32 v37, v37
	s_wait_alu 0xfffd
	v_dual_sub_f32 v24, v24, v41 :: v_dual_cndmask_b32 v15, 0, v15
	s_delay_alu instid0(VALU_DEP_3) | instskip(SKIP_1) | instid1(VALU_DEP_2)
	v_add_f32_e32 v22, v22, v36
	v_cmp_ngt_f32_e32 vcc_lo, 0xc2ce8ed0, v20
	v_exp_f32_e32 v22, v22
	s_delay_alu instid0(TRANS32_DEP_1) | instskip(SKIP_1) | instid1(VALU_DEP_1)
	v_ldexp_f32 v22, v22, v37
	s_wait_alu 0xfffd
	v_cndmask_b32_e32 v22, 0, v22, vcc_lo
	v_cmp_ngt_f32_e32 vcc_lo, 0xc2ce8ed0, v10
	s_wait_alu 0xfffd
	v_dual_fmac_f32 v40, 0x32a5705f, v21 :: v_dual_cndmask_b32 v23, 0, v23
	s_delay_alu instid0(VALU_DEP_1) | instskip(SKIP_1) | instid1(VALU_DEP_2)
	v_add_f32_e32 v24, v24, v40
	v_cmp_ngt_f32_e32 vcc_lo, 0xc2ce8ed0, v21
	v_exp_f32_e32 v24, v24
	s_delay_alu instid0(TRANS32_DEP_1) | instskip(SKIP_1) | instid1(VALU_DEP_1)
	v_ldexp_f32 v24, v24, v26
	s_wait_alu 0xfffd
	v_cndmask_b32_e32 v24, 0, v24, vcc_lo
	v_cmp_ngt_f32_e32 vcc_lo, 0xc2ce8ed0, v11
	s_wait_alu 0xfffd
	v_cndmask_b32_e32 v25, 0, v25, vcc_lo
	v_cmp_nlt_f32_e32 vcc_lo, 0x42b17218, v18
	s_wait_alu 0xfffd
	v_cndmask_b32_e32 v12, 0x7f800000, v12, vcc_lo
	v_cmp_nlt_f32_e32 vcc_lo, 0x42b17218, v8
	;; [unrolled: 3-line block ×3, first 2 shown]
	s_wait_alu 0xfffd
	s_delay_alu instid0(VALU_DEP_2)
	v_dual_fmac_f32 v8, v4, v12 :: v_dual_cndmask_b32 v13, 0x7f800000, v14
	v_cmp_nlt_f32_e32 vcc_lo, 0x42b17218, v9
	v_cvt_f16_f32_e32 v4, v12
	s_wait_alu 0xfffd
	v_cndmask_b32_e32 v9, 0x7f800000, v15, vcc_lo
	v_cmp_nlt_f32_e32 vcc_lo, 0x42b17218, v20
	s_delay_alu instid0(VALU_DEP_2) | instskip(SKIP_1) | instid1(VALU_DEP_1)
	v_fmac_f32_e32 v9, v5, v13
	v_cvt_f16_f32_e32 v5, v13
	v_and_b32_e32 v13, 0xffff, v5
	s_wait_alu 0xfffd
	v_cndmask_b32_e32 v14, 0x7f800000, v22, vcc_lo
	v_cmp_nlt_f32_e32 vcc_lo, 0x42b17218, v10
	v_mov_b32_e32 v5, v9
	v_mul_u32_u24_e32 v13, 0x10001, v13
	s_wait_alu 0xfffd
	v_cndmask_b32_e32 v10, 0x7f800000, v23, vcc_lo
	v_cmp_nlt_f32_e32 vcc_lo, 0x42b17218, v21
	s_delay_alu instid0(VALU_DEP_3)
	v_pk_mul_f16 v64, v64, v13
	v_pk_mul_f16 v72, v72, v13
	s_wait_alu 0xfffd
	v_dual_fmac_f32 v10, v6, v14 :: v_dual_cndmask_b32 v15, 0x7f800000, v24
	v_cmp_nlt_f32_e32 vcc_lo, 0x42b17218, v11
	v_cvt_f16_f32_e32 v6, v14
	v_pk_mul_f16 v69, v69, v13
	v_pk_mul_f16 v71, v71, v13
	v_cvt_f16_f32_e32 v12, v15
	s_wait_alu 0xfffd
	v_cndmask_b32_e32 v11, 0x7f800000, v25, vcc_lo
	v_and_b32_e32 v14, 0xffff, v6
	v_mov_b32_e32 v6, v10
	v_pk_mul_f16 v68, v68, v13
	s_delay_alu instid0(VALU_DEP_4) | instskip(SKIP_3) | instid1(VALU_DEP_4)
	v_dual_fmac_f32 v11, v7, v15 :: v_dual_and_b32 v12, 0xffff, v12
	v_and_b32_e32 v7, 0xffff, v4
	v_mul_u32_u24_e32 v14, 0x10001, v14
	v_mov_b32_e32 v4, v8
	v_mul_u32_u24_e32 v12, 0x10001, v12
	v_pk_mul_f16 v70, v70, v13
	v_mul_u32_u24_e32 v7, 0x10001, v7
	v_pk_mul_f16 v65, v65, v13
	v_pk_mul_f16 v66, v66, v13
	;; [unrolled: 1-line block ×26, first 2 shown]
	v_mov_b32_e32 v7, v11
	s_mov_b32 s3, exec_lo
	v_cmpx_gt_i32_e64 s22, v16
	s_cbranch_execnz .LBB23_92
.LBB23_90:
	s_nop 0
	s_sendmsg sendmsg(MSG_DEALLOC_VGPRS)
	s_endpgm
.LBB23_91:
	s_delay_alu instid0(VALU_DEP_1)
	v_dual_mov_b32 v11, v7 :: v_dual_mov_b32 v10, v6
	v_dual_mov_b32 v9, v5 :: v_dual_mov_b32 v8, v4
	s_mov_b32 s3, exec_lo
	v_cmpx_gt_i32_e64 s22, v16
	s_cbranch_execz .LBB23_90
.LBB23_92:
	s_load_b32 s1, s[0:1], 0xd4
	v_mov_b32_e32 v14, 1.0
	s_wait_kmcnt 0x0
	s_cmp_lg_u32 s1, 1
	s_cselect_b32 s4, -1, 0
	s_cmp_eq_u32 s1, 1
	s_cselect_b32 s3, -1, 0
	s_wait_alu 0xfffe
	s_and_b32 vcc_lo, exec_lo, s4
	s_wait_alu 0xfffe
	s_cbranch_vccnz .LBB23_94
; %bb.93:
	v_div_scale_f32 v12, null, v4, v4, 1.0
	s_delay_alu instid0(VALU_DEP_1) | instskip(NEXT) | instid1(TRANS32_DEP_1)
	v_rcp_f32_e32 v13, v12
	v_fma_f32 v14, -v12, v13, 1.0
	s_delay_alu instid0(VALU_DEP_1) | instskip(SKIP_1) | instid1(VALU_DEP_1)
	v_fmac_f32_e32 v13, v14, v13
	v_div_scale_f32 v14, vcc_lo, 1.0, v4, 1.0
	v_mul_f32_e32 v15, v14, v13
	s_delay_alu instid0(VALU_DEP_1) | instskip(NEXT) | instid1(VALU_DEP_1)
	v_fma_f32 v18, -v12, v15, v14
	v_fmac_f32_e32 v15, v18, v13
	s_delay_alu instid0(VALU_DEP_1) | instskip(SKIP_1) | instid1(VALU_DEP_1)
	v_fma_f32 v12, -v12, v15, v14
	s_wait_alu 0xfffd
	v_div_fmas_f32 v12, v12, v13, v15
	s_delay_alu instid0(VALU_DEP_1)
	v_div_fixup_f32 v14, v12, v4, 1.0
.LBB23_94:
	v_mad_co_u64_u32 v[12:13], null, s28, s22, v[16:17]
	v_lshrrev_b32_e32 v4, 16, v78
	v_cvt_f32_f16_e32 v15, v78
	v_cvt_f32_f16_e32 v18, v67
	v_mov_b32_e32 v28, 0
	v_lshrrev_b32_e32 v19, 16, v79
	v_cvt_f32_f16_e32 v23, v76
	v_mul_lo_u32 v12, v12, s23
	v_cvt_f32_f16_e32 v4, v4
	v_lshrrev_b32_e32 v16, 16, v67
	v_lshrrev_b32_e32 v25, 16, v77
	v_cmp_eq_u32_e32 vcc_lo, 0, v17
	v_mul_f32_e32 v17, v14, v15
	v_dual_mul_f32 v15, v14, v18 :: v_dual_mov_b32 v24, v28
	v_add3_u32 v12, s33, v31, v12
	v_cvt_f32_f16_e32 v29, v19
	v_mul_f32_e32 v19, v14, v23
	v_cvt_f32_f16_e32 v20, v79
	v_lshrrev_b32_e32 v22, 16, v76
	v_mad_co_u64_u32 v[12:13], null, s1, v12, s[2:3]
	v_cvt_f32_f16_e32 v13, v16
	v_lshrrev_b32_e32 v37, 16, v75
	v_cvt_f32_f16_e32 v38, v25
	v_dual_mul_f32 v21, v14, v20 :: v_dual_mov_b32 v30, v28
	v_cvt_f32_f16_e32 v20, v22
	v_lshl_add_u32 v27, v12, 9, v32
	v_mul_f32_e32 v18, v14, v4
	v_mul_f32_e32 v16, v14, v13
	v_cvt_f32_f16_e32 v13, v75
	s_delay_alu instid0(VALU_DEP_4)
	v_dual_mul_f32 v22, v14, v29 :: v_dual_add_nc_u32 v23, 0x80, v27
	v_lshlrev_b64_e32 v[25:26], 2, v[27:28]
	v_add_nc_u32_e32 v29, 0x100, v27
	v_cvt_f32_f16_e32 v4, v37
	v_add_nc_u32_e32 v27, 0x180, v27
	v_lshlrev_b64_e32 v[23:24], 2, v[23:24]
	v_cvt_f32_f16_e32 v31, v77
	v_add_co_u32 v33, s0, s16, v25
	s_wait_alu 0xf1ff
	v_add_co_ci_u32_e64 v34, null, s17, v26, s0
	s_delay_alu instid0(VALU_DEP_4)
	v_add_co_u32 v35, s0, s16, v23
	v_mul_f32_e32 v23, v14, v13
	v_lshrrev_b32_e32 v13, 16, v73
	v_lshlrev_b64_e32 v[29:30], 2, v[29:30]
	s_wait_alu 0xf1ff
	v_add_co_ci_u32_e64 v36, null, s17, v24, s0
	v_mul_f32_e32 v24, v14, v4
	v_lshrrev_b32_e32 v4, 16, v74
	v_lshlrev_b64_e32 v[39:40], 2, v[27:28]
	v_cvt_f32_f16_e32 v13, v13
	v_mul_f32_e32 v25, v14, v31
	v_add_co_u32 v37, s0, s16, v29
	v_cvt_f32_f16_e32 v4, v4
	v_cvt_f32_f16_e32 v29, v74
	v_cvt_f32_f16_e32 v31, v73
	v_mul_f32_e32 v20, v14, v20
	v_mul_f32_e32 v26, v14, v38
	s_wait_alu 0xf1ff
	v_add_co_ci_u32_e64 v38, null, s17, v30, s0
	v_mul_f32_e32 v28, v14, v13
	v_add_co_u32 v13, s0, s16, v39
	v_mul_f32_e32 v30, v14, v4
	v_mul_f32_e32 v29, v14, v29
	v_mul_f32_e32 v27, v14, v31
	s_wait_alu 0xf1ff
	v_add_co_ci_u32_e64 v14, null, s17, v40, s0
	s_and_b32 s0, vcc_lo, s4
	s_clause 0x3
	global_store_b128 v[33:34], v[15:18], off
	global_store_b128 v[35:36], v[19:22], off
	;; [unrolled: 1-line block ×4, first 2 shown]
	s_wait_alu 0xfffe
	s_and_saveexec_b32 s2, s0
	s_cbranch_execz .LBB23_96
; %bb.95:
	v_ashrrev_i32_e32 v13, 31, v12
	v_dual_mov_b32 v15, v0 :: v_dual_mov_b32 v16, v8
	s_delay_alu instid0(VALU_DEP_2) | instskip(NEXT) | instid1(VALU_DEP_1)
	v_lshlrev_b64_e32 v[13:14], 3, v[12:13]
	v_add_co_u32 v13, vcc_lo, s18, v13
	s_wait_alu 0xfffd
	s_delay_alu instid0(VALU_DEP_2)
	v_add_co_ci_u32_e64 v14, null, s19, v14, vcc_lo
	global_store_b64 v[13:14], v[15:16], off
.LBB23_96:
	s_wait_alu 0xfffe
	s_or_b32 exec_lo, exec_lo, s2
	v_cndmask_b32_e64 v13, 0, 1, s3
	v_mov_b32_e32 v0, 1.0
	s_and_not1_b32 vcc_lo, exec_lo, s3
	s_wait_alu 0xfffe
	s_cbranch_vccnz .LBB23_98
; %bb.97:
	v_div_scale_f32 v0, null, v5, v5, 1.0
	s_delay_alu instid0(VALU_DEP_1) | instskip(NEXT) | instid1(TRANS32_DEP_1)
	v_rcp_f32_e32 v4, v0
	v_fma_f32 v8, -v0, v4, 1.0
	s_delay_alu instid0(VALU_DEP_1) | instskip(SKIP_1) | instid1(VALU_DEP_1)
	v_fmac_f32_e32 v4, v8, v4
	v_div_scale_f32 v8, vcc_lo, 1.0, v5, 1.0
	v_mul_f32_e32 v14, v8, v4
	s_delay_alu instid0(VALU_DEP_1) | instskip(NEXT) | instid1(VALU_DEP_1)
	v_fma_f32 v15, -v0, v14, v8
	v_fmac_f32_e32 v14, v15, v4
	s_delay_alu instid0(VALU_DEP_1) | instskip(SKIP_1) | instid1(VALU_DEP_1)
	v_fma_f32 v0, -v0, v14, v8
	s_wait_alu 0xfffd
	v_div_fmas_f32 v0, v0, v4, v14
	s_delay_alu instid0(VALU_DEP_1)
	v_div_fixup_f32 v0, v0, v5, 1.0
.LBB23_98:
	v_dual_mov_b32 v27, 0 :: v_dual_add_nc_u32 v4, s1, v12
	v_lshrrev_b32_e32 v5, 16, v72
	v_cvt_f32_f16_e32 v8, v72
	v_lshrrev_b32_e32 v20, 16, v71
	s_delay_alu instid0(VALU_DEP_4)
	v_lshl_add_u32 v26, v4, 9, v32
	v_lshrrev_b32_e32 v12, 16, v64
	v_cvt_f32_f16_e32 v5, v5
	v_mul_f32_e32 v16, v0, v8
	v_cvt_f32_f16_e32 v8, v20
	v_lshlrev_b64_e32 v[18:19], 2, v[26:27]
	v_cvt_f32_f16_e32 v14, v64
	v_mul_f32_e32 v17, v0, v5
	v_lshrrev_b32_e32 v5, 16, v69
	v_cvt_f32_f16_e32 v12, v12
	v_mul_f32_e32 v21, v0, v8
	v_add_co_u32 v30, vcc_lo, s16, v18
	s_wait_alu 0xfffd
	v_add_co_ci_u32_e64 v31, null, s17, v19, vcc_lo
	v_dual_mov_b32 v19, v27 :: v_dual_add_nc_u32 v18, 0x80, v26
	v_cvt_f32_f16_e32 v5, v5
	v_lshrrev_b32_e32 v8, 16, v68
	v_mul_f32_e32 v14, v0, v14
	v_mul_f32_e32 v15, v0, v12
	v_lshlrev_b64_e32 v[22:23], 2, v[18:19]
	v_mul_f32_e32 v19, v0, v5
	v_lshrrev_b32_e32 v5, 16, v70
	v_cvt_f32_f16_e32 v12, v71
	v_cvt_f32_f16_e32 v8, v8
	;; [unrolled: 1-line block ×3, first 2 shown]
	v_add_co_u32 v33, vcc_lo, s16, v22
	s_wait_alu 0xfffd
	v_add_co_ci_u32_e64 v34, null, s17, v23, vcc_lo
	v_cvt_f32_f16_e32 v5, v5
	v_dual_mov_b32 v23, v27 :: v_dual_add_nc_u32 v22, 0x100, v26
	v_add_nc_u32_e32 v26, 0x180, v26
	v_mul_f32_e32 v20, v0, v12
	v_cvt_f32_f16_e32 v12, v70
	v_mul_f32_e32 v25, v0, v5
	v_lshlrev_b64_e32 v[28:29], 2, v[22:23]
	v_mul_f32_e32 v23, v0, v8
	v_lshrrev_b32_e32 v5, 16, v66
	v_lshrrev_b32_e32 v8, 16, v65
	v_cvt_f32_f16_e32 v35, v68
	v_lshlrev_b64_e32 v[37:38], 2, v[26:27]
	v_mul_f32_e32 v18, v0, v24
	v_mul_f32_e32 v24, v0, v12
	v_cvt_f32_f16_e32 v5, v5
	v_cvt_f32_f16_e32 v12, v66
	v_cvt_f32_f16_e32 v8, v8
	v_cvt_f32_f16_e32 v39, v65
	v_mul_f32_e32 v22, v0, v35
	v_add_co_u32 v35, vcc_lo, s16, v28
	s_wait_alu 0xfffd
	v_add_co_ci_u32_e64 v36, null, s17, v29, vcc_lo
	v_add_co_u32 v37, vcc_lo, s16, v37
	v_mul_f32_e32 v29, v0, v5
	v_mul_f32_e32 v28, v0, v12
	;; [unrolled: 1-line block ×4, first 2 shown]
	s_wait_alu 0xfffd
	v_add_co_ci_u32_e64 v38, null, s17, v38, vcc_lo
	s_clause 0x3
	global_store_b128 v[30:31], v[14:17], off
	global_store_b128 v[33:34], v[18:21], off
	;; [unrolled: 1-line block ×4, first 2 shown]
	s_and_saveexec_b32 s2, s0
	s_cbranch_execz .LBB23_100
; %bb.99:
	v_ashrrev_i32_e32 v5, 31, v4
	v_mov_b32_e32 v8, v1
	s_delay_alu instid0(VALU_DEP_2) | instskip(NEXT) | instid1(VALU_DEP_1)
	v_lshlrev_b64_e32 v[14:15], 3, v[4:5]
	v_add_co_u32 v14, vcc_lo, s18, v14
	s_wait_alu 0xfffd
	s_delay_alu instid0(VALU_DEP_2)
	v_add_co_ci_u32_e64 v15, null, s19, v15, vcc_lo
	global_store_b64 v[14:15], v[8:9], off
.LBB23_100:
	s_wait_alu 0xfffe
	s_or_b32 exec_lo, exec_lo, s2
	v_cmp_ne_u32_e32 vcc_lo, 1, v13
	v_mov_b32_e32 v1, 1.0
	s_cbranch_vccnz .LBB23_102
; %bb.101:
	v_div_scale_f32 v0, null, v6, v6, 1.0
	s_delay_alu instid0(VALU_DEP_1) | instskip(NEXT) | instid1(TRANS32_DEP_1)
	v_rcp_f32_e32 v1, v0
	v_fma_f32 v5, -v0, v1, 1.0
	s_delay_alu instid0(VALU_DEP_1) | instskip(SKIP_1) | instid1(VALU_DEP_1)
	v_fmac_f32_e32 v1, v5, v1
	v_div_scale_f32 v5, vcc_lo, 1.0, v6, 1.0
	v_mul_f32_e32 v8, v5, v1
	s_delay_alu instid0(VALU_DEP_1) | instskip(NEXT) | instid1(VALU_DEP_1)
	v_fma_f32 v9, -v0, v8, v5
	v_fmac_f32_e32 v8, v9, v1
	s_delay_alu instid0(VALU_DEP_1) | instskip(SKIP_1) | instid1(VALU_DEP_1)
	v_fma_f32 v0, -v0, v8, v5
	s_wait_alu 0xfffd
	v_div_fmas_f32 v0, v0, v1, v8
	s_delay_alu instid0(VALU_DEP_1)
	v_div_fixup_f32 v1, v0, v6, 1.0
.LBB23_102:
	v_lshrrev_b32_e32 v6, 16, v63
	v_dual_mov_b32 v5, 0 :: v_dual_add_nc_u32 v0, s1, v4
	v_cvt_f32_f16_e32 v12, v63
	v_lshrrev_b32_e32 v18, 16, v61
	s_delay_alu instid0(VALU_DEP_4) | instskip(NEXT) | instid1(VALU_DEP_4)
	v_cvt_f32_f16_e32 v6, v6
	v_lshl_add_u32 v4, v0, 9, v32
	v_lshrrev_b32_e32 v8, 16, v58
	v_mul_f32_e32 v16, v1, v12
	v_cvt_f32_f16_e32 v12, v18
	s_delay_alu instid0(VALU_DEP_4)
	v_dual_mul_f32 v17, v1, v6 :: v_dual_add_nc_u32 v18, 0x80, v4
	v_lshrrev_b32_e32 v6, 16, v62
	v_mov_b32_e32 v19, v5
	v_cvt_f32_f16_e32 v15, v8
	v_lshlrev_b64_e32 v[8:9], 2, v[4:5]
	v_mul_f32_e32 v21, v1, v12
	v_cvt_f32_f16_e32 v6, v6
	v_lshlrev_b64_e32 v[22:23], 2, v[18:19]
	v_lshrrev_b32_e32 v12, 16, v59
	v_mul_f32_e32 v15, v1, v15
	v_add_co_u32 v8, vcc_lo, s16, v8
	v_mul_f32_e32 v19, v1, v6
	v_lshrrev_b32_e32 v6, 16, v60
	s_wait_alu 0xfffd
	v_add_co_ci_u32_e64 v9, null, s17, v9, vcc_lo
	v_add_co_u32 v30, vcc_lo, s16, v22
	s_wait_alu 0xfffd
	v_add_co_ci_u32_e64 v31, null, s17, v23, vcc_lo
	v_dual_mov_b32 v23, v5 :: v_dual_add_nc_u32 v22, 0x100, v4
	v_cvt_f32_f16_e32 v6, v6
	v_cvt_f32_f16_e32 v12, v12
	v_add_nc_u32_e32 v4, 0x180, v4
	v_cvt_f32_f16_e32 v24, v62
	v_lshlrev_b64_e32 v[26:27], 2, v[22:23]
	v_mul_f32_e32 v25, v1, v6
	v_mul_f32_e32 v23, v1, v12
	v_lshrrev_b32_e32 v6, 16, v57
	v_lshrrev_b32_e32 v12, 16, v56
	v_cvt_f32_f16_e32 v14, v58
	v_lshlrev_b64_e32 v[4:5], 2, v[4:5]
	v_cvt_f32_f16_e32 v20, v61
	v_mul_f32_e32 v18, v1, v24
	v_cvt_f32_f16_e32 v24, v60
	v_cvt_f32_f16_e32 v28, v59
	v_add_co_u32 v33, vcc_lo, s16, v26
	v_cvt_f32_f16_e32 v6, v6
	v_cvt_f32_f16_e32 v26, v57
	;; [unrolled: 1-line block ×4, first 2 shown]
	v_mul_f32_e32 v14, v1, v14
	v_mul_f32_e32 v20, v1, v20
	s_wait_alu 0xfffd
	v_add_co_ci_u32_e64 v34, null, s17, v27, vcc_lo
	v_add_co_u32 v4, vcc_lo, s16, v4
	v_mul_f32_e32 v24, v1, v24
	v_mul_f32_e32 v22, v1, v28
	;; [unrolled: 1-line block ×6, first 2 shown]
	s_wait_alu 0xfffd
	v_add_co_ci_u32_e64 v5, null, s17, v5, vcc_lo
	s_clause 0x3
	global_store_b128 v[8:9], v[14:17], off
	global_store_b128 v[30:31], v[18:21], off
	;; [unrolled: 1-line block ×4, first 2 shown]
	s_and_saveexec_b32 s2, s0
	s_cbranch_execz .LBB23_104
; %bb.103:
	v_ashrrev_i32_e32 v1, 31, v0
	v_mov_b32_e32 v9, v2
	s_delay_alu instid0(VALU_DEP_2) | instskip(NEXT) | instid1(VALU_DEP_1)
	v_lshlrev_b64_e32 v[4:5], 3, v[0:1]
	v_add_co_u32 v4, vcc_lo, s18, v4
	s_wait_alu 0xfffd
	s_delay_alu instid0(VALU_DEP_2)
	v_add_co_ci_u32_e64 v5, null, s19, v5, vcc_lo
	global_store_b64 v[4:5], v[9:10], off
.LBB23_104:
	s_wait_alu 0xfffe
	s_or_b32 exec_lo, exec_lo, s2
	v_cmp_ne_u32_e32 vcc_lo, 1, v13
	v_mov_b32_e32 v1, 1.0
	s_cbranch_vccnz .LBB23_106
; %bb.105:
	v_div_scale_f32 v1, null, v7, v7, 1.0
	s_delay_alu instid0(VALU_DEP_1) | instskip(NEXT) | instid1(TRANS32_DEP_1)
	v_rcp_f32_e32 v2, v1
	v_fma_f32 v4, -v1, v2, 1.0
	s_delay_alu instid0(VALU_DEP_1) | instskip(SKIP_1) | instid1(VALU_DEP_1)
	v_fmac_f32_e32 v2, v4, v2
	v_div_scale_f32 v4, vcc_lo, 1.0, v7, 1.0
	v_mul_f32_e32 v5, v4, v2
	s_delay_alu instid0(VALU_DEP_1) | instskip(NEXT) | instid1(VALU_DEP_1)
	v_fma_f32 v6, -v1, v5, v4
	v_fmac_f32_e32 v5, v6, v2
	s_delay_alu instid0(VALU_DEP_1) | instskip(SKIP_1) | instid1(VALU_DEP_1)
	v_fma_f32 v1, -v1, v5, v4
	s_wait_alu 0xfffd
	v_div_fmas_f32 v1, v1, v2, v5
	s_delay_alu instid0(VALU_DEP_1)
	v_div_fixup_f32 v1, v1, v7, 1.0
.LBB23_106:
	v_dual_mov_b32 v9, 0 :: v_dual_add_nc_u32 v0, s1, v0
	v_lshrrev_b32_e32 v2, 16, v55
	v_cvt_f32_f16_e32 v4, v55
	v_cvt_f32_f16_e32 v7, v54
	s_delay_alu instid0(VALU_DEP_4)
	v_lshl_add_u32 v8, v0, 9, v32
	v_lshrrev_b32_e32 v10, 16, v53
	v_cvt_f32_f16_e32 v2, v2
	v_mul_f32_e32 v6, v1, v4
	v_mul_f32_e32 v4, v1, v7
	v_lshlrev_b64_e32 v[12:13], 2, v[8:9]
	v_lshrrev_b32_e32 v5, 16, v54
	v_mul_f32_e32 v7, v1, v2
	v_lshrrev_b32_e32 v2, 16, v51
	v_cvt_f32_f16_e32 v10, v10
	v_cvt_f32_f16_e32 v18, v51
	v_add_co_u32 v24, vcc_lo, s16, v12
	s_wait_alu 0xfffd
	v_add_co_ci_u32_e64 v25, null, s17, v13, vcc_lo
	v_dual_mov_b32 v13, v9 :: v_dual_add_nc_u32 v12, 0x80, v8
	v_cvt_f32_f16_e32 v2, v2
	v_cvt_f32_f16_e32 v5, v5
	v_mul_f32_e32 v15, v1, v10
	v_lshrrev_b32_e32 v10, 16, v50
	v_lshlrev_b64_e32 v[16:17], 2, v[12:13]
	v_mul_f32_e32 v13, v1, v2
	v_lshrrev_b32_e32 v2, 16, v52
	v_mul_f32_e32 v5, v1, v5
	v_cvt_f32_f16_e32 v10, v10
	v_cvt_f32_f16_e32 v14, v53
	v_add_co_u32 v26, vcc_lo, s16, v16
	s_wait_alu 0xfffd
	v_add_co_ci_u32_e64 v27, null, s17, v17, vcc_lo
	v_dual_mov_b32 v17, v9 :: v_dual_add_nc_u32 v16, 0x100, v8
	v_cvt_f32_f16_e32 v2, v2
	v_add_nc_u32_e32 v8, 0x180, v8
	v_mul_f32_e32 v12, v1, v18
	v_cvt_f32_f16_e32 v18, v52
	v_lshlrev_b64_e32 v[20:21], 2, v[16:17]
	v_mul_f32_e32 v19, v1, v2
	v_mul_f32_e32 v17, v1, v10
	v_lshrrev_b32_e32 v2, 16, v48
	v_lshrrev_b32_e32 v10, 16, v49
	v_lshlrev_b64_e32 v[8:9], 2, v[8:9]
	v_cvt_f32_f16_e32 v22, v50
	v_add_co_u32 v28, vcc_lo, s16, v20
	v_cvt_f32_f16_e32 v2, v2
	v_cvt_f32_f16_e32 v20, v48
	;; [unrolled: 1-line block ×4, first 2 shown]
	v_mul_f32_e32 v14, v1, v14
	v_mul_f32_e32 v18, v1, v18
	;; [unrolled: 1-line block ×3, first 2 shown]
	s_wait_alu 0xfffd
	v_add_co_ci_u32_e64 v29, null, s17, v21, vcc_lo
	v_mul_f32_e32 v23, v1, v2
	v_mul_f32_e32 v22, v1, v20
	v_mul_f32_e32 v21, v1, v10
	v_mul_f32_e32 v20, v1, v30
	v_add_co_u32 v1, vcc_lo, s16, v8
	s_wait_alu 0xfffd
	v_add_co_ci_u32_e64 v2, null, s17, v9, vcc_lo
	s_clause 0x3
	global_store_b128 v[24:25], v[4:7], off
	global_store_b128 v[26:27], v[12:15], off
	;; [unrolled: 1-line block ×4, first 2 shown]
	s_and_b32 exec_lo, exec_lo, s0
	s_cbranch_execz .LBB23_90
; %bb.107:
	v_ashrrev_i32_e32 v1, 31, v0
	v_mov_b32_e32 v10, v3
	s_delay_alu instid0(VALU_DEP_2) | instskip(NEXT) | instid1(VALU_DEP_1)
	v_lshlrev_b64_e32 v[0:1], 3, v[0:1]
	v_add_co_u32 v0, vcc_lo, s18, v0
	s_wait_alu 0xfffd
	s_delay_alu instid0(VALU_DEP_2)
	v_add_co_ci_u32_e64 v1, null, s19, v1, vcc_lo
	global_store_b64 v[0:1], v[10:11], off
	s_nop 0
	s_sendmsg sendmsg(MSG_DEALLOC_VGPRS)
	s_endpgm
	.section	.rodata,"a",@progbits
	.p2align	6, 0x0
	.amdhsa_kernel _ZL15flash_attn_tileILi576ELi512ELi2ELi16ELb1EEvPKcS1_S1_S1_S1_PKiPfP15HIP_vector_typeIfLj2EEffffjfiS5_IjLj3EEiiiiiiiiiiiliiliiiiil
		.amdhsa_group_segment_fixed_size 63488
		.amdhsa_private_segment_fixed_size 0
		.amdhsa_kernarg_size 464
		.amdhsa_user_sgpr_count 2
		.amdhsa_user_sgpr_dispatch_ptr 0
		.amdhsa_user_sgpr_queue_ptr 0
		.amdhsa_user_sgpr_kernarg_segment_ptr 1
		.amdhsa_user_sgpr_dispatch_id 0
		.amdhsa_user_sgpr_private_segment_size 0
		.amdhsa_wavefront_size32 1
		.amdhsa_uses_dynamic_stack 0
		.amdhsa_enable_private_segment 0
		.amdhsa_system_sgpr_workgroup_id_x 1
		.amdhsa_system_sgpr_workgroup_id_y 1
		.amdhsa_system_sgpr_workgroup_id_z 1
		.amdhsa_system_sgpr_workgroup_info 0
		.amdhsa_system_vgpr_workitem_id 1
		.amdhsa_next_free_vgpr 241
		.amdhsa_next_free_sgpr 43
		.amdhsa_reserve_vcc 1
		.amdhsa_float_round_mode_32 0
		.amdhsa_float_round_mode_16_64 0
		.amdhsa_float_denorm_mode_32 3
		.amdhsa_float_denorm_mode_16_64 3
		.amdhsa_fp16_overflow 0
		.amdhsa_workgroup_processor_mode 1
		.amdhsa_memory_ordered 1
		.amdhsa_forward_progress 1
		.amdhsa_inst_pref_size 255
		.amdhsa_round_robin_scheduling 0
		.amdhsa_exception_fp_ieee_invalid_op 0
		.amdhsa_exception_fp_denorm_src 0
		.amdhsa_exception_fp_ieee_div_zero 0
		.amdhsa_exception_fp_ieee_overflow 0
		.amdhsa_exception_fp_ieee_underflow 0
		.amdhsa_exception_fp_ieee_inexact 0
		.amdhsa_exception_int_div_zero 0
	.end_amdhsa_kernel
	.section	.text._ZL15flash_attn_tileILi576ELi512ELi2ELi16ELb1EEvPKcS1_S1_S1_S1_PKiPfP15HIP_vector_typeIfLj2EEffffjfiS5_IjLj3EEiiiiiiiiiiiliiliiiiil,"axG",@progbits,_ZL15flash_attn_tileILi576ELi512ELi2ELi16ELb1EEvPKcS1_S1_S1_S1_PKiPfP15HIP_vector_typeIfLj2EEffffjfiS5_IjLj3EEiiiiiiiiiiiliiliiiiil,comdat
.Lfunc_end23:
	.size	_ZL15flash_attn_tileILi576ELi512ELi2ELi16ELb1EEvPKcS1_S1_S1_S1_PKiPfP15HIP_vector_typeIfLj2EEffffjfiS5_IjLj3EEiiiiiiiiiiiliiliiiiil, .Lfunc_end23-_ZL15flash_attn_tileILi576ELi512ELi2ELi16ELb1EEvPKcS1_S1_S1_S1_PKiPfP15HIP_vector_typeIfLj2EEffffjfiS5_IjLj3EEiiiiiiiiiiiliiliiiiil
                                        ; -- End function
	.set _ZL15flash_attn_tileILi576ELi512ELi2ELi16ELb1EEvPKcS1_S1_S1_S1_PKiPfP15HIP_vector_typeIfLj2EEffffjfiS5_IjLj3EEiiiiiiiiiiiliiliiiiil.num_vgpr, 194
	.set _ZL15flash_attn_tileILi576ELi512ELi2ELi16ELb1EEvPKcS1_S1_S1_S1_PKiPfP15HIP_vector_typeIfLj2EEffffjfiS5_IjLj3EEiiiiiiiiiiiliiliiiiil.num_agpr, 0
	.set _ZL15flash_attn_tileILi576ELi512ELi2ELi16ELb1EEvPKcS1_S1_S1_S1_PKiPfP15HIP_vector_typeIfLj2EEffffjfiS5_IjLj3EEiiiiiiiiiiiliiliiiiil.numbered_sgpr, 43
	.set _ZL15flash_attn_tileILi576ELi512ELi2ELi16ELb1EEvPKcS1_S1_S1_S1_PKiPfP15HIP_vector_typeIfLj2EEffffjfiS5_IjLj3EEiiiiiiiiiiiliiliiiiil.num_named_barrier, 0
	.set _ZL15flash_attn_tileILi576ELi512ELi2ELi16ELb1EEvPKcS1_S1_S1_S1_PKiPfP15HIP_vector_typeIfLj2EEffffjfiS5_IjLj3EEiiiiiiiiiiiliiliiiiil.private_seg_size, 0
	.set _ZL15flash_attn_tileILi576ELi512ELi2ELi16ELb1EEvPKcS1_S1_S1_S1_PKiPfP15HIP_vector_typeIfLj2EEffffjfiS5_IjLj3EEiiiiiiiiiiiliiliiiiil.uses_vcc, 1
	.set _ZL15flash_attn_tileILi576ELi512ELi2ELi16ELb1EEvPKcS1_S1_S1_S1_PKiPfP15HIP_vector_typeIfLj2EEffffjfiS5_IjLj3EEiiiiiiiiiiiliiliiiiil.uses_flat_scratch, 0
	.set _ZL15flash_attn_tileILi576ELi512ELi2ELi16ELb1EEvPKcS1_S1_S1_S1_PKiPfP15HIP_vector_typeIfLj2EEffffjfiS5_IjLj3EEiiiiiiiiiiiliiliiiiil.has_dyn_sized_stack, 0
	.set _ZL15flash_attn_tileILi576ELi512ELi2ELi16ELb1EEvPKcS1_S1_S1_S1_PKiPfP15HIP_vector_typeIfLj2EEffffjfiS5_IjLj3EEiiiiiiiiiiiliiliiiiil.has_recursion, 0
	.set _ZL15flash_attn_tileILi576ELi512ELi2ELi16ELb1EEvPKcS1_S1_S1_S1_PKiPfP15HIP_vector_typeIfLj2EEffffjfiS5_IjLj3EEiiiiiiiiiiiliiliiiiil.has_indirect_call, 0
	.section	.AMDGPU.csdata,"",@progbits
; Kernel info:
; codeLenInByte = 64940
; TotalNumSgprs: 45
; NumVgprs: 194
; ScratchSize: 0
; MemoryBound: 0
; FloatMode: 240
; IeeeMode: 1
; LDSByteSize: 63488 bytes/workgroup (compile time only)
; SGPRBlocks: 0
; VGPRBlocks: 30
; NumSGPRsForWavesPerEU: 45
; NumVGPRsForWavesPerEU: 241
; Occupancy: 4
; WaveLimiterHint : 1
; COMPUTE_PGM_RSRC2:SCRATCH_EN: 0
; COMPUTE_PGM_RSRC2:USER_SGPR: 2
; COMPUTE_PGM_RSRC2:TRAP_HANDLER: 0
; COMPUTE_PGM_RSRC2:TGID_X_EN: 1
; COMPUTE_PGM_RSRC2:TGID_Y_EN: 1
; COMPUTE_PGM_RSRC2:TGID_Z_EN: 1
; COMPUTE_PGM_RSRC2:TIDIG_COMP_CNT: 1
	.section	.text._ZL15flash_attn_tileILi576ELi512ELi1ELi16ELb1EEvPKcS1_S1_S1_S1_PKiPfP15HIP_vector_typeIfLj2EEffffjfiS5_IjLj3EEiiiiiiiiiiiliiliiiiil,"axG",@progbits,_ZL15flash_attn_tileILi576ELi512ELi1ELi16ELb1EEvPKcS1_S1_S1_S1_PKiPfP15HIP_vector_typeIfLj2EEffffjfiS5_IjLj3EEiiiiiiiiiiiliiliiiiil,comdat
	.globl	_ZL15flash_attn_tileILi576ELi512ELi1ELi16ELb1EEvPKcS1_S1_S1_S1_PKiPfP15HIP_vector_typeIfLj2EEffffjfiS5_IjLj3EEiiiiiiiiiiiliiliiiiil ; -- Begin function _ZL15flash_attn_tileILi576ELi512ELi1ELi16ELb1EEvPKcS1_S1_S1_S1_PKiPfP15HIP_vector_typeIfLj2EEffffjfiS5_IjLj3EEiiiiiiiiiiiliiliiiiil
	.p2align	8
	.type	_ZL15flash_attn_tileILi576ELi512ELi1ELi16ELb1EEvPKcS1_S1_S1_S1_PKiPfP15HIP_vector_typeIfLj2EEffffjfiS5_IjLj3EEiiiiiiiiiiiliiliiiiil,@function
_ZL15flash_attn_tileILi576ELi512ELi1ELi16ELb1EEvPKcS1_S1_S1_S1_PKiPfP15HIP_vector_typeIfLj2EEffffjfiS5_IjLj3EEiiiiiiiiiiiliiliiiiil: ; @_ZL15flash_attn_tileILi576ELi512ELi1ELi16ELb1EEvPKcS1_S1_S1_S1_PKiPfP15HIP_vector_typeIfLj2EEffffjfiS5_IjLj3EEiiiiiiiiiiiliiliiiiil
; %bb.0:
	s_clause 0x1
	s_load_b128 s[20:23], s[0:1], 0x5c
	s_load_b64 s[30:31], s[0:1], 0x80
	s_lshr_b32 s5, ttmp7, 16
	s_mov_b32 s37, 0
	s_mov_b64 s[34:35], 0
	s_wait_kmcnt 0x0
	s_ashr_i32 s2, s23, 31
	s_delay_alu instid0(SALU_CYCLE_1) | instskip(NEXT) | instid1(SALU_CYCLE_1)
	s_lshr_b32 s2, s2, 28
	s_add_co_i32 s2, s23, s2
	s_delay_alu instid0(SALU_CYCLE_1) | instskip(NEXT) | instid1(SALU_CYCLE_1)
	s_ashr_i32 s2, s2, 4
	s_cvt_f32_u32 s3, s2
	s_sub_co_i32 s4, 0, s2
	s_delay_alu instid0(SALU_CYCLE_2) | instskip(NEXT) | instid1(TRANS32_DEP_1)
	v_rcp_iflag_f32_e32 v1, s3
	v_readfirstlane_b32 s3, v1
	s_mul_f32 s3, s3, 0x4f7ffffe
	s_wait_alu 0xfffe
	s_delay_alu instid0(SALU_CYCLE_2) | instskip(SKIP_1) | instid1(SALU_CYCLE_2)
	s_cvt_u32_f32 s3, s3
	s_wait_alu 0xfffe
	s_mul_i32 s4, s4, s3
	s_delay_alu instid0(SALU_CYCLE_1) | instskip(NEXT) | instid1(SALU_CYCLE_1)
	s_mul_hi_u32 s4, s3, s4
	s_add_co_i32 s3, s3, s4
	s_wait_alu 0xfffe
	s_mul_hi_u32 s3, s5, s3
	s_wait_alu 0xfffe
	s_mul_i32 s4, s3, s2
	s_add_co_i32 s6, s3, 1
	s_sub_co_i32 s4, s5, s4
	s_delay_alu instid0(SALU_CYCLE_1)
	s_sub_co_i32 s7, s4, s2
	s_cmp_ge_u32 s4, s2
	s_cselect_b32 s3, s6, s3
	s_cselect_b32 s4, s7, s4
	s_wait_alu 0xfffe
	s_add_co_i32 s6, s3, 1
	s_cmp_ge_u32 s4, s2
	s_cselect_b32 s28, s6, s3
	s_abs_i32 s2, s31
	s_abs_i32 s7, s23
	s_wait_alu 0xfffe
	s_cvt_f32_u32 s3, s2
	s_sub_co_i32 s4, 0, s2
	s_lshl_b32 s5, s5, 4
	s_mul_i32 s6, s28, s23
	s_wait_alu 0xfffe
	v_rcp_iflag_f32_e32 v1, s3
	s_sub_co_i32 s33, s5, s6
	s_delay_alu instid0(TRANS32_DEP_1) | instskip(SKIP_2) | instid1(SALU_CYCLE_2)
	v_readfirstlane_b32 s3, v1
	s_mul_f32 s3, s3, 0x4f7ffffe
	s_wait_alu 0xfffe
	s_cvt_u32_f32 s3, s3
	s_wait_alu 0xfffe
	s_delay_alu instid0(SALU_CYCLE_2) | instskip(NEXT) | instid1(SALU_CYCLE_1)
	s_mul_i32 s4, s4, s3
	s_mul_hi_u32 s4, s3, s4
	s_delay_alu instid0(SALU_CYCLE_1)
	s_add_co_i32 s3, s3, s4
	s_xor_b32 s4, s23, s31
	s_wait_alu 0xfffe
	s_mul_hi_u32 s3, s7, s3
	s_ashr_i32 s24, s4, 31
	s_wait_alu 0xfffe
	s_mul_i32 s5, s3, s2
	s_delay_alu instid0(SALU_CYCLE_1)
	s_sub_co_i32 s4, s7, s5
	s_add_co_i32 s5, s3, 1
	s_sub_co_i32 s6, s4, s2
	s_cmp_ge_u32 s4, s2
	s_cselect_b32 s3, s5, s3
	s_cselect_b32 s4, s6, s4
	s_wait_alu 0xfffe
	s_add_co_i32 s5, s3, 1
	s_cmp_ge_u32 s4, s2
	s_cselect_b32 s2, s5, s3
	s_load_b512 s[4:19], s[0:1], 0x0
	s_xor_b32 s2, s2, s24
	s_wait_alu 0xfffe
	s_sub_co_i32 s39, s2, s24
	s_load_b64 s[2:3], s[0:1], 0xb8
	s_abs_i32 s38, s39
	s_delay_alu instid0(SALU_CYCLE_1) | instskip(NEXT) | instid1(SALU_CYCLE_3)
	s_cvt_f32_u32 s24, s38
	v_rcp_iflag_f32_e32 v1, s24
	s_wait_kmcnt 0x0
	s_cmp_eq_u64 s[10:11], 0
	s_delay_alu instid0(TRANS32_DEP_1)
	v_readfirstlane_b32 s24, v1
	s_cbranch_scc1 .LBB24_2
; %bb.1:
	s_abs_i32 s2, s2
	s_wait_alu 0xfffe
	s_cvt_f32_u32 s25, s2
	s_sub_co_i32 s26, 0, s2
	s_wait_alu 0xfffe
	s_delay_alu instid0(SALU_CYCLE_1) | instskip(NEXT) | instid1(TRANS32_DEP_1)
	v_rcp_iflag_f32_e32 v1, s25
	v_readfirstlane_b32 s25, v1
	s_mul_f32 s25, s25, 0x4f7ffffe
	s_wait_alu 0xfffe
	s_delay_alu instid0(SALU_CYCLE_2) | instskip(SKIP_1) | instid1(SALU_CYCLE_2)
	s_cvt_u32_f32 s25, s25
	s_wait_alu 0xfffe
	s_mul_i32 s26, s26, s25
	s_delay_alu instid0(SALU_CYCLE_1)
	s_mul_hi_u32 s29, s25, s26
	s_load_b64 s[26:27], s[0:1], 0xc8
	s_add_co_i32 s25, s25, s29
	s_wait_alu 0xfffe
	s_mul_hi_u32 s25, s28, s25
	s_wait_alu 0xfffe
	s_mul_i32 s25, s25, s2
	s_wait_alu 0xfffe
	s_sub_co_i32 s25, s28, s25
	s_wait_alu 0xfffe
	s_sub_co_i32 s29, s25, s2
	s_cmp_ge_u32 s25, s2
	s_cselect_b32 s25, s29, s25
	s_wait_alu 0xfffe
	s_sub_co_i32 s29, s25, s2
	s_cmp_ge_u32 s25, s2
	s_cselect_b32 s34, s29, s25
	s_delay_alu instid0(SALU_CYCLE_1) | instskip(SKIP_2) | instid1(SALU_CYCLE_1)
	s_ashr_i32 s35, s34, 31
	s_wait_kmcnt 0x0
	s_mul_u64 s[26:27], s[26:27], s[34:35]
	s_add_nc_u64 s[34:35], s[10:11], s[26:27]
.LBB24_2:
	v_lshrrev_b32_e32 v1, 10, v0
	s_load_b96 s[40:42], s[0:1], 0x70
	v_bfe_u32 v2, v0, 10, 10
	v_and_b32_e32 v93, 0x3ff, v0
	s_delay_alu instid0(VALU_DEP_3) | instskip(NEXT) | instid1(VALU_DEP_3)
	v_bfe_u32 v1, v1, 3, 7
	v_lshlrev_b32_e32 v5, 1, v2
	v_mul_u32_u24_e32 v105, 0x900, v2
	s_delay_alu instid0(VALU_DEP_4) | instskip(NEXT) | instid1(VALU_DEP_4)
	v_lshlrev_b32_e32 v4, 4, v93
	v_add_nc_u32_e32 v92, ttmp9, v1
	s_delay_alu instid0(VALU_DEP_4) | instskip(NEXT) | instid1(VALU_DEP_2)
	v_and_b32_e32 v104, 14, v5
	v_mul_hi_u32 v1, s20, v92
	s_wait_kmcnt 0x0
	s_mul_i32 s20, s33, s41
	s_ashr_i32 s27, s41, 31
	s_delay_alu instid0(VALU_DEP_1) | instskip(SKIP_2) | instid1(SALU_CYCLE_1)
	v_add_nc_u32_e32 v1, v92, v1
	s_mov_b32 s26, s41
	s_ashr_i32 s41, s40, 31
	s_lshr_b64 s[10:11], s[40:41], 2
	s_delay_alu instid0(VALU_DEP_1) | instskip(SKIP_3) | instid1(VALU_DEP_1)
	v_lshrrev_b32_e32 v1, s21, v1
	s_lshr_b32 s2, s41, 2
	s_wait_alu 0xfffe
	s_ashr_i32 s21, s20, 31
	v_mul_lo_u32 v1, v1, s22
	s_delay_alu instid0(VALU_DEP_1) | instskip(NEXT) | instid1(VALU_DEP_1)
	v_sub_nc_u32_e32 v3, v92, v1
	v_mad_co_u64_u32 v[6:7], null, s10, v3, 0
	s_lshr_b64 s[10:11], s[26:27], 2
	s_mul_i32 s26, s28, s42
	s_wait_alu 0xfffe
	v_mad_co_u64_u32 v[8:9], null, s10, v104, 0
	v_mov_b32_e32 v1, v7
	s_delay_alu instid0(VALU_DEP_1) | instskip(NEXT) | instid1(VALU_DEP_3)
	v_mad_co_u64_u32 v[10:11], null, s2, v3, v[1:2]
	v_mov_b32_e32 v1, v9
	s_lshr_b32 s2, s27, 2
	s_ashr_i32 s27, s26, 31
	s_delay_alu instid0(SALU_CYCLE_1) | instskip(NEXT) | instid1(VALU_DEP_2)
	s_add_nc_u64 s[4:5], s[4:5], s[26:27]
	v_mov_b32_e32 v7, v10
	s_wait_alu 0xfffe
	v_mad_co_u64_u32 v[9:10], null, s2, v104, v[1:2]
	s_add_nc_u64 s[4:5], s[4:5], s[20:21]
	v_lshlrev_b64_e32 v[0:1], 2, v[6:7]
	s_delay_alu instid0(VALU_DEP_1) | instskip(NEXT) | instid1(VALU_DEP_1)
	v_add_co_u32 v6, vcc_lo, s4, v0
	v_add_co_ci_u32_e64 v7, null, s5, v1, vcc_lo
	v_lshlrev_b64_e32 v[0:1], 2, v[8:9]
	s_delay_alu instid0(VALU_DEP_3) | instskip(SKIP_1) | instid1(VALU_DEP_3)
	v_add_co_u32 v6, vcc_lo, v6, v4
	s_wait_alu 0xfffd
	v_add_co_ci_u32_e64 v7, null, 0, v7, vcc_lo
	s_load_b32 s4, s[0:1], 0x40
	v_add_co_u32 v0, vcc_lo, v6, v0
	s_wait_alu 0xfffd
	v_add_co_ci_u32_e64 v1, null, v7, v1, vcc_lo
	v_lshlrev_b32_e32 v4, 3, v93
	v_cmp_gt_u32_e32 vcc_lo, 16, v93
	s_clause 0x3
	global_load_b128 v[8:11], v[0:1], off
	global_load_b128 v[12:15], v[0:1], off offset:512
	global_load_b128 v[16:19], v[0:1], off offset:1024
	;; [unrolled: 1-line block ×3, first 2 shown]
	v_mad_u32_u24 v24, 0x900, v2, v4
	s_wait_loadcnt 0x3
	s_wait_kmcnt 0x0
	v_fma_mixlo_f16 v8, s4, v8, 0
	v_fma_mixlo_f16 v9, s4, v9, 0
	;; [unrolled: 1-line block ×4, first 2 shown]
	s_wait_loadcnt 0x2
	v_fma_mixlo_f16 v12, s4, v12, 0
	v_fma_mixlo_f16 v13, s4, v13, 0
	;; [unrolled: 1-line block ×4, first 2 shown]
	s_wait_loadcnt 0x1
	v_fma_mixlo_f16 v16, s4, v16, 0
	v_fma_mixlo_f16 v17, s4, v17, 0
	s_wait_loadcnt 0x0
	v_fma_mixlo_f16 v20, s4, v20, 0
	v_fma_mixlo_f16 v21, s4, v21, 0
	v_lshlrev_b32_e32 v9, 16, v9
	v_and_b32_e32 v8, 0xffff, v8
	v_lshlrev_b32_e32 v11, 16, v11
	v_and_b32_e32 v10, 0xffff, v10
	;; [unrolled: 2-line block ×3, first 2 shown]
	v_fma_mixlo_f16 v18, s4, v18, 0
	v_fma_mixlo_f16 v19, s4, v19, 0
	;; [unrolled: 1-line block ×4, first 2 shown]
	v_lshlrev_b32_e32 v15, 16, v15
	v_and_b32_e32 v14, 0xffff, v14
	v_lshlrev_b32_e32 v17, 16, v17
	v_and_b32_e32 v16, 0xffff, v16
	;; [unrolled: 2-line block ×3, first 2 shown]
	v_or_b32_e32 v8, v9, v8
	v_or3_b32 v9, v11, v10, 0
	v_or_b32_e32 v10, v13, v12
	v_lshlrev_b32_e32 v19, 16, v19
	v_and_b32_e32 v18, 0xffff, v18
	v_lshlrev_b32_e32 v23, 16, v23
	v_and_b32_e32 v22, 0xffff, v22
	v_or3_b32 v11, v15, v14, 0
	v_or_b32_e32 v12, v17, v16
	v_or_b32_e32 v14, v21, v20
	v_or3_b32 v8, 0, 0, v8
	v_or3_b32 v10, 0, 0, v10
	;; [unrolled: 1-line block ×6, first 2 shown]
	ds_store_2addr_b64 v24, v[8:9], v[10:11] offset1:32
	ds_store_2addr_b64 v24, v[12:13], v[14:15] offset0:64 offset1:96
	s_and_saveexec_b32 s2, vcc_lo
	s_cbranch_execz .LBB24_4
; %bb.3:
	global_load_b128 v[8:11], v[0:1], off offset:2048
	s_wait_loadcnt 0x0
	v_fma_mixlo_f16 v0, s4, v9, 0
	v_fma_mixlo_f16 v1, s4, v8, 0
	;; [unrolled: 1-line block ×4, first 2 shown]
	s_delay_alu instid0(VALU_DEP_4) | instskip(NEXT) | instid1(VALU_DEP_4)
	v_lshlrev_b32_e32 v0, 16, v0
	v_and_b32_e32 v1, 0xffff, v1
	s_delay_alu instid0(VALU_DEP_4) | instskip(NEXT) | instid1(VALU_DEP_4)
	v_and_b32_e32 v8, 0xffff, v8
	v_lshlrev_b32_e32 v9, 16, v9
	s_delay_alu instid0(VALU_DEP_3) | instskip(NEXT) | instid1(VALU_DEP_2)
	v_or_b32_e32 v0, v0, v1
	v_or3_b32 v1, v9, v8, 0
	v_add_nc_u32_e32 v8, v4, v105
	s_delay_alu instid0(VALU_DEP_3)
	v_or3_b32 v0, 0, 0, v0
	ds_store_b64 v8, v[0:1] offset:1024
.LBB24_4:
	s_wait_alu 0xfffe
	s_or_b32 exec_lo, exec_lo, s2
	v_or_b32_e32 v5, 1, v5
	s_delay_alu instid0(VALU_DEP_1) | instskip(SKIP_1) | instid1(VALU_DEP_2)
	v_and_b32_e32 v8, 15, v5
	v_mad_u32_u24 v22, 0x480, v5, v4
	v_mad_co_u64_u32 v[0:1], null, s10, v8, 0
	s_delay_alu instid0(VALU_DEP_1) | instskip(NEXT) | instid1(VALU_DEP_1)
	v_mad_co_u64_u32 v[8:9], null, s11, v8, v[1:2]
	v_mov_b32_e32 v1, v8
	s_delay_alu instid0(VALU_DEP_1) | instskip(NEXT) | instid1(VALU_DEP_1)
	v_lshlrev_b64_e32 v[0:1], 2, v[0:1]
	v_add_co_u32 v0, s2, v6, v0
	s_wait_alu 0xf1ff
	s_delay_alu instid0(VALU_DEP_2)
	v_add_co_ci_u32_e64 v1, null, v7, v1, s2
	s_clause 0x3
	global_load_b128 v[6:9], v[0:1], off
	global_load_b128 v[10:13], v[0:1], off offset:512
	global_load_b128 v[14:17], v[0:1], off offset:1024
	;; [unrolled: 1-line block ×3, first 2 shown]
	s_wait_loadcnt 0x3
	v_fma_mixlo_f16 v6, s4, v6, 0
	v_fma_mixlo_f16 v7, s4, v7, 0
	;; [unrolled: 1-line block ×4, first 2 shown]
	s_wait_loadcnt 0x2
	v_fma_mixlo_f16 v10, s4, v10, 0
	v_fma_mixlo_f16 v11, s4, v11, 0
	;; [unrolled: 1-line block ×4, first 2 shown]
	s_wait_loadcnt 0x1
	v_fma_mixlo_f16 v14, s4, v14, 0
	v_fma_mixlo_f16 v15, s4, v15, 0
	s_wait_loadcnt 0x0
	v_fma_mixlo_f16 v18, s4, v18, 0
	v_fma_mixlo_f16 v19, s4, v19, 0
	v_lshlrev_b32_e32 v7, 16, v7
	v_and_b32_e32 v6, 0xffff, v6
	v_lshlrev_b32_e32 v9, 16, v9
	v_and_b32_e32 v8, 0xffff, v8
	;; [unrolled: 2-line block ×3, first 2 shown]
	v_fma_mixlo_f16 v16, s4, v16, 0
	v_fma_mixlo_f16 v17, s4, v17, 0
	;; [unrolled: 1-line block ×4, first 2 shown]
	v_lshlrev_b32_e32 v13, 16, v13
	v_and_b32_e32 v12, 0xffff, v12
	v_lshlrev_b32_e32 v15, 16, v15
	v_and_b32_e32 v14, 0xffff, v14
	v_lshlrev_b32_e32 v19, 16, v19
	v_and_b32_e32 v18, 0xffff, v18
	v_or_b32_e32 v6, v7, v6
	v_or3_b32 v7, v9, v8, 0
	v_or_b32_e32 v8, v11, v10
	v_lshlrev_b32_e32 v17, 16, v17
	v_and_b32_e32 v16, 0xffff, v16
	v_lshlrev_b32_e32 v21, 16, v21
	v_and_b32_e32 v20, 0xffff, v20
	v_or3_b32 v9, v13, v12, 0
	v_or_b32_e32 v10, v15, v14
	v_or_b32_e32 v12, v19, v18
	v_or3_b32 v6, 0, 0, v6
	v_or3_b32 v8, 0, 0, v8
	;; [unrolled: 1-line block ×6, first 2 shown]
	ds_store_2addr_b64 v22, v[6:7], v[8:9] offset1:32
	ds_store_2addr_b64 v22, v[10:11], v[12:13] offset0:64 offset1:96
	s_and_saveexec_b32 s2, vcc_lo
	s_cbranch_execz .LBB24_6
; %bb.5:
	global_load_b128 v[6:9], v[0:1], off offset:2048
	v_mul_u32_u24_e32 v5, 0x480, v5
	s_delay_alu instid0(VALU_DEP_1)
	v_add_nc_u32_e32 v5, v4, v5
	s_wait_loadcnt 0x0
	v_fma_mixlo_f16 v0, s4, v7, 0
	v_fma_mixlo_f16 v1, s4, v6, 0
	;; [unrolled: 1-line block ×4, first 2 shown]
	s_delay_alu instid0(VALU_DEP_4) | instskip(NEXT) | instid1(VALU_DEP_4)
	v_lshlrev_b32_e32 v0, 16, v0
	v_and_b32_e32 v1, 0xffff, v1
	s_delay_alu instid0(VALU_DEP_4) | instskip(NEXT) | instid1(VALU_DEP_4)
	v_and_b32_e32 v6, 0xffff, v6
	v_lshlrev_b32_e32 v7, 16, v7
	s_delay_alu instid0(VALU_DEP_3) | instskip(NEXT) | instid1(VALU_DEP_2)
	v_or_b32_e32 v0, v0, v1
	v_or3_b32 v1, v7, v6, 0
	s_delay_alu instid0(VALU_DEP_2)
	v_or3_b32 v0, 0, 0, v0
	ds_store_b64 v5, v[0:1] offset:1024
.LBB24_6:
	s_wait_alu 0xfffe
	s_or_b32 exec_lo, exec_lo, s2
	s_cmp_eq_u64 s[14:15], 0
	s_wait_dscnt 0x0
	s_barrier_signal -1
	s_barrier_wait -1
	global_inv scope:SCOPE_SE
	s_cbranch_scc1 .LBB24_8
; %bb.7:
	s_load_b32 s2, s[0:1], 0xd0
	s_mov_b32 s5, 0
	s_wait_kmcnt 0x0
	s_mul_i32 s2, s2, s28
	s_wait_alu 0xfffe
	s_add_co_i32 s4, s2, ttmp9
	s_wait_alu 0xfffe
	s_lshl_b64 s[4:5], s[4:5], 2
	s_wait_alu 0xfffe
	s_add_nc_u64 s[4:5], s[14:15], s[4:5]
	s_load_b32 s30, s[4:5], 0x0
.LBB24_8:
	s_and_b32 s2, ttmp7, 0xffff
	v_lshlrev_b32_e32 v103, 2, v93
	v_mbcnt_lo_u32_b32 v106, -1, 0
	s_wait_alu 0xfffe
	s_lshl_b32 s4, s2, 6
	s_wait_kmcnt 0x0
	s_wait_alu 0xfffe
	s_cmp_lt_i32 s4, s30
	s_cbranch_scc1 .LBB24_11
; %bb.9:
	v_mbcnt_lo_u32_b32 v0, -1, 0
	v_mov_b32_e32 v107, 32
	s_delay_alu instid0(VALU_DEP_2)
	v_xor_b32_e32 v142, 16, v0
	v_xor_b32_e32 v138, 8, v0
	;; [unrolled: 1-line block ×5, first 2 shown]
	s_mov_b32 s29, 0
	s_cbranch_execz .LBB24_12
; %bb.10:
	v_dual_mov_b32 v129, 0 :: v_dual_mov_b32 v20, 0
	v_dual_mov_b32 v100, 0xfeffffff :: v_dual_mov_b32 v99, 0xfeffffff
	;; [unrolled: 1-line block ×10, first 2 shown]
	s_branch .LBB24_32
.LBB24_11:
                                        ; implicit-def: $vgpr0
                                        ; implicit-def: $vgpr107
                                        ; implicit-def: $vgpr142
                                        ; implicit-def: $vgpr138
                                        ; implicit-def: $vgpr139
                                        ; implicit-def: $vgpr140
                                        ; implicit-def: $vgpr141
	s_mov_b32 s29, 0
.LBB24_12:
	s_mul_f32 s5, s24, 0x4f7ffffe
	s_clause 0x1
	s_load_b128 s[24:27], s[0:1], 0x98
	s_load_b64 s[14:15], s[0:1], 0x8c
	s_sub_co_i32 s10, 0, s38
	v_lshrrev_b32_e32 v0, 3, v93
	s_cvt_u32_f32 s5, s5
	v_dual_mov_b32 v136, 0xfeffffff :: v_dual_and_b32 v9, 28, v103
	s_abs_i32 s36, s33
	s_wait_alu 0xfffe
	s_mul_i32 s10, s10, s5
	s_mov_b32 s11, s37
	s_wait_alu 0xfffe
	s_mul_hi_u32 s10, s5, s10
	s_clause 0x1
	s_load_b32 s31, s[0:1], 0x54
	s_load_b64 s[20:21], s[0:1], 0xa8
	s_add_co_i32 s10, s5, s10
	v_lshl_add_u32 v1, v2, 2, v0
	s_wait_alu 0xfffe
	s_mul_u64 s[10:11], s[36:37], s[10:11]
	v_dual_mov_b32 v120, 0 :: v_dual_lshlrev_b32 v5, 2, v9
	s_wait_alu 0xfffe
	s_mul_i32 s37, s11, s38
	s_ashr_i32 s40, s33, 31
	s_ashr_i32 s5, s39, 31
	s_wait_kmcnt 0x0
	s_ashr_i32 s10, s26, 2
	s_sub_co_i32 s26, s36, s37
	s_ashr_i32 s3, s3, 1
	s_wait_alu 0xfffe
	s_xor_b32 s5, s40, s5
	s_add_co_i32 s39, s11, 1
	s_ashr_i32 s14, s14, 2
	s_sub_co_i32 s36, s26, s38
	s_cmp_ge_u32 s26, s38
	v_mad_u32_u24 v8, 0x90, v1, v5
	v_mul_lo_u32 v5, s10, v2
	s_cselect_b32 s11, s39, s11
	s_cselect_b32 s26, s36, s26
	s_wait_alu 0xfffe
	s_add_co_i32 s36, s11, 1
	s_cmp_ge_u32 s26, s38
	v_mul_lo_u32 v0, s14, v1
	s_cselect_b32 s11, s36, s11
	s_mul_u64 s[24:25], s[24:25], s[28:29]
	v_ashrrev_i32_e32 v6, 31, v5
	s_wait_alu 0xfffe
	s_xor_b32 s11, s11, s5
	s_mul_u64 s[20:21], s[20:21], s[28:29]
	s_wait_alu 0xfffe
	s_sub_co_i32 s5, s11, s5
	s_add_nc_u64 s[6:7], s[6:7], s[24:25]
	s_wait_alu 0xfffe
	s_mul_i32 s24, s5, s27
	v_lshlrev_b64_e32 v[5:6], 2, v[5:6]
	v_dual_mov_b32 v107, 32 :: v_dual_lshlrev_b32 v10, 2, v103
	s_add_nc_u64 s[8:9], s[8:9], s[20:21]
	s_wait_alu 0xfffe
	s_ashr_i32 s25, s24, 31
	v_lshl_add_u32 v7, s14, 5, v0
	s_wait_alu 0xfffe
	s_add_nc_u64 s[8:9], s[8:9], s[24:25]
	v_lshl_add_u32 v11, v2, 10, v10
	v_lshl_add_u32 v111, v2, 8, 0x6c00
	v_add_co_u32 v2, vcc_lo, s8, v5
	v_dual_mov_b32 v119, 0 :: v_dual_add_nc_u32 v108, 0x4800, v8
	v_ashrrev_i32_e32 v1, 31, v0
	v_dual_mov_b32 v124, 0 :: v_dual_add_nc_u32 v109, 0x5a00, v8
	v_ashrrev_i32_e32 v8, 31, v7
	v_mad_co_u64_u32 v[94:95], null, v3, s3, v[93:94]
	s_wait_alu 0xfffd
	v_add_co_ci_u32_e64 v3, null, s9, v6, vcc_lo
	s_mul_i32 s36, s5, s15
	s_movk_i32 s5, 0x4800
	v_add_co_u32 v115, vcc_lo, v2, v10
	v_lshlrev_b64_e32 v[95:96], 2, v[0:1]
	v_lshlrev_b64_e32 v[97:98], 2, v[7:8]
	s_wait_alu 0xfffe
	v_mad_u32_u24 v110, 0x90, v93, s5
	v_dual_mov_b32 v123, 0 :: v_dual_add_nc_u32 v112, 0x4800, v11
	v_dual_mov_b32 v126, 0 :: v_dual_add_nc_u32 v113, 0x4a00, v11
	;; [unrolled: 1-line block ×3, first 2 shown]
	s_wait_alu 0xfffd
	v_add_co_ci_u32_e64 v116, null, 0, v3, vcc_lo
	v_dual_mov_b32 v122, 0 :: v_dual_lshlrev_b32 v117, 2, v9
	v_dual_mov_b32 v125, 0 :: v_dual_mov_b32 v128, 0
	v_dual_mov_b32 v127, 0 :: v_dual_mov_b32 v130, 0
	;; [unrolled: 1-line block ×5, first 2 shown]
	v_mov_b32_e32 v137, 0xfeffffff
	v_mov_b32_e32 v135, 0
	s_ashr_i32 s37, s36, 31
	s_ashr_i32 s15, s14, 31
	s_add_nc_u64 s[6:7], s[6:7], s[36:37]
	s_ashr_i32 s11, s10, 31
	s_add_nc_u64 s[8:9], s[0:1], 0xd0
	s_mov_b32 s3, 0xbbbac73d
.LBB24_13:                              ; =>This Inner Loop Header: Depth=1
	s_ashr_i32 s5, s4, 31
	s_wait_alu 0xfffe
	s_mul_u64 s[20:21], s[4:5], s[14:15]
	s_wait_alu 0xfffe
	s_lshl_b64 s[20:21], s[20:21], 2
	s_wait_alu 0xfffe
	s_add_nc_u64 s[20:21], s[6:7], s[20:21]
	s_wait_alu 0xfffe
	v_add_co_u32 v0, vcc_lo, s20, v95
	s_wait_alu 0xfffd
	v_add_co_ci_u32_e64 v1, null, s21, v96, vcc_lo
	v_add_co_u32 v2, vcc_lo, s20, v97
	s_wait_alu 0xfffd
	v_add_co_ci_u32_e64 v3, null, s21, v98, vcc_lo
	;; [unrolled: 3-line block ×4, first 2 shown]
	s_clause 0x1
	global_load_b128 v[4:7], v[0:1], off
	global_load_b128 v[8:11], v[2:3], off
	s_wait_loadcnt 0x1
	ds_store_b128 v108, v[4:7]
	s_wait_loadcnt 0x0
	ds_store_b128 v109, v[8:11]
	s_wait_dscnt 0x0
	s_barrier_signal -1
	s_barrier_wait -1
	global_inv scope:SCOPE_SE
	ds_load_b128 v[8:11], v110
	ds_load_b128 v[12:15], v105
	ds_load_b128 v[16:19], v105 offset:1152
	ds_load_b128 v[20:23], v110 offset:4608
	v_dual_mov_b32 v6, 0 :: v_dual_mov_b32 v7, 0
	v_dual_mov_b32 v4, 0 :: v_dual_mov_b32 v5, 0
	s_wait_dscnt 0x2
	;;#ASMSTART
	v_dot2_f32_f16 v6, v8, v12, v6
	;;#ASMEND
	;;#ASMSTART
	v_dot2_f32_f16 v6, v9, v13, v6
	;;#ASMEND
	;;#ASMSTART
	v_dot2_f32_f16 v6, v10, v14, v6
	;;#ASMEND
	;;#ASMSTART
	v_dot2_f32_f16 v6, v11, v15, v6
	;;#ASMEND
	s_wait_dscnt 0x1
	;;#ASMSTART
	v_dot2_f32_f16 v4, v8, v16, v4
	;;#ASMEND
	;;#ASMSTART
	v_dot2_f32_f16 v4, v9, v17, v4
	;;#ASMEND
	;;#ASMSTART
	v_dot2_f32_f16 v4, v10, v18, v4
	;;#ASMEND
	;;#ASMSTART
	v_dot2_f32_f16 v4, v11, v19, v4
	;;#ASMEND
	s_wait_dscnt 0x0
	;;#ASMSTART
	v_dot2_f32_f16 v7, v20, v12, v7
	;;#ASMEND
	;;#ASMSTART
	v_dot2_f32_f16 v7, v21, v13, v7
	;;#ASMEND
	;;#ASMSTART
	v_dot2_f32_f16 v7, v22, v14, v7
	;;#ASMEND
	;;#ASMSTART
	v_dot2_f32_f16 v7, v23, v15, v7
	;;#ASMEND
	;;#ASMSTART
	v_dot2_f32_f16 v5, v20, v16, v5
	;;#ASMEND
	;;#ASMSTART
	v_dot2_f32_f16 v5, v21, v17, v5
	;;#ASMEND
	;;#ASMSTART
	v_dot2_f32_f16 v5, v22, v18, v5
	;;#ASMEND
	;;#ASMSTART
	v_dot2_f32_f16 v5, v23, v19, v5
	;;#ASMEND
	ds_load_b128 v[8:11], v110 offset:16
	ds_load_b128 v[12:15], v105 offset:16
	ds_load_b128 v[16:19], v105 offset:1168
	ds_load_b128 v[20:23], v110 offset:4624
	s_wait_dscnt 0x2
	;;#ASMSTART
	v_dot2_f32_f16 v6, v8, v12, v6
	;;#ASMEND
	;;#ASMSTART
	v_dot2_f32_f16 v6, v9, v13, v6
	;;#ASMEND
	;;#ASMSTART
	v_dot2_f32_f16 v6, v10, v14, v6
	;;#ASMEND
	;;#ASMSTART
	v_dot2_f32_f16 v6, v11, v15, v6
	;;#ASMEND
	s_wait_dscnt 0x1
	;;#ASMSTART
	v_dot2_f32_f16 v4, v8, v16, v4
	;;#ASMEND
	;;#ASMSTART
	v_dot2_f32_f16 v4, v9, v17, v4
	;;#ASMEND
	;;#ASMSTART
	v_dot2_f32_f16 v4, v10, v18, v4
	;;#ASMEND
	;;#ASMSTART
	v_dot2_f32_f16 v4, v11, v19, v4
	;;#ASMEND
	s_wait_dscnt 0x0
	;;#ASMSTART
	v_dot2_f32_f16 v7, v20, v12, v7
	;;#ASMEND
	;;#ASMSTART
	v_dot2_f32_f16 v7, v21, v13, v7
	;;#ASMEND
	;;#ASMSTART
	v_dot2_f32_f16 v7, v22, v14, v7
	;;#ASMEND
	;;#ASMSTART
	v_dot2_f32_f16 v7, v23, v15, v7
	;;#ASMEND
	;;#ASMSTART
	v_dot2_f32_f16 v5, v20, v16, v5
	;;#ASMEND
	;;#ASMSTART
	v_dot2_f32_f16 v5, v21, v17, v5
	;;#ASMEND
	;;#ASMSTART
	v_dot2_f32_f16 v5, v22, v18, v5
	;;#ASMEND
	;;#ASMSTART
	v_dot2_f32_f16 v5, v23, v19, v5
	;;#ASMEND
	ds_load_b128 v[8:11], v110 offset:32
	ds_load_b128 v[12:15], v105 offset:32
	ds_load_b128 v[16:19], v105 offset:1184
	ds_load_b128 v[20:23], v110 offset:4640
	s_wait_dscnt 0x2
	;;#ASMSTART
	v_dot2_f32_f16 v6, v8, v12, v6
	;;#ASMEND
	;;#ASMSTART
	v_dot2_f32_f16 v6, v9, v13, v6
	;;#ASMEND
	;;#ASMSTART
	v_dot2_f32_f16 v6, v10, v14, v6
	;;#ASMEND
	;;#ASMSTART
	v_dot2_f32_f16 v6, v11, v15, v6
	;;#ASMEND
	s_wait_dscnt 0x1
	;;#ASMSTART
	v_dot2_f32_f16 v4, v8, v16, v4
	;;#ASMEND
	;;#ASMSTART
	v_dot2_f32_f16 v4, v9, v17, v4
	;;#ASMEND
	;;#ASMSTART
	v_dot2_f32_f16 v4, v10, v18, v4
	;;#ASMEND
	;;#ASMSTART
	v_dot2_f32_f16 v4, v11, v19, v4
	;;#ASMEND
	s_wait_dscnt 0x0
	;;#ASMSTART
	v_dot2_f32_f16 v7, v20, v12, v7
	;;#ASMEND
	;;#ASMSTART
	v_dot2_f32_f16 v7, v21, v13, v7
	;;#ASMEND
	;;#ASMSTART
	v_dot2_f32_f16 v7, v22, v14, v7
	;;#ASMEND
	;;#ASMSTART
	v_dot2_f32_f16 v7, v23, v15, v7
	;;#ASMEND
	;;#ASMSTART
	v_dot2_f32_f16 v5, v20, v16, v5
	;;#ASMEND
	;;#ASMSTART
	v_dot2_f32_f16 v5, v21, v17, v5
	;;#ASMEND
	;;#ASMSTART
	v_dot2_f32_f16 v5, v22, v18, v5
	;;#ASMEND
	;;#ASMSTART
	v_dot2_f32_f16 v5, v23, v19, v5
	;;#ASMEND
	ds_load_b128 v[8:11], v110 offset:48
	ds_load_b128 v[12:15], v105 offset:48
	ds_load_b128 v[16:19], v105 offset:1200
	ds_load_b128 v[20:23], v110 offset:4656
	s_wait_dscnt 0x2
	;;#ASMSTART
	v_dot2_f32_f16 v6, v8, v12, v6
	;;#ASMEND
	;;#ASMSTART
	v_dot2_f32_f16 v6, v9, v13, v6
	;;#ASMEND
	;;#ASMSTART
	v_dot2_f32_f16 v6, v10, v14, v6
	;;#ASMEND
	;;#ASMSTART
	v_dot2_f32_f16 v6, v11, v15, v6
	;;#ASMEND
	s_wait_dscnt 0x1
	;;#ASMSTART
	v_dot2_f32_f16 v4, v8, v16, v4
	;;#ASMEND
	;;#ASMSTART
	v_dot2_f32_f16 v4, v9, v17, v4
	;;#ASMEND
	;;#ASMSTART
	v_dot2_f32_f16 v4, v10, v18, v4
	;;#ASMEND
	;;#ASMSTART
	v_dot2_f32_f16 v4, v11, v19, v4
	;;#ASMEND
	s_wait_dscnt 0x0
	;;#ASMSTART
	v_dot2_f32_f16 v7, v20, v12, v7
	;;#ASMEND
	;;#ASMSTART
	v_dot2_f32_f16 v7, v21, v13, v7
	;;#ASMEND
	;;#ASMSTART
	v_dot2_f32_f16 v7, v22, v14, v7
	;;#ASMEND
	;;#ASMSTART
	v_dot2_f32_f16 v7, v23, v15, v7
	;;#ASMEND
	;;#ASMSTART
	v_dot2_f32_f16 v5, v20, v16, v5
	;;#ASMEND
	;;#ASMSTART
	v_dot2_f32_f16 v5, v21, v17, v5
	;;#ASMEND
	;;#ASMSTART
	v_dot2_f32_f16 v5, v22, v18, v5
	;;#ASMEND
	;;#ASMSTART
	v_dot2_f32_f16 v5, v23, v19, v5
	;;#ASMEND
	ds_load_b128 v[8:11], v110 offset:64
	ds_load_b128 v[12:15], v105 offset:64
	ds_load_b128 v[16:19], v105 offset:1216
	ds_load_b128 v[20:23], v110 offset:4672
	s_wait_dscnt 0x2
	;;#ASMSTART
	v_dot2_f32_f16 v6, v8, v12, v6
	;;#ASMEND
	;;#ASMSTART
	v_dot2_f32_f16 v6, v9, v13, v6
	;;#ASMEND
	;;#ASMSTART
	v_dot2_f32_f16 v6, v10, v14, v6
	;;#ASMEND
	;;#ASMSTART
	v_dot2_f32_f16 v6, v11, v15, v6
	;;#ASMEND
	s_wait_dscnt 0x1
	;;#ASMSTART
	v_dot2_f32_f16 v4, v8, v16, v4
	;;#ASMEND
	;;#ASMSTART
	v_dot2_f32_f16 v4, v9, v17, v4
	;;#ASMEND
	;;#ASMSTART
	v_dot2_f32_f16 v4, v10, v18, v4
	;;#ASMEND
	;;#ASMSTART
	v_dot2_f32_f16 v4, v11, v19, v4
	;;#ASMEND
	s_wait_dscnt 0x0
	;;#ASMSTART
	v_dot2_f32_f16 v7, v20, v12, v7
	;;#ASMEND
	;;#ASMSTART
	v_dot2_f32_f16 v7, v21, v13, v7
	;;#ASMEND
	;;#ASMSTART
	v_dot2_f32_f16 v7, v22, v14, v7
	;;#ASMEND
	;;#ASMSTART
	v_dot2_f32_f16 v7, v23, v15, v7
	;;#ASMEND
	;;#ASMSTART
	v_dot2_f32_f16 v5, v20, v16, v5
	;;#ASMEND
	;;#ASMSTART
	v_dot2_f32_f16 v5, v21, v17, v5
	;;#ASMEND
	;;#ASMSTART
	v_dot2_f32_f16 v5, v22, v18, v5
	;;#ASMEND
	;;#ASMSTART
	v_dot2_f32_f16 v5, v23, v19, v5
	;;#ASMEND
	ds_load_b128 v[8:11], v110 offset:80
	ds_load_b128 v[12:15], v105 offset:80
	ds_load_b128 v[16:19], v105 offset:1232
	ds_load_b128 v[20:23], v110 offset:4688
	s_wait_dscnt 0x2
	;;#ASMSTART
	v_dot2_f32_f16 v6, v8, v12, v6
	;;#ASMEND
	;;#ASMSTART
	v_dot2_f32_f16 v6, v9, v13, v6
	;;#ASMEND
	;;#ASMSTART
	v_dot2_f32_f16 v6, v10, v14, v6
	;;#ASMEND
	;;#ASMSTART
	v_dot2_f32_f16 v6, v11, v15, v6
	;;#ASMEND
	s_wait_dscnt 0x1
	;;#ASMSTART
	v_dot2_f32_f16 v4, v8, v16, v4
	;;#ASMEND
	;;#ASMSTART
	v_dot2_f32_f16 v4, v9, v17, v4
	;;#ASMEND
	;;#ASMSTART
	v_dot2_f32_f16 v4, v10, v18, v4
	;;#ASMEND
	;;#ASMSTART
	v_dot2_f32_f16 v4, v11, v19, v4
	;;#ASMEND
	s_wait_dscnt 0x0
	;;#ASMSTART
	v_dot2_f32_f16 v7, v20, v12, v7
	;;#ASMEND
	;;#ASMSTART
	v_dot2_f32_f16 v7, v21, v13, v7
	;;#ASMEND
	;;#ASMSTART
	v_dot2_f32_f16 v7, v22, v14, v7
	;;#ASMEND
	;;#ASMSTART
	v_dot2_f32_f16 v7, v23, v15, v7
	;;#ASMEND
	;;#ASMSTART
	v_dot2_f32_f16 v5, v20, v16, v5
	;;#ASMEND
	;;#ASMSTART
	v_dot2_f32_f16 v5, v21, v17, v5
	;;#ASMEND
	;;#ASMSTART
	v_dot2_f32_f16 v5, v22, v18, v5
	;;#ASMEND
	;;#ASMSTART
	v_dot2_f32_f16 v5, v23, v19, v5
	;;#ASMEND
	ds_load_b128 v[8:11], v110 offset:96
	ds_load_b128 v[12:15], v105 offset:96
	ds_load_b128 v[16:19], v105 offset:1248
	ds_load_b128 v[20:23], v110 offset:4704
	s_wait_dscnt 0x2
	;;#ASMSTART
	v_dot2_f32_f16 v6, v8, v12, v6
	;;#ASMEND
	;;#ASMSTART
	v_dot2_f32_f16 v6, v9, v13, v6
	;;#ASMEND
	;;#ASMSTART
	v_dot2_f32_f16 v6, v10, v14, v6
	;;#ASMEND
	;;#ASMSTART
	v_dot2_f32_f16 v6, v11, v15, v6
	;;#ASMEND
	s_wait_dscnt 0x1
	;;#ASMSTART
	v_dot2_f32_f16 v4, v8, v16, v4
	;;#ASMEND
	;;#ASMSTART
	v_dot2_f32_f16 v4, v9, v17, v4
	;;#ASMEND
	;;#ASMSTART
	v_dot2_f32_f16 v4, v10, v18, v4
	;;#ASMEND
	;;#ASMSTART
	v_dot2_f32_f16 v4, v11, v19, v4
	;;#ASMEND
	s_wait_dscnt 0x0
	;;#ASMSTART
	v_dot2_f32_f16 v7, v20, v12, v7
	;;#ASMEND
	;;#ASMSTART
	v_dot2_f32_f16 v7, v21, v13, v7
	;;#ASMEND
	;;#ASMSTART
	v_dot2_f32_f16 v7, v22, v14, v7
	;;#ASMEND
	;;#ASMSTART
	v_dot2_f32_f16 v7, v23, v15, v7
	;;#ASMEND
	;;#ASMSTART
	v_dot2_f32_f16 v5, v20, v16, v5
	;;#ASMEND
	;;#ASMSTART
	v_dot2_f32_f16 v5, v21, v17, v5
	;;#ASMEND
	;;#ASMSTART
	v_dot2_f32_f16 v5, v22, v18, v5
	;;#ASMEND
	;;#ASMSTART
	v_dot2_f32_f16 v5, v23, v19, v5
	;;#ASMEND
	ds_load_b128 v[8:11], v110 offset:112
	ds_load_b128 v[12:15], v105 offset:112
	ds_load_b128 v[16:19], v105 offset:1264
	ds_load_b128 v[20:23], v110 offset:4720
	s_wait_dscnt 0x2
	;;#ASMSTART
	v_dot2_f32_f16 v6, v8, v12, v6
	;;#ASMEND
	;;#ASMSTART
	v_dot2_f32_f16 v6, v9, v13, v6
	;;#ASMEND
	;;#ASMSTART
	v_dot2_f32_f16 v6, v10, v14, v6
	;;#ASMEND
	;;#ASMSTART
	v_dot2_f32_f16 v6, v11, v15, v6
	;;#ASMEND
	s_wait_dscnt 0x1
	;;#ASMSTART
	v_dot2_f32_f16 v4, v8, v16, v4
	;;#ASMEND
	;;#ASMSTART
	v_dot2_f32_f16 v4, v9, v17, v4
	;;#ASMEND
	;;#ASMSTART
	v_dot2_f32_f16 v4, v10, v18, v4
	;;#ASMEND
	;;#ASMSTART
	v_dot2_f32_f16 v4, v11, v19, v4
	;;#ASMEND
	;; [unrolled: 13-line block ×3, first 2 shown]
	;;#ASMSTART
	v_dot2_f32_f16 v5, v20, v16, v5
	;;#ASMEND
	;;#ASMSTART
	v_dot2_f32_f16 v5, v21, v17, v5
	;;#ASMEND
	;; [unrolled: 3-line block ×4, first 2 shown]
	s_wait_loadcnt 0x0
	s_barrier_signal -1
	s_barrier_wait -1
	global_inv scope:SCOPE_SE
	s_clause 0x1
	global_load_b128 v[8:11], v[0:1], off offset:128
	global_load_b128 v[12:15], v[2:3], off offset:128
	s_wait_loadcnt 0x1
	ds_store_b128 v108, v[8:11]
	s_wait_loadcnt 0x0
	ds_store_b128 v109, v[12:15]
	s_wait_dscnt 0x0
	s_barrier_signal -1
	s_barrier_wait -1
	global_inv scope:SCOPE_SE
	ds_load_b128 v[8:11], v110
	ds_load_b128 v[12:15], v105 offset:128
	ds_load_b128 v[16:19], v105 offset:1280
	ds_load_b128 v[20:23], v110 offset:4608
	s_wait_dscnt 0x2
	;;#ASMSTART
	v_dot2_f32_f16 v6, v8, v12, v6
	;;#ASMEND
	;;#ASMSTART
	v_dot2_f32_f16 v6, v9, v13, v6
	;;#ASMEND
	;;#ASMSTART
	v_dot2_f32_f16 v6, v10, v14, v6
	;;#ASMEND
	;;#ASMSTART
	v_dot2_f32_f16 v6, v11, v15, v6
	;;#ASMEND
	s_wait_dscnt 0x1
	;;#ASMSTART
	v_dot2_f32_f16 v4, v8, v16, v4
	;;#ASMEND
	;;#ASMSTART
	v_dot2_f32_f16 v4, v9, v17, v4
	;;#ASMEND
	;;#ASMSTART
	v_dot2_f32_f16 v4, v10, v18, v4
	;;#ASMEND
	;;#ASMSTART
	v_dot2_f32_f16 v4, v11, v19, v4
	;;#ASMEND
	s_wait_dscnt 0x0
	;;#ASMSTART
	v_dot2_f32_f16 v7, v20, v12, v7
	;;#ASMEND
	;;#ASMSTART
	v_dot2_f32_f16 v7, v21, v13, v7
	;;#ASMEND
	;;#ASMSTART
	v_dot2_f32_f16 v7, v22, v14, v7
	;;#ASMEND
	;;#ASMSTART
	v_dot2_f32_f16 v7, v23, v15, v7
	;;#ASMEND
	;;#ASMSTART
	v_dot2_f32_f16 v5, v20, v16, v5
	;;#ASMEND
	;;#ASMSTART
	v_dot2_f32_f16 v5, v21, v17, v5
	;;#ASMEND
	;;#ASMSTART
	v_dot2_f32_f16 v5, v22, v18, v5
	;;#ASMEND
	;;#ASMSTART
	v_dot2_f32_f16 v5, v23, v19, v5
	;;#ASMEND
	ds_load_b128 v[8:11], v110 offset:16
	ds_load_b128 v[12:15], v105 offset:144
	ds_load_b128 v[16:19], v105 offset:1296
	ds_load_b128 v[20:23], v110 offset:4624
	s_wait_dscnt 0x2
	;;#ASMSTART
	v_dot2_f32_f16 v6, v8, v12, v6
	;;#ASMEND
	;;#ASMSTART
	v_dot2_f32_f16 v6, v9, v13, v6
	;;#ASMEND
	;;#ASMSTART
	v_dot2_f32_f16 v6, v10, v14, v6
	;;#ASMEND
	;;#ASMSTART
	v_dot2_f32_f16 v6, v11, v15, v6
	;;#ASMEND
	s_wait_dscnt 0x1
	;;#ASMSTART
	v_dot2_f32_f16 v4, v8, v16, v4
	;;#ASMEND
	;;#ASMSTART
	v_dot2_f32_f16 v4, v9, v17, v4
	;;#ASMEND
	;;#ASMSTART
	v_dot2_f32_f16 v4, v10, v18, v4
	;;#ASMEND
	;;#ASMSTART
	v_dot2_f32_f16 v4, v11, v19, v4
	;;#ASMEND
	s_wait_dscnt 0x0
	;;#ASMSTART
	v_dot2_f32_f16 v7, v20, v12, v7
	;;#ASMEND
	;;#ASMSTART
	v_dot2_f32_f16 v7, v21, v13, v7
	;;#ASMEND
	;;#ASMSTART
	v_dot2_f32_f16 v7, v22, v14, v7
	;;#ASMEND
	;;#ASMSTART
	v_dot2_f32_f16 v7, v23, v15, v7
	;;#ASMEND
	;;#ASMSTART
	v_dot2_f32_f16 v5, v20, v16, v5
	;;#ASMEND
	;;#ASMSTART
	v_dot2_f32_f16 v5, v21, v17, v5
	;;#ASMEND
	;;#ASMSTART
	v_dot2_f32_f16 v5, v22, v18, v5
	;;#ASMEND
	;;#ASMSTART
	v_dot2_f32_f16 v5, v23, v19, v5
	;;#ASMEND
	ds_load_b128 v[8:11], v110 offset:32
	;; [unrolled: 55-line block ×7, first 2 shown]
	ds_load_b128 v[12:15], v105 offset:240
	ds_load_b128 v[16:19], v105 offset:1392
	;; [unrolled: 1-line block ×3, first 2 shown]
	s_wait_dscnt 0x2
	;;#ASMSTART
	v_dot2_f32_f16 v6, v8, v12, v6
	;;#ASMEND
	;;#ASMSTART
	v_dot2_f32_f16 v6, v9, v13, v6
	;;#ASMEND
	;;#ASMSTART
	v_dot2_f32_f16 v6, v10, v14, v6
	;;#ASMEND
	;;#ASMSTART
	v_dot2_f32_f16 v6, v11, v15, v6
	;;#ASMEND
	s_wait_dscnt 0x1
	;;#ASMSTART
	v_dot2_f32_f16 v4, v8, v16, v4
	;;#ASMEND
	;;#ASMSTART
	v_dot2_f32_f16 v4, v9, v17, v4
	;;#ASMEND
	;;#ASMSTART
	v_dot2_f32_f16 v4, v10, v18, v4
	;;#ASMEND
	;;#ASMSTART
	v_dot2_f32_f16 v4, v11, v19, v4
	;;#ASMEND
	s_wait_dscnt 0x0
	;;#ASMSTART
	v_dot2_f32_f16 v7, v20, v12, v7
	;;#ASMEND
	;;#ASMSTART
	v_dot2_f32_f16 v7, v21, v13, v7
	;;#ASMEND
	;;#ASMSTART
	v_dot2_f32_f16 v7, v22, v14, v7
	;;#ASMEND
	;;#ASMSTART
	v_dot2_f32_f16 v7, v23, v15, v7
	;;#ASMEND
	;;#ASMSTART
	v_dot2_f32_f16 v5, v20, v16, v5
	;;#ASMEND
	;;#ASMSTART
	v_dot2_f32_f16 v5, v21, v17, v5
	;;#ASMEND
	;; [unrolled: 3-line block ×4, first 2 shown]
	s_wait_loadcnt 0x0
	s_barrier_signal -1
	s_barrier_wait -1
	global_inv scope:SCOPE_SE
	s_clause 0x1
	global_load_b128 v[8:11], v[0:1], off offset:256
	global_load_b128 v[12:15], v[2:3], off offset:256
	s_wait_loadcnt 0x1
	ds_store_b128 v108, v[8:11]
	s_wait_loadcnt 0x0
	ds_store_b128 v109, v[12:15]
	s_wait_dscnt 0x0
	s_barrier_signal -1
	s_barrier_wait -1
	global_inv scope:SCOPE_SE
	ds_load_b128 v[8:11], v110
	ds_load_b128 v[12:15], v105 offset:256
	ds_load_b128 v[16:19], v105 offset:1408
	ds_load_b128 v[20:23], v110 offset:4608
	s_wait_dscnt 0x2
	;;#ASMSTART
	v_dot2_f32_f16 v6, v8, v12, v6
	;;#ASMEND
	;;#ASMSTART
	v_dot2_f32_f16 v6, v9, v13, v6
	;;#ASMEND
	;;#ASMSTART
	v_dot2_f32_f16 v6, v10, v14, v6
	;;#ASMEND
	;;#ASMSTART
	v_dot2_f32_f16 v6, v11, v15, v6
	;;#ASMEND
	s_wait_dscnt 0x1
	;;#ASMSTART
	v_dot2_f32_f16 v4, v8, v16, v4
	;;#ASMEND
	;;#ASMSTART
	v_dot2_f32_f16 v4, v9, v17, v4
	;;#ASMEND
	;;#ASMSTART
	v_dot2_f32_f16 v4, v10, v18, v4
	;;#ASMEND
	;;#ASMSTART
	v_dot2_f32_f16 v4, v11, v19, v4
	;;#ASMEND
	s_wait_dscnt 0x0
	;;#ASMSTART
	v_dot2_f32_f16 v7, v20, v12, v7
	;;#ASMEND
	;;#ASMSTART
	v_dot2_f32_f16 v7, v21, v13, v7
	;;#ASMEND
	;;#ASMSTART
	v_dot2_f32_f16 v7, v22, v14, v7
	;;#ASMEND
	;;#ASMSTART
	v_dot2_f32_f16 v7, v23, v15, v7
	;;#ASMEND
	;;#ASMSTART
	v_dot2_f32_f16 v5, v20, v16, v5
	;;#ASMEND
	;;#ASMSTART
	v_dot2_f32_f16 v5, v21, v17, v5
	;;#ASMEND
	;;#ASMSTART
	v_dot2_f32_f16 v5, v22, v18, v5
	;;#ASMEND
	;;#ASMSTART
	v_dot2_f32_f16 v5, v23, v19, v5
	;;#ASMEND
	ds_load_b128 v[8:11], v110 offset:16
	ds_load_b128 v[12:15], v105 offset:272
	ds_load_b128 v[16:19], v105 offset:1424
	ds_load_b128 v[20:23], v110 offset:4624
	s_wait_dscnt 0x2
	;;#ASMSTART
	v_dot2_f32_f16 v6, v8, v12, v6
	;;#ASMEND
	;;#ASMSTART
	v_dot2_f32_f16 v6, v9, v13, v6
	;;#ASMEND
	;;#ASMSTART
	v_dot2_f32_f16 v6, v10, v14, v6
	;;#ASMEND
	;;#ASMSTART
	v_dot2_f32_f16 v6, v11, v15, v6
	;;#ASMEND
	s_wait_dscnt 0x1
	;;#ASMSTART
	v_dot2_f32_f16 v4, v8, v16, v4
	;;#ASMEND
	;;#ASMSTART
	v_dot2_f32_f16 v4, v9, v17, v4
	;;#ASMEND
	;;#ASMSTART
	v_dot2_f32_f16 v4, v10, v18, v4
	;;#ASMEND
	;;#ASMSTART
	v_dot2_f32_f16 v4, v11, v19, v4
	;;#ASMEND
	s_wait_dscnt 0x0
	;;#ASMSTART
	v_dot2_f32_f16 v7, v20, v12, v7
	;;#ASMEND
	;;#ASMSTART
	v_dot2_f32_f16 v7, v21, v13, v7
	;;#ASMEND
	;;#ASMSTART
	v_dot2_f32_f16 v7, v22, v14, v7
	;;#ASMEND
	;;#ASMSTART
	v_dot2_f32_f16 v7, v23, v15, v7
	;;#ASMEND
	;;#ASMSTART
	v_dot2_f32_f16 v5, v20, v16, v5
	;;#ASMEND
	;;#ASMSTART
	v_dot2_f32_f16 v5, v21, v17, v5
	;;#ASMEND
	;;#ASMSTART
	v_dot2_f32_f16 v5, v22, v18, v5
	;;#ASMEND
	;;#ASMSTART
	v_dot2_f32_f16 v5, v23, v19, v5
	;;#ASMEND
	ds_load_b128 v[8:11], v110 offset:32
	;; [unrolled: 55-line block ×7, first 2 shown]
	ds_load_b128 v[12:15], v105 offset:368
	ds_load_b128 v[16:19], v105 offset:1520
	ds_load_b128 v[20:23], v110 offset:4720
	s_wait_dscnt 0x2
	;;#ASMSTART
	v_dot2_f32_f16 v6, v8, v12, v6
	;;#ASMEND
	;;#ASMSTART
	v_dot2_f32_f16 v6, v9, v13, v6
	;;#ASMEND
	;;#ASMSTART
	v_dot2_f32_f16 v6, v10, v14, v6
	;;#ASMEND
	;;#ASMSTART
	v_dot2_f32_f16 v6, v11, v15, v6
	;;#ASMEND
	s_wait_dscnt 0x1
	;;#ASMSTART
	v_dot2_f32_f16 v4, v8, v16, v4
	;;#ASMEND
	;;#ASMSTART
	v_dot2_f32_f16 v4, v9, v17, v4
	;;#ASMEND
	;;#ASMSTART
	v_dot2_f32_f16 v4, v10, v18, v4
	;;#ASMEND
	;;#ASMSTART
	v_dot2_f32_f16 v4, v11, v19, v4
	;;#ASMEND
	;; [unrolled: 13-line block ×3, first 2 shown]
	;;#ASMSTART
	v_dot2_f32_f16 v5, v20, v16, v5
	;;#ASMEND
	;;#ASMSTART
	v_dot2_f32_f16 v5, v21, v17, v5
	;;#ASMEND
	;; [unrolled: 3-line block ×4, first 2 shown]
	s_wait_loadcnt 0x0
	s_barrier_signal -1
	s_barrier_wait -1
	global_inv scope:SCOPE_SE
	s_clause 0x1
	global_load_b128 v[8:11], v[0:1], off offset:384
	global_load_b128 v[12:15], v[2:3], off offset:384
	s_wait_loadcnt 0x1
	ds_store_b128 v108, v[8:11]
	s_wait_loadcnt 0x0
	ds_store_b128 v109, v[12:15]
	s_wait_dscnt 0x0
	s_barrier_signal -1
	s_barrier_wait -1
	global_inv scope:SCOPE_SE
	ds_load_b128 v[8:11], v110
	ds_load_b128 v[12:15], v105 offset:384
	ds_load_b128 v[16:19], v105 offset:1536
	ds_load_b128 v[20:23], v110 offset:4608
	s_wait_dscnt 0x2
	;;#ASMSTART
	v_dot2_f32_f16 v6, v8, v12, v6
	;;#ASMEND
	;;#ASMSTART
	v_dot2_f32_f16 v6, v9, v13, v6
	;;#ASMEND
	;;#ASMSTART
	v_dot2_f32_f16 v6, v10, v14, v6
	;;#ASMEND
	;;#ASMSTART
	v_dot2_f32_f16 v6, v11, v15, v6
	;;#ASMEND
	s_wait_dscnt 0x1
	;;#ASMSTART
	v_dot2_f32_f16 v4, v8, v16, v4
	;;#ASMEND
	;;#ASMSTART
	v_dot2_f32_f16 v4, v9, v17, v4
	;;#ASMEND
	;;#ASMSTART
	v_dot2_f32_f16 v4, v10, v18, v4
	;;#ASMEND
	;;#ASMSTART
	v_dot2_f32_f16 v4, v11, v19, v4
	;;#ASMEND
	s_wait_dscnt 0x0
	;;#ASMSTART
	v_dot2_f32_f16 v7, v20, v12, v7
	;;#ASMEND
	;;#ASMSTART
	v_dot2_f32_f16 v7, v21, v13, v7
	;;#ASMEND
	;;#ASMSTART
	v_dot2_f32_f16 v7, v22, v14, v7
	;;#ASMEND
	;;#ASMSTART
	v_dot2_f32_f16 v7, v23, v15, v7
	;;#ASMEND
	;;#ASMSTART
	v_dot2_f32_f16 v5, v20, v16, v5
	;;#ASMEND
	;;#ASMSTART
	v_dot2_f32_f16 v5, v21, v17, v5
	;;#ASMEND
	;;#ASMSTART
	v_dot2_f32_f16 v5, v22, v18, v5
	;;#ASMEND
	;;#ASMSTART
	v_dot2_f32_f16 v5, v23, v19, v5
	;;#ASMEND
	ds_load_b128 v[8:11], v110 offset:16
	ds_load_b128 v[12:15], v105 offset:400
	ds_load_b128 v[16:19], v105 offset:1552
	ds_load_b128 v[20:23], v110 offset:4624
	s_wait_dscnt 0x2
	;;#ASMSTART
	v_dot2_f32_f16 v6, v8, v12, v6
	;;#ASMEND
	;;#ASMSTART
	v_dot2_f32_f16 v6, v9, v13, v6
	;;#ASMEND
	;;#ASMSTART
	v_dot2_f32_f16 v6, v10, v14, v6
	;;#ASMEND
	;;#ASMSTART
	v_dot2_f32_f16 v6, v11, v15, v6
	;;#ASMEND
	s_wait_dscnt 0x1
	;;#ASMSTART
	v_dot2_f32_f16 v4, v8, v16, v4
	;;#ASMEND
	;;#ASMSTART
	v_dot2_f32_f16 v4, v9, v17, v4
	;;#ASMEND
	;;#ASMSTART
	v_dot2_f32_f16 v4, v10, v18, v4
	;;#ASMEND
	;;#ASMSTART
	v_dot2_f32_f16 v4, v11, v19, v4
	;;#ASMEND
	s_wait_dscnt 0x0
	;;#ASMSTART
	v_dot2_f32_f16 v7, v20, v12, v7
	;;#ASMEND
	;;#ASMSTART
	v_dot2_f32_f16 v7, v21, v13, v7
	;;#ASMEND
	;;#ASMSTART
	v_dot2_f32_f16 v7, v22, v14, v7
	;;#ASMEND
	;;#ASMSTART
	v_dot2_f32_f16 v7, v23, v15, v7
	;;#ASMEND
	;;#ASMSTART
	v_dot2_f32_f16 v5, v20, v16, v5
	;;#ASMEND
	;;#ASMSTART
	v_dot2_f32_f16 v5, v21, v17, v5
	;;#ASMEND
	;;#ASMSTART
	v_dot2_f32_f16 v5, v22, v18, v5
	;;#ASMEND
	;;#ASMSTART
	v_dot2_f32_f16 v5, v23, v19, v5
	;;#ASMEND
	ds_load_b128 v[8:11], v110 offset:32
	;; [unrolled: 55-line block ×7, first 2 shown]
	ds_load_b128 v[12:15], v105 offset:496
	ds_load_b128 v[16:19], v105 offset:1648
	;; [unrolled: 1-line block ×3, first 2 shown]
	s_wait_dscnt 0x2
	;;#ASMSTART
	v_dot2_f32_f16 v6, v8, v12, v6
	;;#ASMEND
	;;#ASMSTART
	v_dot2_f32_f16 v6, v9, v13, v6
	;;#ASMEND
	;;#ASMSTART
	v_dot2_f32_f16 v6, v10, v14, v6
	;;#ASMEND
	;;#ASMSTART
	v_dot2_f32_f16 v6, v11, v15, v6
	;;#ASMEND
	s_wait_dscnt 0x1
	;;#ASMSTART
	v_dot2_f32_f16 v4, v8, v16, v4
	;;#ASMEND
	;;#ASMSTART
	v_dot2_f32_f16 v4, v9, v17, v4
	;;#ASMEND
	;;#ASMSTART
	v_dot2_f32_f16 v4, v10, v18, v4
	;;#ASMEND
	;;#ASMSTART
	v_dot2_f32_f16 v4, v11, v19, v4
	;;#ASMEND
	s_wait_dscnt 0x0
	;;#ASMSTART
	v_dot2_f32_f16 v7, v20, v12, v7
	;;#ASMEND
	;;#ASMSTART
	v_dot2_f32_f16 v7, v21, v13, v7
	;;#ASMEND
	;;#ASMSTART
	v_dot2_f32_f16 v7, v22, v14, v7
	;;#ASMEND
	;;#ASMSTART
	v_dot2_f32_f16 v7, v23, v15, v7
	;;#ASMEND
	;;#ASMSTART
	v_dot2_f32_f16 v5, v20, v16, v5
	;;#ASMEND
	;;#ASMSTART
	v_dot2_f32_f16 v5, v21, v17, v5
	;;#ASMEND
	;; [unrolled: 3-line block ×4, first 2 shown]
	s_wait_loadcnt 0x0
	s_barrier_signal -1
	s_barrier_wait -1
	global_inv scope:SCOPE_SE
	s_clause 0x1
	global_load_b128 v[8:11], v[0:1], off offset:512
	global_load_b128 v[12:15], v[2:3], off offset:512
	s_wait_loadcnt 0x1
	ds_store_b128 v108, v[8:11]
	s_wait_loadcnt 0x0
	ds_store_b128 v109, v[12:15]
	s_wait_dscnt 0x0
	s_barrier_signal -1
	s_barrier_wait -1
	global_inv scope:SCOPE_SE
	ds_load_b128 v[8:11], v110
	ds_load_b128 v[12:15], v105 offset:512
	ds_load_b128 v[16:19], v105 offset:1664
	ds_load_b128 v[20:23], v110 offset:4608
	s_wait_dscnt 0x2
	;;#ASMSTART
	v_dot2_f32_f16 v6, v8, v12, v6
	;;#ASMEND
	;;#ASMSTART
	v_dot2_f32_f16 v6, v9, v13, v6
	;;#ASMEND
	;;#ASMSTART
	v_dot2_f32_f16 v6, v10, v14, v6
	;;#ASMEND
	;;#ASMSTART
	v_dot2_f32_f16 v6, v11, v15, v6
	;;#ASMEND
	s_wait_dscnt 0x1
	;;#ASMSTART
	v_dot2_f32_f16 v4, v8, v16, v4
	;;#ASMEND
	;;#ASMSTART
	v_dot2_f32_f16 v4, v9, v17, v4
	;;#ASMEND
	;;#ASMSTART
	v_dot2_f32_f16 v4, v10, v18, v4
	;;#ASMEND
	;;#ASMSTART
	v_dot2_f32_f16 v4, v11, v19, v4
	;;#ASMEND
	s_wait_dscnt 0x0
	;;#ASMSTART
	v_dot2_f32_f16 v7, v20, v12, v7
	;;#ASMEND
	;;#ASMSTART
	v_dot2_f32_f16 v7, v21, v13, v7
	;;#ASMEND
	;;#ASMSTART
	v_dot2_f32_f16 v7, v22, v14, v7
	;;#ASMEND
	;;#ASMSTART
	v_dot2_f32_f16 v7, v23, v15, v7
	;;#ASMEND
	;;#ASMSTART
	v_dot2_f32_f16 v5, v20, v16, v5
	;;#ASMEND
	;;#ASMSTART
	v_dot2_f32_f16 v5, v21, v17, v5
	;;#ASMEND
	;;#ASMSTART
	v_dot2_f32_f16 v5, v22, v18, v5
	;;#ASMEND
	;;#ASMSTART
	v_dot2_f32_f16 v5, v23, v19, v5
	;;#ASMEND
	ds_load_b128 v[8:11], v110 offset:16
	ds_load_b128 v[12:15], v105 offset:528
	ds_load_b128 v[16:19], v105 offset:1680
	ds_load_b128 v[20:23], v110 offset:4624
	s_wait_dscnt 0x2
	;;#ASMSTART
	v_dot2_f32_f16 v6, v8, v12, v6
	;;#ASMEND
	;;#ASMSTART
	v_dot2_f32_f16 v6, v9, v13, v6
	;;#ASMEND
	;;#ASMSTART
	v_dot2_f32_f16 v6, v10, v14, v6
	;;#ASMEND
	;;#ASMSTART
	v_dot2_f32_f16 v6, v11, v15, v6
	;;#ASMEND
	s_wait_dscnt 0x1
	;;#ASMSTART
	v_dot2_f32_f16 v4, v8, v16, v4
	;;#ASMEND
	;;#ASMSTART
	v_dot2_f32_f16 v4, v9, v17, v4
	;;#ASMEND
	;;#ASMSTART
	v_dot2_f32_f16 v4, v10, v18, v4
	;;#ASMEND
	;;#ASMSTART
	v_dot2_f32_f16 v4, v11, v19, v4
	;;#ASMEND
	s_wait_dscnt 0x0
	;;#ASMSTART
	v_dot2_f32_f16 v7, v20, v12, v7
	;;#ASMEND
	;;#ASMSTART
	v_dot2_f32_f16 v7, v21, v13, v7
	;;#ASMEND
	;;#ASMSTART
	v_dot2_f32_f16 v7, v22, v14, v7
	;;#ASMEND
	;;#ASMSTART
	v_dot2_f32_f16 v7, v23, v15, v7
	;;#ASMEND
	;;#ASMSTART
	v_dot2_f32_f16 v5, v20, v16, v5
	;;#ASMEND
	;;#ASMSTART
	v_dot2_f32_f16 v5, v21, v17, v5
	;;#ASMEND
	;;#ASMSTART
	v_dot2_f32_f16 v5, v22, v18, v5
	;;#ASMEND
	;;#ASMSTART
	v_dot2_f32_f16 v5, v23, v19, v5
	;;#ASMEND
	ds_load_b128 v[8:11], v110 offset:32
	ds_load_b128 v[12:15], v105 offset:544
	ds_load_b128 v[16:19], v105 offset:1696
	ds_load_b128 v[20:23], v110 offset:4640
	s_wait_dscnt 0x2
	;;#ASMSTART
	v_dot2_f32_f16 v6, v8, v12, v6
	;;#ASMEND
	;;#ASMSTART
	v_dot2_f32_f16 v6, v9, v13, v6
	;;#ASMEND
	;;#ASMSTART
	v_dot2_f32_f16 v6, v10, v14, v6
	;;#ASMEND
	;;#ASMSTART
	v_dot2_f32_f16 v6, v11, v15, v6
	;;#ASMEND
	s_wait_dscnt 0x1
	;;#ASMSTART
	v_dot2_f32_f16 v4, v8, v16, v4
	;;#ASMEND
	;;#ASMSTART
	v_dot2_f32_f16 v4, v9, v17, v4
	;;#ASMEND
	;;#ASMSTART
	v_dot2_f32_f16 v4, v10, v18, v4
	;;#ASMEND
	;;#ASMSTART
	v_dot2_f32_f16 v4, v11, v19, v4
	;;#ASMEND
	s_wait_dscnt 0x0
	;;#ASMSTART
	v_dot2_f32_f16 v7, v20, v12, v7
	;;#ASMEND
	;;#ASMSTART
	v_dot2_f32_f16 v7, v21, v13, v7
	;;#ASMEND
	;;#ASMSTART
	v_dot2_f32_f16 v7, v22, v14, v7
	;;#ASMEND
	;;#ASMSTART
	v_dot2_f32_f16 v7, v23, v15, v7
	;;#ASMEND
	;;#ASMSTART
	v_dot2_f32_f16 v5, v20, v16, v5
	;;#ASMEND
	;;#ASMSTART
	v_dot2_f32_f16 v5, v21, v17, v5
	;;#ASMEND
	;;#ASMSTART
	v_dot2_f32_f16 v5, v22, v18, v5
	;;#ASMEND
	;;#ASMSTART
	v_dot2_f32_f16 v5, v23, v19, v5
	;;#ASMEND
	ds_load_b128 v[8:11], v110 offset:48
	ds_load_b128 v[12:15], v105 offset:560
	ds_load_b128 v[16:19], v105 offset:1712
	ds_load_b128 v[20:23], v110 offset:4656
	s_wait_dscnt 0x2
	;;#ASMSTART
	v_dot2_f32_f16 v6, v8, v12, v6
	;;#ASMEND
	;;#ASMSTART
	v_dot2_f32_f16 v6, v9, v13, v6
	;;#ASMEND
	;;#ASMSTART
	v_dot2_f32_f16 v6, v10, v14, v6
	;;#ASMEND
	;;#ASMSTART
	v_dot2_f32_f16 v6, v11, v15, v6
	;;#ASMEND
	s_wait_dscnt 0x1
	;;#ASMSTART
	v_dot2_f32_f16 v4, v8, v16, v4
	;;#ASMEND
	;;#ASMSTART
	v_dot2_f32_f16 v4, v9, v17, v4
	;;#ASMEND
	;;#ASMSTART
	v_dot2_f32_f16 v4, v10, v18, v4
	;;#ASMEND
	;;#ASMSTART
	v_dot2_f32_f16 v4, v11, v19, v4
	;;#ASMEND
	s_wait_dscnt 0x0
	;;#ASMSTART
	v_dot2_f32_f16 v7, v20, v12, v7
	;;#ASMEND
	;;#ASMSTART
	v_dot2_f32_f16 v7, v21, v13, v7
	;;#ASMEND
	;;#ASMSTART
	v_dot2_f32_f16 v7, v22, v14, v7
	;;#ASMEND
	;;#ASMSTART
	v_dot2_f32_f16 v7, v23, v15, v7
	;;#ASMEND
	;;#ASMSTART
	v_dot2_f32_f16 v5, v20, v16, v5
	;;#ASMEND
	;;#ASMSTART
	v_dot2_f32_f16 v5, v21, v17, v5
	;;#ASMEND
	;;#ASMSTART
	v_dot2_f32_f16 v5, v22, v18, v5
	;;#ASMEND
	;;#ASMSTART
	v_dot2_f32_f16 v5, v23, v19, v5
	;;#ASMEND
	ds_load_b128 v[8:11], v110 offset:64
	ds_load_b128 v[12:15], v105 offset:576
	ds_load_b128 v[16:19], v105 offset:1728
	ds_load_b128 v[20:23], v110 offset:4672
	s_wait_dscnt 0x2
	;;#ASMSTART
	v_dot2_f32_f16 v6, v8, v12, v6
	;;#ASMEND
	;;#ASMSTART
	v_dot2_f32_f16 v6, v9, v13, v6
	;;#ASMEND
	;;#ASMSTART
	v_dot2_f32_f16 v6, v10, v14, v6
	;;#ASMEND
	;;#ASMSTART
	v_dot2_f32_f16 v6, v11, v15, v6
	;;#ASMEND
	s_wait_dscnt 0x1
	;;#ASMSTART
	v_dot2_f32_f16 v4, v8, v16, v4
	;;#ASMEND
	;;#ASMSTART
	v_dot2_f32_f16 v4, v9, v17, v4
	;;#ASMEND
	;;#ASMSTART
	v_dot2_f32_f16 v4, v10, v18, v4
	;;#ASMEND
	;;#ASMSTART
	v_dot2_f32_f16 v4, v11, v19, v4
	;;#ASMEND
	s_wait_dscnt 0x0
	;;#ASMSTART
	v_dot2_f32_f16 v7, v20, v12, v7
	;;#ASMEND
	;;#ASMSTART
	v_dot2_f32_f16 v7, v21, v13, v7
	;;#ASMEND
	;;#ASMSTART
	v_dot2_f32_f16 v7, v22, v14, v7
	;;#ASMEND
	;;#ASMSTART
	v_dot2_f32_f16 v7, v23, v15, v7
	;;#ASMEND
	;;#ASMSTART
	v_dot2_f32_f16 v5, v20, v16, v5
	;;#ASMEND
	;;#ASMSTART
	v_dot2_f32_f16 v5, v21, v17, v5
	;;#ASMEND
	;;#ASMSTART
	v_dot2_f32_f16 v5, v22, v18, v5
	;;#ASMEND
	;;#ASMSTART
	v_dot2_f32_f16 v5, v23, v19, v5
	;;#ASMEND
	ds_load_b128 v[8:11], v110 offset:80
	ds_load_b128 v[12:15], v105 offset:592
	ds_load_b128 v[16:19], v105 offset:1744
	ds_load_b128 v[20:23], v110 offset:4688
	s_wait_dscnt 0x2
	;;#ASMSTART
	v_dot2_f32_f16 v6, v8, v12, v6
	;;#ASMEND
	;;#ASMSTART
	v_dot2_f32_f16 v6, v9, v13, v6
	;;#ASMEND
	;;#ASMSTART
	v_dot2_f32_f16 v6, v10, v14, v6
	;;#ASMEND
	;;#ASMSTART
	v_dot2_f32_f16 v6, v11, v15, v6
	;;#ASMEND
	s_wait_dscnt 0x1
	;;#ASMSTART
	v_dot2_f32_f16 v4, v8, v16, v4
	;;#ASMEND
	;;#ASMSTART
	v_dot2_f32_f16 v4, v9, v17, v4
	;;#ASMEND
	;;#ASMSTART
	v_dot2_f32_f16 v4, v10, v18, v4
	;;#ASMEND
	;;#ASMSTART
	v_dot2_f32_f16 v4, v11, v19, v4
	;;#ASMEND
	s_wait_dscnt 0x0
	;;#ASMSTART
	v_dot2_f32_f16 v7, v20, v12, v7
	;;#ASMEND
	;;#ASMSTART
	v_dot2_f32_f16 v7, v21, v13, v7
	;;#ASMEND
	;;#ASMSTART
	v_dot2_f32_f16 v7, v22, v14, v7
	;;#ASMEND
	;;#ASMSTART
	v_dot2_f32_f16 v7, v23, v15, v7
	;;#ASMEND
	;;#ASMSTART
	v_dot2_f32_f16 v5, v20, v16, v5
	;;#ASMEND
	;;#ASMSTART
	v_dot2_f32_f16 v5, v21, v17, v5
	;;#ASMEND
	;;#ASMSTART
	v_dot2_f32_f16 v5, v22, v18, v5
	;;#ASMEND
	;;#ASMSTART
	v_dot2_f32_f16 v5, v23, v19, v5
	;;#ASMEND
	ds_load_b128 v[8:11], v110 offset:96
	ds_load_b128 v[12:15], v105 offset:608
	ds_load_b128 v[16:19], v105 offset:1760
	ds_load_b128 v[20:23], v110 offset:4704
	s_wait_dscnt 0x2
	;;#ASMSTART
	v_dot2_f32_f16 v6, v8, v12, v6
	;;#ASMEND
	;;#ASMSTART
	v_dot2_f32_f16 v6, v9, v13, v6
	;;#ASMEND
	;;#ASMSTART
	v_dot2_f32_f16 v6, v10, v14, v6
	;;#ASMEND
	;;#ASMSTART
	v_dot2_f32_f16 v6, v11, v15, v6
	;;#ASMEND
	s_wait_dscnt 0x1
	;;#ASMSTART
	v_dot2_f32_f16 v4, v8, v16, v4
	;;#ASMEND
	;;#ASMSTART
	v_dot2_f32_f16 v4, v9, v17, v4
	;;#ASMEND
	;;#ASMSTART
	v_dot2_f32_f16 v4, v10, v18, v4
	;;#ASMEND
	;;#ASMSTART
	v_dot2_f32_f16 v4, v11, v19, v4
	;;#ASMEND
	s_wait_dscnt 0x0
	;;#ASMSTART
	v_dot2_f32_f16 v7, v20, v12, v7
	;;#ASMEND
	;;#ASMSTART
	v_dot2_f32_f16 v7, v21, v13, v7
	;;#ASMEND
	;;#ASMSTART
	v_dot2_f32_f16 v7, v22, v14, v7
	;;#ASMEND
	;;#ASMSTART
	v_dot2_f32_f16 v7, v23, v15, v7
	;;#ASMEND
	;;#ASMSTART
	v_dot2_f32_f16 v5, v20, v16, v5
	;;#ASMEND
	;;#ASMSTART
	v_dot2_f32_f16 v5, v21, v17, v5
	;;#ASMEND
	;;#ASMSTART
	v_dot2_f32_f16 v5, v22, v18, v5
	;;#ASMEND
	;;#ASMSTART
	v_dot2_f32_f16 v5, v23, v19, v5
	;;#ASMEND
	ds_load_b128 v[8:11], v110 offset:112
	ds_load_b128 v[12:15], v105 offset:624
	ds_load_b128 v[16:19], v105 offset:1776
	;; [unrolled: 1-line block ×3, first 2 shown]
	s_wait_dscnt 0x2
	;;#ASMSTART
	v_dot2_f32_f16 v6, v8, v12, v6
	;;#ASMEND
	;;#ASMSTART
	v_dot2_f32_f16 v6, v9, v13, v6
	;;#ASMEND
	;;#ASMSTART
	v_dot2_f32_f16 v6, v10, v14, v6
	;;#ASMEND
	;;#ASMSTART
	v_dot2_f32_f16 v6, v11, v15, v6
	;;#ASMEND
	s_wait_dscnt 0x1
	;;#ASMSTART
	v_dot2_f32_f16 v4, v8, v16, v4
	;;#ASMEND
	;;#ASMSTART
	v_dot2_f32_f16 v4, v9, v17, v4
	;;#ASMEND
	;;#ASMSTART
	v_dot2_f32_f16 v4, v10, v18, v4
	;;#ASMEND
	;;#ASMSTART
	v_dot2_f32_f16 v4, v11, v19, v4
	;;#ASMEND
	s_wait_dscnt 0x0
	;;#ASMSTART
	v_dot2_f32_f16 v7, v20, v12, v7
	;;#ASMEND
	;;#ASMSTART
	v_dot2_f32_f16 v7, v21, v13, v7
	;;#ASMEND
	;;#ASMSTART
	v_dot2_f32_f16 v7, v22, v14, v7
	;;#ASMEND
	;;#ASMSTART
	v_dot2_f32_f16 v7, v23, v15, v7
	;;#ASMEND
	;;#ASMSTART
	v_dot2_f32_f16 v5, v20, v16, v5
	;;#ASMEND
	;;#ASMSTART
	v_dot2_f32_f16 v5, v21, v17, v5
	;;#ASMEND
	;; [unrolled: 3-line block ×4, first 2 shown]
	s_wait_loadcnt 0x0
	s_barrier_signal -1
	s_barrier_wait -1
	global_inv scope:SCOPE_SE
	s_clause 0x1
	global_load_b128 v[8:11], v[0:1], off offset:640
	global_load_b128 v[12:15], v[2:3], off offset:640
	s_wait_loadcnt 0x1
	ds_store_b128 v108, v[8:11]
	s_wait_loadcnt 0x0
	ds_store_b128 v109, v[12:15]
	s_wait_dscnt 0x0
	s_barrier_signal -1
	s_barrier_wait -1
	global_inv scope:SCOPE_SE
	ds_load_b128 v[8:11], v110
	ds_load_b128 v[12:15], v105 offset:640
	ds_load_b128 v[16:19], v105 offset:1792
	ds_load_b128 v[20:23], v110 offset:4608
	s_wait_dscnt 0x2
	;;#ASMSTART
	v_dot2_f32_f16 v6, v8, v12, v6
	;;#ASMEND
	;;#ASMSTART
	v_dot2_f32_f16 v6, v9, v13, v6
	;;#ASMEND
	;;#ASMSTART
	v_dot2_f32_f16 v6, v10, v14, v6
	;;#ASMEND
	;;#ASMSTART
	v_dot2_f32_f16 v6, v11, v15, v6
	;;#ASMEND
	s_wait_dscnt 0x1
	;;#ASMSTART
	v_dot2_f32_f16 v4, v8, v16, v4
	;;#ASMEND
	;;#ASMSTART
	v_dot2_f32_f16 v4, v9, v17, v4
	;;#ASMEND
	;;#ASMSTART
	v_dot2_f32_f16 v4, v10, v18, v4
	;;#ASMEND
	;;#ASMSTART
	v_dot2_f32_f16 v4, v11, v19, v4
	;;#ASMEND
	s_wait_dscnt 0x0
	;;#ASMSTART
	v_dot2_f32_f16 v7, v20, v12, v7
	;;#ASMEND
	;;#ASMSTART
	v_dot2_f32_f16 v7, v21, v13, v7
	;;#ASMEND
	;;#ASMSTART
	v_dot2_f32_f16 v7, v22, v14, v7
	;;#ASMEND
	;;#ASMSTART
	v_dot2_f32_f16 v7, v23, v15, v7
	;;#ASMEND
	;;#ASMSTART
	v_dot2_f32_f16 v5, v20, v16, v5
	;;#ASMEND
	;;#ASMSTART
	v_dot2_f32_f16 v5, v21, v17, v5
	;;#ASMEND
	;;#ASMSTART
	v_dot2_f32_f16 v5, v22, v18, v5
	;;#ASMEND
	;;#ASMSTART
	v_dot2_f32_f16 v5, v23, v19, v5
	;;#ASMEND
	ds_load_b128 v[8:11], v110 offset:16
	ds_load_b128 v[12:15], v105 offset:656
	ds_load_b128 v[16:19], v105 offset:1808
	ds_load_b128 v[20:23], v110 offset:4624
	s_wait_dscnt 0x2
	;;#ASMSTART
	v_dot2_f32_f16 v6, v8, v12, v6
	;;#ASMEND
	;;#ASMSTART
	v_dot2_f32_f16 v6, v9, v13, v6
	;;#ASMEND
	;;#ASMSTART
	v_dot2_f32_f16 v6, v10, v14, v6
	;;#ASMEND
	;;#ASMSTART
	v_dot2_f32_f16 v6, v11, v15, v6
	;;#ASMEND
	s_wait_dscnt 0x1
	;;#ASMSTART
	v_dot2_f32_f16 v4, v8, v16, v4
	;;#ASMEND
	;;#ASMSTART
	v_dot2_f32_f16 v4, v9, v17, v4
	;;#ASMEND
	;;#ASMSTART
	v_dot2_f32_f16 v4, v10, v18, v4
	;;#ASMEND
	;;#ASMSTART
	v_dot2_f32_f16 v4, v11, v19, v4
	;;#ASMEND
	s_wait_dscnt 0x0
	;;#ASMSTART
	v_dot2_f32_f16 v7, v20, v12, v7
	;;#ASMEND
	;;#ASMSTART
	v_dot2_f32_f16 v7, v21, v13, v7
	;;#ASMEND
	;;#ASMSTART
	v_dot2_f32_f16 v7, v22, v14, v7
	;;#ASMEND
	;;#ASMSTART
	v_dot2_f32_f16 v7, v23, v15, v7
	;;#ASMEND
	;;#ASMSTART
	v_dot2_f32_f16 v5, v20, v16, v5
	;;#ASMEND
	;;#ASMSTART
	v_dot2_f32_f16 v5, v21, v17, v5
	;;#ASMEND
	;;#ASMSTART
	v_dot2_f32_f16 v5, v22, v18, v5
	;;#ASMEND
	;;#ASMSTART
	v_dot2_f32_f16 v5, v23, v19, v5
	;;#ASMEND
	ds_load_b128 v[8:11], v110 offset:32
	;; [unrolled: 55-line block ×7, first 2 shown]
	ds_load_b128 v[12:15], v105 offset:752
	ds_load_b128 v[16:19], v105 offset:1904
	ds_load_b128 v[20:23], v110 offset:4720
	s_wait_dscnt 0x2
	;;#ASMSTART
	v_dot2_f32_f16 v6, v8, v12, v6
	;;#ASMEND
	;;#ASMSTART
	v_dot2_f32_f16 v6, v9, v13, v6
	;;#ASMEND
	;;#ASMSTART
	v_dot2_f32_f16 v6, v10, v14, v6
	;;#ASMEND
	;;#ASMSTART
	v_dot2_f32_f16 v6, v11, v15, v6
	;;#ASMEND
	s_wait_dscnt 0x1
	;;#ASMSTART
	v_dot2_f32_f16 v4, v8, v16, v4
	;;#ASMEND
	;;#ASMSTART
	v_dot2_f32_f16 v4, v9, v17, v4
	;;#ASMEND
	;;#ASMSTART
	v_dot2_f32_f16 v4, v10, v18, v4
	;;#ASMEND
	;;#ASMSTART
	v_dot2_f32_f16 v4, v11, v19, v4
	;;#ASMEND
	;; [unrolled: 13-line block ×3, first 2 shown]
	;;#ASMSTART
	v_dot2_f32_f16 v5, v20, v16, v5
	;;#ASMEND
	;;#ASMSTART
	v_dot2_f32_f16 v5, v21, v17, v5
	;;#ASMEND
	;; [unrolled: 3-line block ×4, first 2 shown]
	s_wait_loadcnt 0x0
	s_barrier_signal -1
	s_barrier_wait -1
	global_inv scope:SCOPE_SE
	s_clause 0x1
	global_load_b128 v[8:11], v[0:1], off offset:768
	global_load_b128 v[12:15], v[2:3], off offset:768
	s_wait_loadcnt 0x1
	ds_store_b128 v108, v[8:11]
	s_wait_loadcnt 0x0
	ds_store_b128 v109, v[12:15]
	s_wait_dscnt 0x0
	s_barrier_signal -1
	s_barrier_wait -1
	global_inv scope:SCOPE_SE
	ds_load_b128 v[8:11], v110
	ds_load_b128 v[12:15], v105 offset:768
	ds_load_b128 v[16:19], v105 offset:1920
	ds_load_b128 v[20:23], v110 offset:4608
	s_wait_dscnt 0x2
	;;#ASMSTART
	v_dot2_f32_f16 v6, v8, v12, v6
	;;#ASMEND
	;;#ASMSTART
	v_dot2_f32_f16 v6, v9, v13, v6
	;;#ASMEND
	;;#ASMSTART
	v_dot2_f32_f16 v6, v10, v14, v6
	;;#ASMEND
	;;#ASMSTART
	v_dot2_f32_f16 v6, v11, v15, v6
	;;#ASMEND
	s_wait_dscnt 0x1
	;;#ASMSTART
	v_dot2_f32_f16 v4, v8, v16, v4
	;;#ASMEND
	;;#ASMSTART
	v_dot2_f32_f16 v4, v9, v17, v4
	;;#ASMEND
	;;#ASMSTART
	v_dot2_f32_f16 v4, v10, v18, v4
	;;#ASMEND
	;;#ASMSTART
	v_dot2_f32_f16 v4, v11, v19, v4
	;;#ASMEND
	s_wait_dscnt 0x0
	;;#ASMSTART
	v_dot2_f32_f16 v7, v20, v12, v7
	;;#ASMEND
	;;#ASMSTART
	v_dot2_f32_f16 v7, v21, v13, v7
	;;#ASMEND
	;;#ASMSTART
	v_dot2_f32_f16 v7, v22, v14, v7
	;;#ASMEND
	;;#ASMSTART
	v_dot2_f32_f16 v7, v23, v15, v7
	;;#ASMEND
	;;#ASMSTART
	v_dot2_f32_f16 v5, v20, v16, v5
	;;#ASMEND
	;;#ASMSTART
	v_dot2_f32_f16 v5, v21, v17, v5
	;;#ASMEND
	;;#ASMSTART
	v_dot2_f32_f16 v5, v22, v18, v5
	;;#ASMEND
	;;#ASMSTART
	v_dot2_f32_f16 v5, v23, v19, v5
	;;#ASMEND
	ds_load_b128 v[8:11], v110 offset:16
	ds_load_b128 v[12:15], v105 offset:784
	ds_load_b128 v[16:19], v105 offset:1936
	ds_load_b128 v[20:23], v110 offset:4624
	s_wait_dscnt 0x2
	;;#ASMSTART
	v_dot2_f32_f16 v6, v8, v12, v6
	;;#ASMEND
	;;#ASMSTART
	v_dot2_f32_f16 v6, v9, v13, v6
	;;#ASMEND
	;;#ASMSTART
	v_dot2_f32_f16 v6, v10, v14, v6
	;;#ASMEND
	;;#ASMSTART
	v_dot2_f32_f16 v6, v11, v15, v6
	;;#ASMEND
	s_wait_dscnt 0x1
	;;#ASMSTART
	v_dot2_f32_f16 v4, v8, v16, v4
	;;#ASMEND
	;;#ASMSTART
	v_dot2_f32_f16 v4, v9, v17, v4
	;;#ASMEND
	;;#ASMSTART
	v_dot2_f32_f16 v4, v10, v18, v4
	;;#ASMEND
	;;#ASMSTART
	v_dot2_f32_f16 v4, v11, v19, v4
	;;#ASMEND
	s_wait_dscnt 0x0
	;;#ASMSTART
	v_dot2_f32_f16 v7, v20, v12, v7
	;;#ASMEND
	;;#ASMSTART
	v_dot2_f32_f16 v7, v21, v13, v7
	;;#ASMEND
	;;#ASMSTART
	v_dot2_f32_f16 v7, v22, v14, v7
	;;#ASMEND
	;;#ASMSTART
	v_dot2_f32_f16 v7, v23, v15, v7
	;;#ASMEND
	;;#ASMSTART
	v_dot2_f32_f16 v5, v20, v16, v5
	;;#ASMEND
	;;#ASMSTART
	v_dot2_f32_f16 v5, v21, v17, v5
	;;#ASMEND
	;;#ASMSTART
	v_dot2_f32_f16 v5, v22, v18, v5
	;;#ASMEND
	;;#ASMSTART
	v_dot2_f32_f16 v5, v23, v19, v5
	;;#ASMEND
	ds_load_b128 v[8:11], v110 offset:32
	;; [unrolled: 55-line block ×7, first 2 shown]
	ds_load_b128 v[12:15], v105 offset:880
	ds_load_b128 v[16:19], v105 offset:2032
	;; [unrolled: 1-line block ×3, first 2 shown]
	s_wait_dscnt 0x2
	;;#ASMSTART
	v_dot2_f32_f16 v6, v8, v12, v6
	;;#ASMEND
	;;#ASMSTART
	v_dot2_f32_f16 v6, v9, v13, v6
	;;#ASMEND
	;;#ASMSTART
	v_dot2_f32_f16 v6, v10, v14, v6
	;;#ASMEND
	;;#ASMSTART
	v_dot2_f32_f16 v6, v11, v15, v6
	;;#ASMEND
	s_wait_dscnt 0x1
	;;#ASMSTART
	v_dot2_f32_f16 v4, v8, v16, v4
	;;#ASMEND
	;;#ASMSTART
	v_dot2_f32_f16 v4, v9, v17, v4
	;;#ASMEND
	;;#ASMSTART
	v_dot2_f32_f16 v4, v10, v18, v4
	;;#ASMEND
	;;#ASMSTART
	v_dot2_f32_f16 v4, v11, v19, v4
	;;#ASMEND
	;; [unrolled: 13-line block ×3, first 2 shown]
	;;#ASMSTART
	v_dot2_f32_f16 v5, v20, v16, v5
	;;#ASMEND
	;;#ASMSTART
	v_dot2_f32_f16 v5, v21, v17, v5
	;;#ASMEND
	;; [unrolled: 3-line block ×4, first 2 shown]
	s_wait_loadcnt 0x0
	s_barrier_signal -1
	s_barrier_wait -1
	global_inv scope:SCOPE_SE
	s_clause 0x1
	global_load_b128 v[8:11], v[0:1], off offset:896
	global_load_b128 v[12:15], v[2:3], off offset:896
	s_wait_loadcnt 0x1
	ds_store_b128 v108, v[8:11]
	s_wait_loadcnt 0x0
	ds_store_b128 v109, v[12:15]
	s_wait_dscnt 0x0
	s_barrier_signal -1
	s_barrier_wait -1
	global_inv scope:SCOPE_SE
	ds_load_b128 v[8:11], v110
	ds_load_b128 v[12:15], v105 offset:896
	ds_load_b128 v[16:19], v105 offset:2048
	ds_load_b128 v[20:23], v110 offset:4608
	s_wait_dscnt 0x2
	;;#ASMSTART
	v_dot2_f32_f16 v6, v8, v12, v6
	;;#ASMEND
	;;#ASMSTART
	v_dot2_f32_f16 v6, v9, v13, v6
	;;#ASMEND
	;;#ASMSTART
	v_dot2_f32_f16 v6, v10, v14, v6
	;;#ASMEND
	;;#ASMSTART
	v_dot2_f32_f16 v6, v11, v15, v6
	;;#ASMEND
	s_wait_dscnt 0x1
	;;#ASMSTART
	v_dot2_f32_f16 v4, v8, v16, v4
	;;#ASMEND
	;;#ASMSTART
	v_dot2_f32_f16 v4, v9, v17, v4
	;;#ASMEND
	;;#ASMSTART
	v_dot2_f32_f16 v4, v10, v18, v4
	;;#ASMEND
	;;#ASMSTART
	v_dot2_f32_f16 v4, v11, v19, v4
	;;#ASMEND
	s_wait_dscnt 0x0
	;;#ASMSTART
	v_dot2_f32_f16 v7, v20, v12, v7
	;;#ASMEND
	;;#ASMSTART
	v_dot2_f32_f16 v7, v21, v13, v7
	;;#ASMEND
	;;#ASMSTART
	v_dot2_f32_f16 v7, v22, v14, v7
	;;#ASMEND
	;;#ASMSTART
	v_dot2_f32_f16 v7, v23, v15, v7
	;;#ASMEND
	;;#ASMSTART
	v_dot2_f32_f16 v5, v20, v16, v5
	;;#ASMEND
	;;#ASMSTART
	v_dot2_f32_f16 v5, v21, v17, v5
	;;#ASMEND
	;;#ASMSTART
	v_dot2_f32_f16 v5, v22, v18, v5
	;;#ASMEND
	;;#ASMSTART
	v_dot2_f32_f16 v5, v23, v19, v5
	;;#ASMEND
	ds_load_b128 v[8:11], v110 offset:16
	ds_load_b128 v[12:15], v105 offset:912
	ds_load_b128 v[16:19], v105 offset:2064
	ds_load_b128 v[20:23], v110 offset:4624
	s_wait_dscnt 0x2
	;;#ASMSTART
	v_dot2_f32_f16 v6, v8, v12, v6
	;;#ASMEND
	;;#ASMSTART
	v_dot2_f32_f16 v6, v9, v13, v6
	;;#ASMEND
	;;#ASMSTART
	v_dot2_f32_f16 v6, v10, v14, v6
	;;#ASMEND
	;;#ASMSTART
	v_dot2_f32_f16 v6, v11, v15, v6
	;;#ASMEND
	s_wait_dscnt 0x1
	;;#ASMSTART
	v_dot2_f32_f16 v4, v8, v16, v4
	;;#ASMEND
	;;#ASMSTART
	v_dot2_f32_f16 v4, v9, v17, v4
	;;#ASMEND
	;;#ASMSTART
	v_dot2_f32_f16 v4, v10, v18, v4
	;;#ASMEND
	;;#ASMSTART
	v_dot2_f32_f16 v4, v11, v19, v4
	;;#ASMEND
	s_wait_dscnt 0x0
	;;#ASMSTART
	v_dot2_f32_f16 v7, v20, v12, v7
	;;#ASMEND
	;;#ASMSTART
	v_dot2_f32_f16 v7, v21, v13, v7
	;;#ASMEND
	;;#ASMSTART
	v_dot2_f32_f16 v7, v22, v14, v7
	;;#ASMEND
	;;#ASMSTART
	v_dot2_f32_f16 v7, v23, v15, v7
	;;#ASMEND
	;;#ASMSTART
	v_dot2_f32_f16 v5, v20, v16, v5
	;;#ASMEND
	;;#ASMSTART
	v_dot2_f32_f16 v5, v21, v17, v5
	;;#ASMEND
	;;#ASMSTART
	v_dot2_f32_f16 v5, v22, v18, v5
	;;#ASMEND
	;;#ASMSTART
	v_dot2_f32_f16 v5, v23, v19, v5
	;;#ASMEND
	ds_load_b128 v[8:11], v110 offset:32
	;; [unrolled: 55-line block ×7, first 2 shown]
	ds_load_b128 v[12:15], v105 offset:1008
	ds_load_b128 v[16:19], v105 offset:2160
	;; [unrolled: 1-line block ×3, first 2 shown]
	s_wait_dscnt 0x2
	;;#ASMSTART
	v_dot2_f32_f16 v6, v8, v12, v6
	;;#ASMEND
	;;#ASMSTART
	v_dot2_f32_f16 v6, v9, v13, v6
	;;#ASMEND
	;;#ASMSTART
	v_dot2_f32_f16 v6, v10, v14, v6
	;;#ASMEND
	;;#ASMSTART
	v_dot2_f32_f16 v6, v11, v15, v6
	;;#ASMEND
	s_wait_dscnt 0x1
	;;#ASMSTART
	v_dot2_f32_f16 v4, v8, v16, v4
	;;#ASMEND
	;;#ASMSTART
	v_dot2_f32_f16 v4, v9, v17, v4
	;;#ASMEND
	;;#ASMSTART
	v_dot2_f32_f16 v4, v10, v18, v4
	;;#ASMEND
	;;#ASMSTART
	v_dot2_f32_f16 v4, v11, v19, v4
	;;#ASMEND
	s_wait_dscnt 0x0
	;;#ASMSTART
	v_dot2_f32_f16 v7, v20, v12, v7
	;;#ASMEND
	;;#ASMSTART
	v_dot2_f32_f16 v7, v21, v13, v7
	;;#ASMEND
	;;#ASMSTART
	v_dot2_f32_f16 v7, v22, v14, v7
	;;#ASMEND
	;;#ASMSTART
	v_dot2_f32_f16 v7, v23, v15, v7
	;;#ASMEND
	;;#ASMSTART
	v_dot2_f32_f16 v5, v20, v16, v5
	;;#ASMEND
	;;#ASMSTART
	v_dot2_f32_f16 v5, v21, v17, v5
	;;#ASMEND
	;; [unrolled: 3-line block ×4, first 2 shown]
	s_wait_loadcnt 0x0
	s_barrier_signal -1
	s_barrier_wait -1
	global_inv scope:SCOPE_SE
	s_clause 0x1
	global_load_b128 v[8:11], v[0:1], off offset:1024
	global_load_b128 v[0:3], v[2:3], off offset:1024
	s_wait_loadcnt 0x1
	ds_store_b128 v108, v[8:11]
	s_wait_loadcnt 0x0
	ds_store_b128 v109, v[0:3]
	s_wait_dscnt 0x0
	s_barrier_signal -1
	s_barrier_wait -1
	global_inv scope:SCOPE_SE
	ds_load_b128 v[0:3], v110
	ds_load_b128 v[8:11], v105 offset:1024
	ds_load_b128 v[12:15], v105 offset:2176
	ds_load_b128 v[16:19], v110 offset:4608
	s_wait_dscnt 0x2
	;;#ASMSTART
	v_dot2_f32_f16 v6, v0, v8, v6
	;;#ASMEND
	;;#ASMSTART
	v_dot2_f32_f16 v6, v1, v9, v6
	;;#ASMEND
	;;#ASMSTART
	v_dot2_f32_f16 v6, v2, v10, v6
	;;#ASMEND
	;;#ASMSTART
	v_dot2_f32_f16 v6, v3, v11, v6
	;;#ASMEND
	s_wait_dscnt 0x1
	;;#ASMSTART
	v_dot2_f32_f16 v4, v0, v12, v4
	;;#ASMEND
	;;#ASMSTART
	v_dot2_f32_f16 v4, v1, v13, v4
	;;#ASMEND
	;;#ASMSTART
	v_dot2_f32_f16 v4, v2, v14, v4
	;;#ASMEND
	;;#ASMSTART
	v_dot2_f32_f16 v4, v3, v15, v4
	;;#ASMEND
	s_wait_dscnt 0x0
	;;#ASMSTART
	v_dot2_f32_f16 v7, v16, v8, v7
	;;#ASMEND
	;;#ASMSTART
	v_dot2_f32_f16 v7, v17, v9, v7
	;;#ASMEND
	;;#ASMSTART
	v_dot2_f32_f16 v7, v18, v10, v7
	;;#ASMEND
	;;#ASMSTART
	v_dot2_f32_f16 v7, v19, v11, v7
	;;#ASMEND
	;;#ASMSTART
	v_dot2_f32_f16 v5, v16, v12, v5
	;;#ASMEND
	;;#ASMSTART
	v_dot2_f32_f16 v5, v17, v13, v5
	;;#ASMEND
	;;#ASMSTART
	v_dot2_f32_f16 v5, v18, v14, v5
	;;#ASMEND
	;;#ASMSTART
	v_dot2_f32_f16 v5, v19, v15, v5
	;;#ASMEND
	ds_load_b128 v[0:3], v110 offset:16
	ds_load_b128 v[8:11], v105 offset:1040
	ds_load_b128 v[12:15], v105 offset:2192
	ds_load_b128 v[16:19], v110 offset:4624
	s_wait_dscnt 0x2
	;;#ASMSTART
	v_dot2_f32_f16 v6, v0, v8, v6
	;;#ASMEND
	;;#ASMSTART
	v_dot2_f32_f16 v6, v1, v9, v6
	;;#ASMEND
	;;#ASMSTART
	v_dot2_f32_f16 v6, v2, v10, v6
	;;#ASMEND
	;;#ASMSTART
	v_dot2_f32_f16 v6, v3, v11, v6
	;;#ASMEND
	s_wait_dscnt 0x1
	;;#ASMSTART
	v_dot2_f32_f16 v4, v0, v12, v4
	;;#ASMEND
	;;#ASMSTART
	v_dot2_f32_f16 v4, v1, v13, v4
	;;#ASMEND
	;;#ASMSTART
	v_dot2_f32_f16 v4, v2, v14, v4
	;;#ASMEND
	;;#ASMSTART
	v_dot2_f32_f16 v4, v3, v15, v4
	;;#ASMEND
	s_wait_dscnt 0x0
	;;#ASMSTART
	v_dot2_f32_f16 v7, v16, v8, v7
	;;#ASMEND
	;;#ASMSTART
	v_dot2_f32_f16 v7, v17, v9, v7
	;;#ASMEND
	;;#ASMSTART
	v_dot2_f32_f16 v7, v18, v10, v7
	;;#ASMEND
	;;#ASMSTART
	v_dot2_f32_f16 v7, v19, v11, v7
	;;#ASMEND
	;;#ASMSTART
	v_dot2_f32_f16 v5, v16, v12, v5
	;;#ASMEND
	;;#ASMSTART
	v_dot2_f32_f16 v5, v17, v13, v5
	;;#ASMEND
	;;#ASMSTART
	v_dot2_f32_f16 v5, v18, v14, v5
	;;#ASMEND
	;;#ASMSTART
	v_dot2_f32_f16 v5, v19, v15, v5
	;;#ASMEND
	ds_load_b128 v[0:3], v110 offset:32
	;; [unrolled: 55-line block ×7, first 2 shown]
	ds_load_b128 v[8:11], v105 offset:1136
	ds_load_b128 v[12:15], v105 offset:2288
	;; [unrolled: 1-line block ×3, first 2 shown]
	s_wait_dscnt 0x2
	;;#ASMSTART
	v_dot2_f32_f16 v6, v0, v8, v6
	;;#ASMEND
	;;#ASMSTART
	v_dot2_f32_f16 v6, v1, v9, v6
	;;#ASMEND
	;; [unrolled: 3-line block ×4, first 2 shown]
	s_wait_dscnt 0x1
	;;#ASMSTART
	v_dot2_f32_f16 v4, v0, v12, v4
	;;#ASMEND
	;;#ASMSTART
	v_dot2_f32_f16 v4, v1, v13, v4
	;;#ASMEND
	;; [unrolled: 3-line block ×4, first 2 shown]
	s_wait_dscnt 0x0
	;;#ASMSTART
	v_dot2_f32_f16 v7, v16, v8, v7
	;;#ASMEND
	v_cmp_ngt_f32_e64 s20, 0x3f200000, |v6|
	;;#ASMSTART
	v_dot2_f32_f16 v7, v17, v9, v7
	;;#ASMEND
	;;#ASMSTART
	v_dot2_f32_f16 v7, v18, v10, v7
	;;#ASMEND
	;; [unrolled: 3-line block ×7, first 2 shown]
                                        ; implicit-def: $vgpr8
	s_and_saveexec_b32 s21, s20
	s_wait_alu 0xfffe
	s_xor_b32 s20, exec_lo, s21
	s_cbranch_execz .LBB24_15
; %bb.14:                               ;   in Loop: Header=BB24_13 Depth=1
	v_add_f32_e64 v0, |v6|, |v6|
	s_delay_alu instid0(VALU_DEP_1) | instskip(SKIP_1) | instid1(VALU_DEP_2)
	v_mul_f32_e32 v1, 0x3fb8aa3b, v0
	v_cmp_ngt_f32_e32 vcc_lo, 0xc2ce8ed0, v0
	v_rndne_f32_e32 v2, v1
	v_fma_f32 v3, 0x3fb8aa3b, v0, -v1
	s_delay_alu instid0(VALU_DEP_2) | instskip(NEXT) | instid1(VALU_DEP_2)
	v_sub_f32_e32 v1, v1, v2
	v_fmac_f32_e32 v3, 0x32a5705f, v0
	v_cvt_i32_f32_e32 v2, v2
	s_delay_alu instid0(VALU_DEP_2) | instskip(NEXT) | instid1(VALU_DEP_1)
	v_add_f32_e32 v1, v1, v3
	v_exp_f32_e32 v1, v1
	s_delay_alu instid0(TRANS32_DEP_1) | instskip(SKIP_1) | instid1(VALU_DEP_1)
	v_ldexp_f32 v1, v1, v2
	s_wait_alu 0xfffd
	v_cndmask_b32_e32 v1, 0, v1, vcc_lo
	v_cmp_nlt_f32_e32 vcc_lo, 0x42b17218, v0
	s_wait_alu 0xfffd
	s_delay_alu instid0(VALU_DEP_2) | instskip(NEXT) | instid1(VALU_DEP_1)
	v_cndmask_b32_e32 v0, 0x7f800000, v1, vcc_lo
	v_add_f32_e32 v0, 1.0, v0
	s_delay_alu instid0(VALU_DEP_1) | instskip(NEXT) | instid1(TRANS32_DEP_1)
	v_rcp_f32_e32 v0, v0
	v_fma_f32 v8, v0, -2.0, 1.0
.LBB24_15:                              ;   in Loop: Header=BB24_13 Depth=1
	s_wait_alu 0xfffe
	s_and_not1_saveexec_b32 s20, s20
	s_cbranch_execz .LBB24_17
; %bb.16:                               ;   in Loop: Header=BB24_13 Depth=1
	v_mul_f32_e32 v0, v6, v6
	s_delay_alu instid0(VALU_DEP_1) | instskip(NEXT) | instid1(VALU_DEP_1)
	v_fmaak_f32 v1, s3, v0, 0x3ca908c9
	v_fmaak_f32 v1, v0, v1, 0xbd5c1c4e
	s_delay_alu instid0(VALU_DEP_1) | instskip(NEXT) | instid1(VALU_DEP_1)
	v_fmaak_f32 v1, v0, v1, 0x3e088382
	v_fmaak_f32 v1, v0, v1, 0xbeaaaa99
	s_delay_alu instid0(VALU_DEP_1) | instskip(NEXT) | instid1(VALU_DEP_1)
	v_mul_f32_e64 v1, |v6|, v1
	v_fma_f32 v8, v0, v1, |v6|
.LBB24_17:                              ;   in Loop: Header=BB24_13 Depth=1
	s_wait_alu 0xfffe
	s_or_b32 exec_lo, exec_lo, s20
	v_add_nc_u32_e32 v0, s4, v94
	v_cmp_ngt_f32_e64 s20, 0x3f200000, |v7|
                                        ; implicit-def: $vgpr9
	s_delay_alu instid0(VALU_DEP_2) | instskip(NEXT) | instid1(VALU_DEP_1)
	v_ashrrev_i32_e32 v1, 31, v0
	v_lshlrev_b64_e32 v[0:1], 1, v[0:1]
	s_delay_alu instid0(VALU_DEP_1) | instskip(SKIP_1) | instid1(VALU_DEP_2)
	v_add_co_u32 v0, vcc_lo, s34, v0
	s_wait_alu 0xfffd
	v_add_co_ci_u32_e64 v1, null, s35, v1, vcc_lo
	global_load_u16 v2, v[0:1], off
	s_and_saveexec_b32 s21, s20
	s_wait_alu 0xfffe
	s_xor_b32 s20, exec_lo, s21
	s_cbranch_execz .LBB24_19
; %bb.18:                               ;   in Loop: Header=BB24_13 Depth=1
	v_add_f32_e64 v3, |v7|, |v7|
	s_delay_alu instid0(VALU_DEP_1) | instskip(SKIP_1) | instid1(VALU_DEP_2)
	v_mul_f32_e32 v9, 0x3fb8aa3b, v3
	v_cmp_ngt_f32_e32 vcc_lo, 0xc2ce8ed0, v3
	v_rndne_f32_e32 v10, v9
	v_fma_f32 v11, 0x3fb8aa3b, v3, -v9
	s_delay_alu instid0(VALU_DEP_2) | instskip(NEXT) | instid1(VALU_DEP_2)
	v_sub_f32_e32 v9, v9, v10
	v_fmac_f32_e32 v11, 0x32a5705f, v3
	v_cvt_i32_f32_e32 v10, v10
	s_delay_alu instid0(VALU_DEP_2) | instskip(NEXT) | instid1(VALU_DEP_1)
	v_add_f32_e32 v9, v9, v11
	v_exp_f32_e32 v9, v9
	s_delay_alu instid0(TRANS32_DEP_1) | instskip(SKIP_1) | instid1(VALU_DEP_1)
	v_ldexp_f32 v9, v9, v10
	s_wait_alu 0xfffd
	v_cndmask_b32_e32 v9, 0, v9, vcc_lo
	v_cmp_nlt_f32_e32 vcc_lo, 0x42b17218, v3
	s_wait_alu 0xfffd
	s_delay_alu instid0(VALU_DEP_2) | instskip(NEXT) | instid1(VALU_DEP_1)
	v_cndmask_b32_e32 v3, 0x7f800000, v9, vcc_lo
	v_add_f32_e32 v3, 1.0, v3
	s_delay_alu instid0(VALU_DEP_1) | instskip(NEXT) | instid1(TRANS32_DEP_1)
	v_rcp_f32_e32 v3, v3
	v_fma_f32 v9, v3, -2.0, 1.0
.LBB24_19:                              ;   in Loop: Header=BB24_13 Depth=1
	s_wait_alu 0xfffe
	s_and_not1_saveexec_b32 s20, s20
	s_cbranch_execz .LBB24_21
; %bb.20:                               ;   in Loop: Header=BB24_13 Depth=1
	v_mul_f32_e32 v3, v7, v7
	s_delay_alu instid0(VALU_DEP_1) | instskip(NEXT) | instid1(VALU_DEP_1)
	v_fmaak_f32 v9, s3, v3, 0x3ca908c9
	v_fmaak_f32 v9, v3, v9, 0xbd5c1c4e
	s_delay_alu instid0(VALU_DEP_1) | instskip(NEXT) | instid1(VALU_DEP_1)
	v_fmaak_f32 v9, v3, v9, 0x3e088382
	v_fmaak_f32 v9, v3, v9, 0xbeaaaa99
	s_delay_alu instid0(VALU_DEP_1) | instskip(NEXT) | instid1(VALU_DEP_1)
	v_mul_f32_e64 v9, |v7|, v9
	v_fma_f32 v9, v3, v9, |v7|
.LBB24_21:                              ;   in Loop: Header=BB24_13 Depth=1
	s_wait_alu 0xfffe
	s_or_b32 exec_lo, exec_lo, s20
	global_load_u16 v3, v[0:1], off offset:64
	v_bfi_b32 v0, 0x7fffffff, v8, v6
	v_bfi_b32 v6, 0x7fffffff, v9, v7
	v_xor_b32_e32 v142, 16, v106
	v_xor_b32_e32 v138, 8, v106
	v_xor_b32_e32 v139, 4, v106
	s_wait_loadcnt 0x1
	v_fma_mix_f32 v1, s31, v0, v2 op_sel_hi:[0,0,1]
	v_xor_b32_e32 v140, 2, v106
	v_cmp_gt_i32_e32 vcc_lo, 32, v142
	v_xor_b32_e32 v141, 1, v106
	v_cmp_ngt_f32_e64 s20, 0x3f200000, |v4|
	v_add_f32_e32 v7, 0x40051340, v1
	s_wait_loadcnt 0x0
	v_fma_mix_f32 v0, s31, v6, v3 op_sel_hi:[0,0,1]
	s_wait_alu 0xfffd
	v_cndmask_b32_e32 v6, v106, v142, vcc_lo
	v_cmp_gt_i32_e32 vcc_lo, 32, v138
	s_delay_alu instid0(VALU_DEP_3) | instskip(NEXT) | instid1(VALU_DEP_3)
	v_add_f32_e32 v8, 0x40051340, v0
	v_lshlrev_b32_e32 v6, 2, v6
	s_wait_alu 0xfffd
	v_cndmask_b32_e32 v9, v106, v138, vcc_lo
	v_cmp_gt_i32_e32 vcc_lo, 32, v139
	v_max3_num_f32 v8, v136, v7, v8
	ds_bpermute_b32 v7, v6, v8
	s_wait_dscnt 0x0
	v_dual_max_num_f32 v10, v7, v7 :: v_dual_lshlrev_b32 v7, 2, v9
	s_wait_alu 0xfffd
	s_delay_alu instid0(VALU_DEP_1)
	v_dual_max_num_f32 v9, v8, v10 :: v_dual_cndmask_b32 v10, v106, v139
	v_cmp_gt_i32_e32 vcc_lo, 32, v140
	ds_bpermute_b32 v8, v7, v9
	s_wait_dscnt 0x0
	v_dual_max_num_f32 v11, v8, v8 :: v_dual_lshlrev_b32 v8, 2, v10
	s_wait_alu 0xfffd
	s_delay_alu instid0(VALU_DEP_1) | instskip(SKIP_4) | instid1(VALU_DEP_1)
	v_dual_max_num_f32 v10, v9, v11 :: v_dual_cndmask_b32 v11, v106, v140
	v_cmp_gt_i32_e32 vcc_lo, 32, v141
	ds_bpermute_b32 v9, v8, v10
	s_wait_dscnt 0x0
	v_dual_max_num_f32 v12, v9, v9 :: v_dual_lshlrev_b32 v9, 2, v11
	v_max_num_f32_e32 v10, v10, v12
	s_wait_alu 0xfffd
	v_cndmask_b32_e32 v12, v106, v141, vcc_lo
	ds_bpermute_b32 v11, v9, v10
	s_wait_dscnt 0x0
	v_max_num_f32_e32 v13, v11, v11
	s_delay_alu instid0(VALU_DEP_1)
	v_dual_max_num_f32 v10, v10, v13 :: v_dual_lshlrev_b32 v11, 2, v12
                                        ; implicit-def: $vgpr13
	ds_bpermute_b32 v12, v11, v10
	s_and_saveexec_b32 s21, s20
	s_wait_alu 0xfffe
	s_xor_b32 s20, exec_lo, s21
	s_cbranch_execz .LBB24_23
; %bb.22:                               ;   in Loop: Header=BB24_13 Depth=1
	v_add_f32_e64 v13, |v4|, |v4|
	s_delay_alu instid0(VALU_DEP_1) | instskip(SKIP_1) | instid1(VALU_DEP_2)
	v_mul_f32_e32 v14, 0x3fb8aa3b, v13
	v_cmp_ngt_f32_e32 vcc_lo, 0xc2ce8ed0, v13
	v_rndne_f32_e32 v15, v14
	v_fma_f32 v16, 0x3fb8aa3b, v13, -v14
	s_delay_alu instid0(VALU_DEP_2) | instskip(NEXT) | instid1(VALU_DEP_2)
	v_sub_f32_e32 v14, v14, v15
	v_fmac_f32_e32 v16, 0x32a5705f, v13
	v_cvt_i32_f32_e32 v15, v15
	s_delay_alu instid0(VALU_DEP_2) | instskip(NEXT) | instid1(VALU_DEP_1)
	v_add_f32_e32 v14, v14, v16
	v_exp_f32_e32 v14, v14
	s_delay_alu instid0(TRANS32_DEP_1) | instskip(SKIP_1) | instid1(VALU_DEP_1)
	v_ldexp_f32 v14, v14, v15
	s_wait_alu 0xfffd
	v_cndmask_b32_e32 v14, 0, v14, vcc_lo
	v_cmp_nlt_f32_e32 vcc_lo, 0x42b17218, v13
	s_wait_alu 0xfffd
	s_delay_alu instid0(VALU_DEP_2) | instskip(NEXT) | instid1(VALU_DEP_1)
	v_cndmask_b32_e32 v13, 0x7f800000, v14, vcc_lo
	v_add_f32_e32 v13, 1.0, v13
	s_delay_alu instid0(VALU_DEP_1) | instskip(NEXT) | instid1(TRANS32_DEP_1)
	v_rcp_f32_e32 v13, v13
	v_fma_f32 v13, v13, -2.0, 1.0
.LBB24_23:                              ;   in Loop: Header=BB24_13 Depth=1
	s_wait_alu 0xfffe
	s_and_not1_saveexec_b32 s20, s20
	s_cbranch_execz .LBB24_25
; %bb.24:                               ;   in Loop: Header=BB24_13 Depth=1
	v_mul_f32_e32 v13, v4, v4
	s_delay_alu instid0(VALU_DEP_1) | instskip(NEXT) | instid1(VALU_DEP_1)
	v_fmaak_f32 v14, s3, v13, 0x3ca908c9
	v_fmaak_f32 v14, v13, v14, 0xbd5c1c4e
	s_delay_alu instid0(VALU_DEP_1) | instskip(NEXT) | instid1(VALU_DEP_1)
	v_fmaak_f32 v14, v13, v14, 0x3e088382
	v_fmaak_f32 v14, v13, v14, 0xbeaaaa99
	s_delay_alu instid0(VALU_DEP_1) | instskip(NEXT) | instid1(VALU_DEP_1)
	v_mul_f32_e64 v14, |v4|, v14
	v_fma_f32 v13, v13, v14, |v4|
.LBB24_25:                              ;   in Loop: Header=BB24_13 Depth=1
	s_wait_alu 0xfffe
	s_or_b32 exec_lo, exec_lo, s20
	v_cmp_ngt_f32_e64 s20, 0x3f200000, |v5|
                                        ; implicit-def: $vgpr14
	s_and_saveexec_b32 s21, s20
	s_wait_alu 0xfffe
	s_xor_b32 s20, exec_lo, s21
	s_cbranch_execz .LBB24_27
; %bb.26:                               ;   in Loop: Header=BB24_13 Depth=1
	v_add_f32_e64 v14, |v5|, |v5|
	s_delay_alu instid0(VALU_DEP_1) | instskip(SKIP_1) | instid1(VALU_DEP_2)
	v_mul_f32_e32 v15, 0x3fb8aa3b, v14
	v_cmp_ngt_f32_e32 vcc_lo, 0xc2ce8ed0, v14
	v_rndne_f32_e32 v16, v15
	v_fma_f32 v17, 0x3fb8aa3b, v14, -v15
	s_delay_alu instid0(VALU_DEP_2) | instskip(NEXT) | instid1(VALU_DEP_2)
	v_sub_f32_e32 v15, v15, v16
	v_fmac_f32_e32 v17, 0x32a5705f, v14
	v_cvt_i32_f32_e32 v16, v16
	s_delay_alu instid0(VALU_DEP_2) | instskip(NEXT) | instid1(VALU_DEP_1)
	v_add_f32_e32 v15, v15, v17
	v_exp_f32_e32 v15, v15
	s_delay_alu instid0(TRANS32_DEP_1) | instskip(SKIP_1) | instid1(VALU_DEP_1)
	v_ldexp_f32 v15, v15, v16
	s_wait_alu 0xfffd
	v_cndmask_b32_e32 v15, 0, v15, vcc_lo
	v_cmp_nlt_f32_e32 vcc_lo, 0x42b17218, v14
	s_wait_alu 0xfffd
	s_delay_alu instid0(VALU_DEP_2) | instskip(NEXT) | instid1(VALU_DEP_1)
	v_cndmask_b32_e32 v14, 0x7f800000, v15, vcc_lo
	v_add_f32_e32 v14, 1.0, v14
	s_delay_alu instid0(VALU_DEP_1) | instskip(NEXT) | instid1(TRANS32_DEP_1)
	v_rcp_f32_e32 v14, v14
	v_fma_f32 v14, v14, -2.0, 1.0
.LBB24_27:                              ;   in Loop: Header=BB24_13 Depth=1
	s_wait_alu 0xfffe
	s_and_not1_saveexec_b32 s20, s20
	s_cbranch_execz .LBB24_29
; %bb.28:                               ;   in Loop: Header=BB24_13 Depth=1
	v_mul_f32_e32 v14, v5, v5
	s_delay_alu instid0(VALU_DEP_1) | instskip(NEXT) | instid1(VALU_DEP_1)
	v_fmaak_f32 v15, s3, v14, 0x3ca908c9
	v_fmaak_f32 v15, v14, v15, 0xbd5c1c4e
	s_delay_alu instid0(VALU_DEP_1) | instskip(NEXT) | instid1(VALU_DEP_1)
	v_fmaak_f32 v15, v14, v15, 0x3e088382
	v_fmaak_f32 v15, v14, v15, 0xbeaaaa99
	s_delay_alu instid0(VALU_DEP_1) | instskip(NEXT) | instid1(VALU_DEP_1)
	v_mul_f32_e64 v15, |v5|, v15
	v_fma_f32 v14, v14, v15, |v5|
.LBB24_29:                              ;   in Loop: Header=BB24_13 Depth=1
	s_wait_alu 0xfffe
	s_or_b32 exec_lo, exec_lo, s20
	s_mul_u64 s[20:21], s[4:5], s[10:11]
	s_wait_dscnt 0x0
	s_wait_alu 0xfffe
	s_lshl_b64 s[20:21], s[20:21], 2
	s_barrier_signal -1
	s_wait_alu 0xfffe
	v_add_co_u32 v19, vcc_lo, v115, s20
	s_wait_alu 0xfffd
	v_add_co_ci_u32_e64 v20, null, s21, v116, vcc_lo
	s_barrier_wait -1
	global_inv scope:SCOPE_SE
	v_cvt_f32_f16_e32 v2, v2
	s_clause 0x1
	global_load_b128 v[15:18], v[19:20], off
	global_load_b128 v[19:22], v[19:20], off offset:512
	v_cvt_f32_f16_e32 v3, v3
	v_bfi_b32 v4, 0x7fffffff, v13, v4
	v_bfi_b32 v5, 0x7fffffff, v14, v5
	s_or_b32 s20, s4, 8
	v_add_nc_u32_e32 v143, 0x800, v114
	s_wait_alu 0xfffe
	s_ashr_i32 s21, s20, 31
	v_dual_fmac_f32 v2, s31, v4 :: v_dual_fmac_f32 v3, s31, v5
	s_wait_alu 0xfffe
	s_mul_u64 s[20:21], s[20:21], s[10:11]
	v_add_nc_u32_e32 v145, 0x1000, v114
	s_wait_alu 0xfffe
	s_lshl_b64 s[20:21], s[20:21], 2
	v_dual_add_f32 v4, 0x40051340, v2 :: v_dual_add_f32 v5, 0x40051340, v3
	s_delay_alu instid0(VALU_DEP_1) | instskip(SKIP_3) | instid1(VALU_DEP_1)
	v_max3_num_f32 v4, v137, v4, v5
	ds_bpermute_b32 v5, v6, v4
	s_wait_dscnt 0x0
	v_dual_max_num_f32 v6, v12, v12 :: v_dual_max_num_f32 v5, v5, v5
	v_max_num_f32_e32 v4, v4, v5
	ds_bpermute_b32 v5, v7, v4
	v_max_num_f32_e32 v7, v10, v10
	s_delay_alu instid0(VALU_DEP_1) | instskip(SKIP_1) | instid1(VALU_DEP_2)
	v_max_num_f32_e32 v99, v7, v6
	v_add_nc_u32_e32 v7, v111, v103
	v_sub_f32_e32 v0, v0, v99
	v_sub_f32_e32 v1, v1, v99
	s_delay_alu instid0(VALU_DEP_1) | instskip(SKIP_3) | instid1(VALU_DEP_1)
	v_mul_f32_e32 v6, 0x3fb8aa3b, v1
	v_cmp_ngt_f32_e32 vcc_lo, 0xc2ce8ed0, v1
	s_wait_dscnt 0x0
	v_max_num_f32_e32 v5, v5, v5
	v_max_num_f32_e32 v4, v4, v5
	ds_bpermute_b32 v5, v8, v4
	v_mul_f32_e32 v8, 0x3fb8aa3b, v0
	s_delay_alu instid0(VALU_DEP_1) | instskip(SKIP_2) | instid1(VALU_DEP_1)
	v_rndne_f32_e32 v10, v8
	s_wait_dscnt 0x0
	v_max_num_f32_e32 v5, v5, v5
	v_max_num_f32_e32 v4, v4, v5
	ds_bpermute_b32 v5, v9, v4
	v_fma_f32 v9, 0x3fb8aa3b, v0, -v8
	s_delay_alu instid0(VALU_DEP_1) | instskip(SKIP_2) | instid1(VALU_DEP_1)
	v_fmac_f32_e32 v9, 0x32a5705f, v0
	s_wait_dscnt 0x0
	v_max_num_f32_e32 v5, v5, v5
	v_max_num_f32_e32 v4, v4, v5
	ds_bpermute_b32 v5, v11, v4
	s_wait_dscnt 0x0
	v_max_num_f32_e32 v5, v5, v5
	s_delay_alu instid0(VALU_DEP_1) | instskip(SKIP_2) | instid1(VALU_DEP_3)
	v_max_num_f32_e32 v100, v4, v5
	v_fma_f32 v4, 0x3fb8aa3b, v1, -v6
	v_rndne_f32_e32 v5, v6
	v_sub_f32_e32 v2, v2, v100
	s_delay_alu instid0(VALU_DEP_3) | instskip(NEXT) | instid1(VALU_DEP_3)
	v_fmac_f32_e32 v4, 0x32a5705f, v1
	v_sub_f32_e32 v6, v6, v5
	v_cvt_i32_f32_e32 v5, v5
	s_delay_alu instid0(VALU_DEP_4) | instskip(SKIP_2) | instid1(VALU_DEP_3)
	v_mul_f32_e32 v11, 0x3fb8aa3b, v2
	v_dual_sub_f32 v3, v3, v100 :: v_dual_add_nc_u32 v144, 0x1800, v114
	v_sub_f32_e32 v137, v137, v100
	v_rndne_f32_e32 v13, v11
	s_delay_alu instid0(VALU_DEP_3) | instskip(SKIP_3) | instid1(VALU_DEP_4)
	v_mul_f32_e32 v12, 0x3fb8aa3b, v3
	v_sub_f32_e32 v8, v8, v10
	v_cvt_i32_f32_e32 v10, v10
	v_mul_f32_e32 v211, 0x3fb8aa3b, v137
	v_fma_f32 v14, 0x3fb8aa3b, v3, -v12
	v_rndne_f32_e32 v23, v12
	v_add_f32_e32 v4, v6, v4
	v_fma_f32 v6, 0x3fb8aa3b, v2, -v11
	v_rndne_f32_e32 v212, v211
	v_fmac_f32_e32 v14, 0x32a5705f, v3
	v_add_f32_e32 v8, v8, v9
	v_sub_f32_e32 v9, v11, v13
	v_sub_f32_e32 v11, v12, v23
	v_exp_f32_e32 v4, v4
	s_delay_alu instid0(TRANS32_DEP_1) | instskip(SKIP_1) | instid1(VALU_DEP_1)
	v_ldexp_f32 v4, v4, v5
	s_wait_alu 0xfffd
	v_cndmask_b32_e32 v4, 0, v4, vcc_lo
	v_cmp_ngt_f32_e32 vcc_lo, 0xc2ce8ed0, v0
	v_fmac_f32_e32 v6, 0x32a5705f, v2
	s_delay_alu instid0(VALU_DEP_1) | instskip(SKIP_2) | instid1(VALU_DEP_2)
	v_add_f32_e32 v6, v9, v6
	v_add_f32_e32 v9, v11, v14
	v_exp_f32_e32 v8, v8
	v_exp_f32_e32 v6, v6
	s_delay_alu instid0(VALU_DEP_1) | instskip(NEXT) | instid1(TRANS32_DEP_3)
	v_exp_f32_e32 v9, v9
	v_ldexp_f32 v5, v8, v10
	v_cvt_i32_f32_e32 v8, v13
	v_cvt_i32_f32_e32 v10, v23
	s_wait_alu 0xfffd
	s_delay_alu instid0(VALU_DEP_3) | instskip(SKIP_1) | instid1(TRANS32_DEP_2)
	v_cndmask_b32_e32 v5, 0, v5, vcc_lo
	v_cmp_nlt_f32_e32 vcc_lo, 0x42b17218, v1
	v_ldexp_f32 v6, v6, v8
	s_delay_alu instid0(TRANS32_DEP_1)
	v_ldexp_f32 v8, v9, v10
	s_wait_alu 0xfffd
	v_cndmask_b32_e32 v148, 0x7f800000, v4, vcc_lo
	v_cmp_ngt_f32_e32 vcc_lo, 0xc2ce8ed0, v2
	s_wait_alu 0xfffd
	v_cndmask_b32_e32 v1, 0, v6, vcc_lo
	v_cmp_ngt_f32_e32 vcc_lo, 0xc2ce8ed0, v3
	s_wait_alu 0xfffd
	v_cndmask_b32_e32 v4, 0, v8, vcc_lo
	v_cmp_nlt_f32_e32 vcc_lo, 0x42b17218, v0
	v_cvt_f16_f32_e64 v0, v148
	s_wait_alu 0xfffd
	v_cndmask_b32_e32 v149, 0x7f800000, v5, vcc_lo
	v_cmp_nlt_f32_e32 vcc_lo, 0x42b17218, v2
	s_wait_alu 0xfffd
	v_cndmask_b32_e32 v146, 0x7f800000, v1, vcc_lo
	v_cmp_nlt_f32_e32 vcc_lo, 0x42b17218, v3
	v_cvt_f16_f32_e64 v1, v149
	s_delay_alu instid0(VALU_DEP_3)
	v_cvt_f16_f32_e64 v2, v146
	s_wait_alu 0xfffd
	v_cndmask_b32_e32 v147, 0x7f800000, v4, vcc_lo
	s_wait_alu 0xfffe
	v_add_co_u32 v76, vcc_lo, v115, s20
	s_wait_alu 0xfffd
	v_add_co_ci_u32_e64 v77, null, s21, v116, vcc_lo
	v_cvt_f16_f32_e64 v3, v147
	v_pack_b32_f16 v0, v0, v2
	s_or_b32 s20, s4, 16
	s_wait_alu 0xfffe
	s_ashr_i32 s21, s20, 31
	v_pack_b32_f16 v1, v1, v3
	s_wait_alu 0xfffe
	s_mul_u64 s[20:21], s[20:21], s[10:11]
	ds_store_2addr_b32 v7, v0, v1 offset1:32
	s_wait_loadcnt 0x1
	ds_store_b128 v112, v[15:18]
	s_wait_loadcnt 0x0
	ds_store_b128 v113, v[19:22]
	s_wait_dscnt 0x0
	s_barrier_signal -1
	s_barrier_wait -1
	global_inv scope:SCOPE_SE
	ds_load_2addr_b64 v[60:63], v114 offset1:32
	ds_load_2addr_b64 v[56:59], v114 offset0:64 offset1:96
	ds_load_b128 v[68:71], v111
	ds_load_b128 v[64:67], v111 offset:16
	ds_load_2addr_b64 v[48:51], v114 offset0:128 offset1:160
	ds_load_2addr_b64 v[52:55], v114 offset0:192 offset1:224
	ds_load_2addr_b64 v[40:43], v143 offset1:32
	ds_load_2addr_b64 v[44:47], v143 offset0:64 offset1:96
	ds_load_2addr_b64 v[32:35], v143 offset0:128 offset1:160
	ds_load_2addr_b64 v[36:39], v143 offset0:192 offset1:224
	ds_load_2addr_b64 v[24:27], v145 offset1:32
	ds_load_2addr_b64 v[28:31], v145 offset0:64 offset1:96
	;; [unrolled: 4-line block ×3, first 2 shown]
	ds_load_2addr_b64 v[0:3], v144 offset0:128 offset1:160
	ds_load_2addr_b64 v[4:7], v144 offset0:192 offset1:224
	s_wait_loadcnt_dscnt 0x0
	s_barrier_signal -1
	s_barrier_wait -1
	global_inv scope:SCOPE_SE
	s_clause 0x1
	global_load_b128 v[72:75], v[76:77], off
	global_load_b128 v[76:79], v[76:77], off offset:512
	s_wait_alu 0xfffe
	s_lshl_b64 s[20:21], s[20:21], 2
	v_lshrrev_b32_e32 v214, 16, v65
	s_wait_alu 0xfffe
	v_add_co_u32 v101, vcc_lo, v115, s20
	s_wait_alu 0xfffd
	v_add_co_ci_u32_e64 v102, null, s21, v116, vcc_lo
	v_and_b32_e32 v65, 0xffff, v65
	v_lshrrev_b32_e32 v215, 16, v66
	v_and_b32_e32 v216, 0xffff, v66
	v_lshrrev_b32_e32 v217, 16, v67
	v_and_b32_e32 v218, 0xffff, v67
	v_mul_u32_u24_e32 v219, 0x10001, v65
	s_or_b32 s20, s4, 24
	v_lshrrev_b32_e32 v213, 16, v64
	v_and_b32_e32 v64, 0xffff, v64
	s_wait_alu 0xfffe
	s_ashr_i32 s21, s20, 31
	v_mul_u32_u24_e32 v214, 0x10001, v214
	s_wait_alu 0xfffe
	s_mul_u64 s[20:21], s[20:21], s[10:11]
	v_mul_u32_u24_e32 v216, 0x10001, v216
	v_mul_u32_u24_e32 v64, 0x10001, v64
	s_wait_alu 0xfffe
	s_lshl_b64 s[20:21], s[20:21], 2
	v_mul_u32_u24_e32 v215, 0x10001, v215
	v_mul_u32_u24_e32 v218, 0x10001, v218
	;; [unrolled: 1-line block ×3, first 2 shown]
	s_wait_loadcnt 0x1
	ds_store_b128 v112, v[72:75]
	s_wait_loadcnt 0x0
	ds_store_b128 v113, v[76:79]
	s_wait_dscnt 0x0
	s_barrier_signal -1
	s_barrier_wait -1
	global_inv scope:SCOPE_SE
	ds_load_2addr_b64 v[150:153], v114 offset1:32
	ds_load_2addr_b64 v[154:157], v114 offset0:64 offset1:96
	ds_load_b128 v[158:161], v111 offset:32
	ds_load_b128 v[162:165], v111 offset:48
	ds_load_2addr_b64 v[166:169], v114 offset0:128 offset1:160
	ds_load_2addr_b64 v[170:173], v114 offset0:192 offset1:224
	ds_load_2addr_b64 v[174:177], v143 offset1:32
	ds_load_2addr_b64 v[178:181], v143 offset0:64 offset1:96
	ds_load_2addr_b64 v[182:185], v143 offset0:128 offset1:160
	ds_load_2addr_b64 v[186:189], v143 offset0:192 offset1:224
	ds_load_2addr_b64 v[190:193], v145 offset1:32
	ds_load_2addr_b64 v[194:197], v145 offset0:64 offset1:96
	;; [unrolled: 4-line block ×3, first 2 shown]
	ds_load_2addr_b64 v[76:79], v144 offset0:128 offset1:160
	ds_load_2addr_b64 v[72:75], v144 offset0:192 offset1:224
	s_wait_loadcnt_dscnt 0x0
	s_barrier_signal -1
	s_barrier_wait -1
	global_inv scope:SCOPE_SE
	s_clause 0x1
	global_load_b128 v[202:205], v[101:102], off
	global_load_b128 v[206:209], v[101:102], off offset:512
	v_sub_f32_e32 v101, v136, v99
	s_wait_loadcnt 0x1
	ds_store_b128 v112, v[202:205]
	s_wait_loadcnt 0x0
	ds_store_b128 v113, v[206:209]
	v_mul_f32_e32 v102, 0x3fb8aa3b, v101
	v_cmp_ngt_f32_e32 vcc_lo, 0xc2ce8ed0, v101
	s_wait_dscnt 0x0
	s_barrier_signal -1
	s_barrier_wait -1
	v_fma_f32 v136, 0x3fb8aa3b, v101, -v102
	v_rndne_f32_e32 v210, v102
	global_inv scope:SCOPE_SE
	v_fmac_f32_e32 v136, 0x32a5705f, v101
	v_sub_f32_e32 v102, v102, v210
	v_cvt_i32_f32_e32 v210, v210
	s_delay_alu instid0(VALU_DEP_2) | instskip(SKIP_2) | instid1(VALU_DEP_3)
	v_add_f32_e32 v102, v102, v136
	v_fma_f32 v136, 0x3fb8aa3b, v137, -v211
	v_sub_f32_e32 v211, v211, v212
	v_exp_f32_e32 v102, v102
	s_delay_alu instid0(VALU_DEP_2) | instskip(NEXT) | instid1(TRANS32_DEP_1)
	v_fmac_f32_e32 v136, 0x32a5705f, v137
	v_ldexp_f32 v102, v102, v210
	v_cvt_i32_f32_e32 v210, v212
	v_lshrrev_b32_e32 v212, 16, v71
	s_wait_alu 0xfffd
	s_delay_alu instid0(VALU_DEP_3) | instskip(SKIP_2) | instid1(VALU_DEP_3)
	v_dual_cndmask_b32 v102, 0, v102 :: v_dual_and_b32 v71, 0xffff, v71
	v_cmp_nlt_f32_e32 vcc_lo, 0x42b17218, v101
	v_add_f32_e32 v136, v211, v136
	v_mul_u32_u24_e32 v71, 0x10001, v71
	s_wait_alu 0xfffd
	v_cndmask_b32_e32 v211, 0x7f800000, v102, vcc_lo
	s_delay_alu instid0(VALU_DEP_3) | instskip(SKIP_1) | instid1(VALU_DEP_2)
	v_exp_f32_e32 v136, v136
	v_cmp_ngt_f32_e32 vcc_lo, 0xc2ce8ed0, v137
	v_cvt_f16_f32_e64 v102, v211
	s_delay_alu instid0(TRANS32_DEP_1) | instskip(NEXT) | instid1(VALU_DEP_2)
	v_ldexp_f32 v101, v136, v210
	v_and_b32_e32 v136, 0xffff, v102
	v_lshrrev_b32_e32 v210, 16, v69
	s_wait_alu 0xfffd
	s_delay_alu instid0(VALU_DEP_3) | instskip(SKIP_2) | instid1(VALU_DEP_2)
	v_cndmask_b32_e32 v101, 0, v101, vcc_lo
	v_cmp_nlt_f32_e32 vcc_lo, 0x42b17218, v137
	s_wait_alu 0xfffd
	v_cndmask_b32_e32 v102, 0x7f800000, v101, vcc_lo
	v_add_f32_e32 v101, v148, v149
	v_mul_u32_u24_e32 v148, 0x10001, v136
	v_and_b32_e32 v69, 0xffff, v69
	s_wait_alu 0xfffe
	v_add_co_u32 v136, vcc_lo, v115, s20
	v_cvt_f16_f32_e64 v149, v102
	v_fmac_f32_e32 v101, v135, v211
	v_pk_mul_f16 v134, v134, v148
	v_pk_mul_f16 v132, v132, v148
	;; [unrolled: 1-line block ×3, first 2 shown]
	v_and_b32_e32 v149, 0xffff, v149
	v_pk_mul_f16 v130, v130, v148
	v_pk_mul_f16 v131, v131, v148
	;; [unrolled: 1-line block ×4, first 2 shown]
	v_mul_u32_u24_e32 v135, 0x10001, v149
	v_lshrrev_b32_e32 v149, 16, v68
	v_and_b32_e32 v68, 0xffff, v68
	v_lshrrev_b32_e32 v211, 16, v70
	v_and_b32_e32 v70, 0xffff, v70
	v_pk_mul_f16 v126, v126, v135
	v_pk_mul_f16 v124, v124, v135
	;; [unrolled: 1-line block ×7, first 2 shown]
	v_mul_u32_u24_e32 v66, 0x10001, v68
	v_mul_u32_u24_e32 v67, 0x10001, v149
	;; [unrolled: 1-line block ×5, first 2 shown]
	v_pk_mul_f16 v65, v60, v66
	v_pk_mul_f16 v60, v60, v67
	v_pk_fma_f16 v134, v61, v66, v134
	v_pk_fma_f16 v61, v61, v67, v126
	v_pk_fma_f16 v126, v62, v66, v132
	v_pk_fma_f16 v62, v62, v67, v124
	v_pk_fma_f16 v124, v63, v66, v133
	v_pk_fma_f16 v63, v63, v67, v125
	v_pk_fma_f16 v125, v56, v66, v130
	v_pk_fma_f16 v56, v56, v67, v121
	v_pk_fma_f16 v121, v57, v66, v131
	v_pk_fma_f16 v57, v57, v67, v123
	v_pk_fma_f16 v123, v58, v66, v127
	v_pk_fma_f16 v58, v58, v67, v120
	v_pk_fma_f16 v66, v59, v66, v128
	v_pk_fma_f16 v59, v59, v67, v119
	v_mul_u32_u24_e32 v149, 0x10001, v211
	v_pk_fma_f16 v67, v52, v68, v125
	v_pk_fma_f16 v52, v52, v69, v56
	v_pk_fma_f16 v56, v53, v68, v121
	v_pk_fma_f16 v53, v53, v69, v57
	v_pk_fma_f16 v57, v54, v68, v123
	v_pk_fma_f16 v54, v54, v69, v58
	v_pk_fma_f16 v58, v55, v68, v66
	v_pk_fma_f16 v55, v55, v69, v59
	v_pk_fma_f16 v59, v129, v148, v65
	v_pk_fma_f16 v60, v122, v135, v60
	v_pk_fma_f16 v65, v49, v68, v134
	v_pk_fma_f16 v49, v49, v69, v61
	v_pk_fma_f16 v61, v50, v68, v126
	v_pk_fma_f16 v50, v50, v69, v62
	v_pk_fma_f16 v62, v51, v68, v124
	v_pk_fma_f16 v51, v51, v69, v63
	v_mul_u32_u24_e32 v210, 0x10001, v212
	v_pk_fma_f16 v59, v48, v68, v59
	v_pk_fma_f16 v48, v48, v69, v60
	;; [unrolled: 17-line block ×3, first 2 shown]
	v_pk_fma_f16 v48, v33, v71, v60
	v_pk_fma_f16 v33, v33, v210, v41
	;; [unrolled: 1-line block ×14, first 2 shown]
	s_wait_alu 0xfffd
	v_add_co_ci_u32_e64 v137, null, s21, v116, vcc_lo
	v_pk_fma_f16 v47, v32, v71, v55
	v_pk_fma_f16 v32, v32, v210, v40
	;; [unrolled: 1-line block ×26, first 2 shown]
	ds_load_2addr_b64 v[44:47], v114 offset1:32
	ds_load_2addr_b64 v[48:51], v114 offset0:64 offset1:96
	ds_load_b128 v[52:55], v111 offset:64
	ds_load_b128 v[56:59], v111 offset:80
	ds_load_2addr_b64 v[60:63], v114 offset0:128 offset1:160
	ds_load_2addr_b64 v[64:67], v114 offset0:192 offset1:224
	ds_load_2addr_b64 v[68:71], v143 offset1:32
	ds_load_2addr_b64 v[119:122], v143 offset0:64 offset1:96
	ds_load_2addr_b64 v[123:126], v143 offset0:128 offset1:160
	ds_load_2addr_b64 v[127:130], v143 offset0:192 offset1:224
	ds_load_2addr_b64 v[131:134], v145 offset1:32
	ds_load_2addr_b64 v[202:205], v145 offset0:64 offset1:96
	;; [unrolled: 4-line block ×3, first 2 shown]
	ds_load_2addr_b64 v[24:27], v144 offset0:128 offset1:160
	ds_load_2addr_b64 v[20:23], v144 offset0:192 offset1:224
	s_wait_loadcnt_dscnt 0x0
	s_barrier_signal -1
	s_barrier_wait -1
	global_inv scope:SCOPE_SE
	s_clause 0x1
	global_load_b128 v[36:39], v[136:137], off
	global_load_b128 v[210:213], v[136:137], off offset:512
	v_pk_fma_f16 v137, v17, v219, v135
	v_pk_fma_f16 v149, v18, v219, v149
	;; [unrolled: 1-line block ×40, first 2 shown]
	v_and_b32_e32 v8, 0xffff, v158
	v_lshrrev_b32_e32 v17, 16, v158
	v_lshrrev_b32_e32 v18, 16, v159
	v_and_b32_e32 v19, 0xffff, v159
	v_lshrrev_b32_e32 v137, 16, v160
	v_mul_u32_u24_e32 v8, 0x10001, v8
	v_mul_u32_u24_e32 v17, 0x10001, v17
	v_and_b32_e32 v148, 0xffff, v160
	v_mul_u32_u24_e32 v19, 0x10001, v19
	v_mul_u32_u24_e32 v18, 0x10001, v18
	v_pk_fma_f16 v15, v150, v8, v15
	v_pk_fma_f16 v0, v150, v17, v0
	v_pk_fma_f16 v16, v151, v8, v16
	v_pk_fma_f16 v1, v151, v17, v1
	v_pk_fma_f16 v9, v152, v8, v9
	v_pk_fma_f16 v2, v152, v17, v2
	v_pk_fma_f16 v10, v153, v8, v10
	v_pk_fma_f16 v3, v153, v17, v3
	v_lshrrev_b32_e32 v149, 16, v161
	v_and_b32_e32 v158, 0xffff, v161
	v_mul_u32_u24_e32 v148, 0x10001, v148
	v_mul_u32_u24_e32 v137, 0x10001, v137
	v_pk_fma_f16 v11, v154, v8, v11
	v_pk_fma_f16 v12, v155, v8, v12
	;; [unrolled: 1-line block ×16, first 2 shown]
	s_or_b32 s20, s4, 32
	v_lshrrev_b32_e32 v159, 16, v162
	v_and_b32_e32 v160, 0xffff, v162
	v_mul_u32_u24_e32 v158, 0x10001, v158
	v_mul_u32_u24_e32 v149, 0x10001, v149
	v_pk_fma_f16 v11, v170, v19, v11
	v_pk_fma_f16 v4, v170, v18, v4
	;; [unrolled: 1-line block ×16, first 2 shown]
	s_wait_alu 0xfffe
	s_ashr_i32 s21, s20, 31
	v_lshrrev_b32_e32 v161, 16, v163
	s_wait_alu 0xfffe
	s_mul_u64 s[20:21], s[20:21], s[10:11]
	v_and_b32_e32 v162, 0xffff, v163
	v_mul_u32_u24_e32 v160, 0x10001, v160
	v_mul_u32_u24_e32 v159, 0x10001, v159
	v_pk_fma_f16 v11, v178, v148, v11
	v_pk_fma_f16 v4, v178, v137, v4
	;; [unrolled: 1-line block ×16, first 2 shown]
	s_wait_alu 0xfffe
	s_lshl_b64 s[20:21], s[20:21], 2
	v_mul_u32_u24_e32 v218, 0x10001, v162
	s_wait_alu 0xfffe
	v_add_co_u32 v135, vcc_lo, v115, s20
	s_wait_alu 0xfffd
	v_add_co_ci_u32_e64 v136, null, s21, v116, vcc_lo
	v_mul_u32_u24_e32 v219, 0x10001, v161
	v_pk_fma_f16 v11, v186, v158, v11
	v_pk_fma_f16 v4, v186, v149, v4
	;; [unrolled: 1-line block ×16, first 2 shown]
	v_lshrrev_b32_e32 v214, 16, v164
	v_and_b32_e32 v215, 0xffff, v164
	v_lshrrev_b32_e32 v216, 16, v165
	v_and_b32_e32 v217, 0xffff, v165
	v_pk_fma_f16 v137, v194, v160, v11
	v_pk_fma_f16 v220, v194, v159, v4
	;; [unrolled: 1-line block ×16, first 2 shown]
	s_wait_loadcnt 0x1
	ds_store_b128 v112, v[36:39]
	s_wait_loadcnt 0x0
	ds_store_b128 v113, v[210:213]
	s_wait_dscnt 0x0
	s_barrier_signal -1
	s_barrier_wait -1
	global_inv scope:SCOPE_SE
	ds_load_2addr_b64 v[148:151], v114 offset1:32
	ds_load_2addr_b64 v[152:155], v114 offset0:64 offset1:96
	ds_load_b128 v[156:159], v111 offset:96
	ds_load_b128 v[160:163], v111 offset:112
	ds_load_2addr_b64 v[164:167], v114 offset0:128 offset1:160
	ds_load_2addr_b64 v[168:171], v114 offset0:192 offset1:224
	ds_load_2addr_b64 v[172:175], v143 offset1:32
	ds_load_2addr_b64 v[176:179], v143 offset0:64 offset1:96
	ds_load_2addr_b64 v[180:183], v143 offset0:128 offset1:160
	ds_load_2addr_b64 v[184:187], v143 offset0:192 offset1:224
	ds_load_2addr_b64 v[188:191], v145 offset1:32
	ds_load_2addr_b64 v[192:195], v145 offset0:64 offset1:96
	;; [unrolled: 4-line block ×3, first 2 shown]
	ds_load_2addr_b64 v[4:7], v144 offset0:128 offset1:160
	ds_load_2addr_b64 v[0:3], v144 offset0:192 offset1:224
	s_wait_loadcnt_dscnt 0x0
	s_barrier_signal -1
	s_barrier_wait -1
	global_inv scope:SCOPE_SE
	s_clause 0x1
	global_load_b128 v[12:15], v[135:136], off
	global_load_b128 v[210:213], v[135:136], off offset:512
	v_pk_fma_f16 v137, v88, v218, v137
	v_pk_fma_f16 v221, v89, v218, v221
	v_pk_fma_f16 v223, v90, v218, v223
	v_pk_fma_f16 v218, v91, v218, v225
	v_mul_u32_u24_e32 v215, 0x10001, v215
	v_mul_u32_u24_e32 v214, 0x10001, v214
	v_pk_fma_f16 v88, v88, v219, v220
	v_pk_fma_f16 v89, v89, v219, v222
	;; [unrolled: 1-line block ×4, first 2 shown]
	v_mul_u32_u24_e32 v217, 0x10001, v217
	v_mul_u32_u24_e32 v216, 0x10001, v216
	v_pk_fma_f16 v219, v84, v215, v227
	v_pk_fma_f16 v84, v84, v214, v228
	;; [unrolled: 1-line block ×32, first 2 shown]
	v_and_b32_e32 v83, 0xffff, v52
	v_lshrrev_b32_e32 v52, 16, v52
	v_lshrrev_b32_e32 v88, 16, v53
	v_and_b32_e32 v53, 0xffff, v53
	v_lshrrev_b32_e32 v89, 16, v54
	v_lshrrev_b32_e32 v137, 16, v56
	;; [unrolled: 1-line block ×3, first 2 shown]
	v_and_b32_e32 v57, 0xffff, v57
	v_lshrrev_b32_e32 v214, 16, v58
	v_and_b32_e32 v215, 0xffff, v58
	v_mul_u32_u24_e32 v58, 0x10001, v83
	v_mul_u32_u24_e32 v52, 0x10001, v52
	v_and_b32_e32 v54, 0xffff, v54
	v_lshrrev_b32_e32 v216, 16, v59
	v_and_b32_e32 v217, 0xffff, v59
	v_mul_u32_u24_e32 v53, 0x10001, v53
	v_mul_u32_u24_e32 v59, 0x10001, v88
	;; [unrolled: 1-line block ×5, first 2 shown]
	v_pk_fma_f16 v57, v44, v58, v91
	v_pk_fma_f16 v44, v44, v52, v76
	;; [unrolled: 1-line block ×8, first 2 shown]
	v_lshrrev_b32_e32 v90, 16, v55
	v_and_b32_e32 v55, 0xffff, v55
	v_mul_u32_u24_e32 v54, 0x10001, v54
	v_pk_fma_f16 v79, v48, v58, v87
	v_pk_fma_f16 v80, v49, v58, v80
	;; [unrolled: 1-line block ×16, first 2 shown]
	s_or_b32 s20, s4, 40
	v_and_b32_e32 v56, 0xffff, v56
	v_mul_u32_u24_e32 v55, 0x10001, v55
	v_mul_u32_u24_e32 v88, 0x10001, v90
	v_pk_fma_f16 v62, v64, v53, v79
	v_pk_fma_f16 v48, v64, v59, v48
	;; [unrolled: 1-line block ×16, first 2 shown]
	s_wait_alu 0xfffe
	s_ashr_i32 s21, s20, 31
	v_mul_u32_u24_e32 v56, 0x10001, v56
	s_wait_alu 0xfffe
	s_mul_u64 s[20:21], s[20:21], s[10:11]
	v_pk_fma_f16 v60, v119, v54, v62
	v_pk_fma_f16 v48, v119, v83, v48
	;; [unrolled: 1-line block ×16, first 2 shown]
	s_wait_alu 0xfffe
	s_lshl_b64 s[20:21], s[20:21], 2
	v_mul_u32_u24_e32 v218, 0x10001, v200
	s_wait_alu 0xfffe
	v_add_co_u32 v135, vcc_lo, v115, s20
	s_wait_alu 0xfffd
	v_add_co_ci_u32_e64 v136, null, s21, v116, vcc_lo
	v_pk_fma_f16 v59, v127, v55, v60
	v_pk_fma_f16 v48, v127, v88, v48
	;; [unrolled: 1-line block ×32, first 2 shown]
	s_wait_loadcnt 0x1
	ds_store_b128 v112, v[12:15]
	s_wait_loadcnt 0x0
	ds_store_b128 v113, v[210:213]
	s_wait_dscnt 0x0
	s_barrier_signal -1
	s_barrier_wait -1
	global_inv scope:SCOPE_SE
	ds_load_2addr_b64 v[44:47], v114 offset1:32
	ds_load_2addr_b64 v[48:51], v114 offset0:64 offset1:96
	ds_load_b128 v[52:55], v111 offset:128
	ds_load_b128 v[56:59], v111 offset:144
	ds_load_2addr_b64 v[60:63], v114 offset0:128 offset1:160
	ds_load_2addr_b64 v[64:67], v114 offset0:192 offset1:224
	ds_load_2addr_b64 v[68:71], v143 offset1:32
	ds_load_2addr_b64 v[72:75], v143 offset0:64 offset1:96
	ds_load_2addr_b64 v[76:79], v143 offset0:128 offset1:160
	ds_load_2addr_b64 v[80:83], v143 offset0:192 offset1:224
	ds_load_2addr_b64 v[84:87], v145 offset1:32
	ds_load_2addr_b64 v[88:91], v145 offset0:64 offset1:96
	;; [unrolled: 4-line block ×3, first 2 shown]
	ds_load_2addr_b64 v[200:203], v144 offset0:128 offset1:160
	ds_load_2addr_b64 v[12:15], v144 offset0:192 offset1:224
	s_wait_loadcnt_dscnt 0x0
	s_barrier_signal -1
	s_barrier_wait -1
	global_inv scope:SCOPE_SE
	s_clause 0x1
	global_load_b128 v[204:207], v[135:136], off
	global_load_b128 v[208:211], v[135:136], off offset:512
	v_pk_fma_f16 v212, v40, v137, v219
	v_pk_fma_f16 v213, v41, v137, v221
	;; [unrolled: 1-line block ×4, first 2 shown]
	v_mul_u32_u24_e32 v215, 0x10001, v215
	v_mul_u32_u24_e32 v214, 0x10001, v214
	v_pk_fma_f16 v40, v40, v218, v220
	v_pk_fma_f16 v41, v41, v218, v222
	;; [unrolled: 1-line block ×4, first 2 shown]
	v_mul_u32_u24_e32 v217, 0x10001, v217
	v_mul_u32_u24_e32 v216, 0x10001, v216
	v_pk_fma_f16 v218, v32, v215, v227
	v_pk_fma_f16 v32, v32, v214, v228
	;; [unrolled: 1-line block ×32, first 2 shown]
	v_and_b32_e32 v31, 0xffff, v156
	v_lshrrev_b32_e32 v40, 16, v156
	v_lshrrev_b32_e32 v41, 16, v157
	v_and_b32_e32 v42, 0xffff, v157
	v_lshrrev_b32_e32 v137, 16, v158
	v_mul_u32_u24_e32 v31, 0x10001, v31
	v_mul_u32_u24_e32 v40, 0x10001, v40
	v_and_b32_e32 v156, 0xffff, v158
	v_mul_u32_u24_e32 v42, 0x10001, v42
	v_mul_u32_u24_e32 v41, 0x10001, v41
	v_pk_fma_f16 v43, v148, v31, v43
	v_pk_fma_f16 v24, v148, v40, v24
	;; [unrolled: 1-line block ×8, first 2 shown]
	v_lshrrev_b32_e32 v157, 16, v159
	v_and_b32_e32 v158, 0xffff, v159
	v_mul_u32_u24_e32 v156, 0x10001, v156
	v_mul_u32_u24_e32 v137, 0x10001, v137
	v_pk_fma_f16 v35, v152, v31, v35
	v_pk_fma_f16 v28, v153, v31, v28
	;; [unrolled: 1-line block ×16, first 2 shown]
	s_or_b32 s20, s4, 48
	v_lshrrev_b32_e32 v159, 16, v160
	v_and_b32_e32 v160, 0xffff, v160
	v_mul_u32_u24_e32 v158, 0x10001, v158
	v_mul_u32_u24_e32 v157, 0x10001, v157
	v_pk_fma_f16 v35, v168, v42, v35
	v_pk_fma_f16 v20, v168, v41, v20
	;; [unrolled: 1-line block ×16, first 2 shown]
	s_wait_alu 0xfffe
	s_ashr_i32 s21, s20, 31
	v_lshrrev_b32_e32 v212, 16, v161
	s_wait_alu 0xfffe
	s_mul_u64 s[20:21], s[20:21], s[10:11]
	v_and_b32_e32 v161, 0xffff, v161
	v_mul_u32_u24_e32 v160, 0x10001, v160
	v_mul_u32_u24_e32 v159, 0x10001, v159
	v_pk_fma_f16 v35, v176, v156, v35
	v_pk_fma_f16 v20, v176, v137, v20
	;; [unrolled: 1-line block ×16, first 2 shown]
	s_wait_alu 0xfffe
	s_lshl_b64 s[20:21], s[20:21], 2
	v_mul_u32_u24_e32 v220, 0x10001, v161
	s_wait_alu 0xfffe
	v_add_co_u32 v135, vcc_lo, v115, s20
	s_wait_alu 0xfffd
	v_add_co_ci_u32_e64 v136, null, s21, v116, vcc_lo
	v_mul_u32_u24_e32 v221, 0x10001, v212
	v_pk_fma_f16 v35, v184, v158, v35
	v_pk_fma_f16 v20, v184, v157, v20
	;; [unrolled: 1-line block ×16, first 2 shown]
	v_lshrrev_b32_e32 v216, 16, v162
	v_and_b32_e32 v217, 0xffff, v162
	v_lshrrev_b32_e32 v218, 16, v163
	v_and_b32_e32 v219, 0xffff, v163
	v_pk_fma_f16 v35, v192, v160, v35
	v_pk_fma_f16 v137, v192, v159, v20
	;; [unrolled: 1-line block ×16, first 2 shown]
	s_wait_loadcnt 0x1
	ds_store_b128 v112, v[204:207]
	s_wait_loadcnt 0x0
	ds_store_b128 v113, v[208:211]
	s_wait_dscnt 0x0
	s_barrier_signal -1
	s_barrier_wait -1
	global_inv scope:SCOPE_SE
	ds_load_2addr_b64 v[21:24], v114 offset1:32
	ds_load_2addr_b64 v[25:28], v114 offset0:64 offset1:96
	ds_load_b128 v[29:32], v111 offset:160
	ds_load_b128 v[40:43], v111 offset:176
	ds_load_2addr_b64 v[148:151], v114 offset0:128 offset1:160
	ds_load_2addr_b64 v[152:155], v114 offset0:192 offset1:224
	ds_load_2addr_b64 v[156:159], v143 offset1:32
	ds_load_2addr_b64 v[160:163], v143 offset0:64 offset1:96
	ds_load_2addr_b64 v[164:167], v143 offset0:128 offset1:160
	ds_load_2addr_b64 v[168:171], v143 offset0:192 offset1:224
	ds_load_2addr_b64 v[172:175], v145 offset1:32
	ds_load_2addr_b64 v[176:179], v145 offset0:64 offset1:96
	ds_load_2addr_b64 v[180:183], v145 offset0:128 offset1:160
	ds_load_2addr_b64 v[184:187], v145 offset0:192 offset1:224
	ds_load_2addr_b64 v[188:191], v144 offset1:32
	ds_load_2addr_b64 v[192:195], v144 offset0:64 offset1:96
	ds_load_2addr_b64 v[196:199], v144 offset0:128 offset1:160
	ds_load_2addr_b64 v[204:207], v144 offset0:192 offset1:224
	s_wait_loadcnt_dscnt 0x0
	s_barrier_signal -1
	s_barrier_wait -1
	global_inv scope:SCOPE_SE
	s_clause 0x1
	global_load_b128 v[208:211], v[135:136], off
	global_load_b128 v[212:215], v[135:136], off offset:512
	v_add_f32_e32 v20, v146, v147
	v_pk_fma_f16 v35, v36, v220, v35
	v_pk_fma_f16 v36, v36, v221, v137
	;; [unrolled: 1-line block ×4, first 2 shown]
	v_fmac_f32_e32 v20, v118, v102
	v_mul_u32_u24_e32 v102, 0x10001, v217
	v_mul_u32_u24_e32 v118, 0x10001, v216
	v_pk_fma_f16 v216, v38, v220, v224
	v_pk_fma_f16 v38, v38, v221, v225
	;; [unrolled: 1-line block ×4, first 2 shown]
	v_mul_u32_u24_e32 v146, 0x10001, v219
	v_mul_u32_u24_e32 v147, 0x10001, v218
	v_pk_fma_f16 v218, v16, v102, v228
	v_pk_fma_f16 v16, v16, v118, v229
	;; [unrolled: 1-line block ×32, first 2 shown]
	v_and_b32_e32 v11, 0xffff, v52
	v_lshrrev_b32_e32 v33, 16, v52
	v_lshrrev_b32_e32 v34, 16, v53
	v_and_b32_e32 v35, 0xffff, v53
	v_lshrrev_b32_e32 v36, 16, v54
	v_mul_u32_u24_e32 v11, 0x10001, v11
	v_mul_u32_u24_e32 v33, 0x10001, v33
	v_and_b32_e32 v37, 0xffff, v54
	v_mul_u32_u24_e32 v35, 0x10001, v35
	v_mul_u32_u24_e32 v34, 0x10001, v34
	v_pk_fma_f16 v39, v44, v11, v39
	v_pk_fma_f16 v4, v44, v33, v4
	v_pk_fma_f16 v16, v45, v11, v16
	v_pk_fma_f16 v5, v45, v33, v5
	v_pk_fma_f16 v17, v46, v11, v17
	v_pk_fma_f16 v6, v46, v33, v6
	v_pk_fma_f16 v18, v47, v11, v18
	v_pk_fma_f16 v7, v47, v33, v7
	v_pk_fma_f16 v19, v48, v11, v19
	v_pk_fma_f16 v8, v49, v11, v8
	v_pk_fma_f16 v9, v50, v11, v9
	v_pk_fma_f16 v10, v51, v11, v10
	v_pk_fma_f16 v0, v48, v33, v0
	v_pk_fma_f16 v1, v49, v33, v1
	v_pk_fma_f16 v2, v50, v33, v2
	v_lshrrev_b32_e32 v38, 16, v55
	v_and_b32_e32 v52, 0xffff, v55
	v_mul_u32_u24_e32 v37, 0x10001, v37
	v_mul_u32_u24_e32 v36, 0x10001, v36
	v_pk_fma_f16 v3, v51, v33, v3
	v_pk_fma_f16 v11, v60, v35, v39
	v_pk_fma_f16 v4, v60, v34, v4
	v_pk_fma_f16 v16, v61, v35, v16
	v_pk_fma_f16 v5, v61, v34, v5
	v_pk_fma_f16 v17, v62, v35, v17
	v_pk_fma_f16 v6, v62, v34, v6
	v_pk_fma_f16 v18, v63, v35, v18
	v_pk_fma_f16 v7, v63, v34, v7
	v_pk_fma_f16 v19, v64, v35, v19
	v_pk_fma_f16 v0, v64, v34, v0
	v_pk_fma_f16 v8, v65, v35, v8
	v_pk_fma_f16 v1, v65, v34, v1
	v_pk_fma_f16 v9, v66, v35, v9
	v_pk_fma_f16 v2, v66, v34, v2
	v_pk_fma_f16 v10, v67, v35, v10
	v_lshrrev_b32_e32 v53, 16, v56
	v_and_b32_e32 v54, 0xffff, v56
	v_mul_u32_u24_e32 v52, 0x10001, v52
	v_mul_u32_u24_e32 v38, 0x10001, v38
	v_pk_fma_f16 v3, v67, v34, v3
	v_pk_fma_f16 v11, v68, v37, v11
	v_pk_fma_f16 v4, v68, v36, v4
	v_pk_fma_f16 v16, v69, v37, v16
	v_pk_fma_f16 v5, v69, v36, v5
	v_pk_fma_f16 v17, v70, v37, v17
	v_pk_fma_f16 v6, v70, v36, v6
	v_pk_fma_f16 v18, v71, v37, v18
	v_pk_fma_f16 v7, v71, v36, v7
	v_pk_fma_f16 v19, v72, v37, v19
	v_pk_fma_f16 v0, v72, v36, v0
	v_pk_fma_f16 v8, v73, v37, v8
	v_pk_fma_f16 v1, v73, v36, v1
	v_pk_fma_f16 v9, v74, v37, v9
	v_pk_fma_f16 v2, v74, v36, v2
	v_pk_fma_f16 v10, v75, v37, v10
	v_lshrrev_b32_e32 v55, 16, v57
	v_and_b32_e32 v56, 0xffff, v57
	v_mul_u32_u24_e32 v54, 0x10001, v54
	v_mul_u32_u24_e32 v53, 0x10001, v53
	v_pk_fma_f16 v3, v75, v36, v3
	v_pk_fma_f16 v11, v76, v52, v11
	v_pk_fma_f16 v4, v76, v38, v4
	;; [unrolled: 1-line block ×15, first 2 shown]
	s_or_b32 s20, s4, 56
	v_lshrrev_b32_e32 v57, 16, v58
	v_and_b32_e32 v58, 0xffff, v58
	v_mul_u32_u24_e32 v56, 0x10001, v56
	v_mul_u32_u24_e32 v55, 0x10001, v55
	v_pk_fma_f16 v3, v83, v38, v3
	v_pk_fma_f16 v11, v84, v54, v11
	v_pk_fma_f16 v4, v84, v53, v4
	v_pk_fma_f16 v16, v85, v54, v16
	v_pk_fma_f16 v5, v85, v53, v5
	v_pk_fma_f16 v17, v86, v54, v17
	v_pk_fma_f16 v6, v86, v53, v6
	v_pk_fma_f16 v18, v87, v54, v18
	v_pk_fma_f16 v7, v87, v53, v7
	v_pk_fma_f16 v19, v88, v54, v19
	v_pk_fma_f16 v0, v88, v53, v0
	v_pk_fma_f16 v8, v89, v54, v8
	v_pk_fma_f16 v1, v89, v53, v1
	v_pk_fma_f16 v9, v90, v54, v9
	v_pk_fma_f16 v2, v90, v53, v2
	v_pk_fma_f16 v10, v91, v54, v10
	s_wait_alu 0xfffe
	s_ashr_i32 s21, s20, 31
	v_lshrrev_b32_e32 v102, 16, v59
	s_wait_alu 0xfffe
	s_mul_u64 s[20:21], s[20:21], s[10:11]
	v_and_b32_e32 v59, 0xffff, v59
	v_mul_u32_u24_e32 v58, 0x10001, v58
	v_mul_u32_u24_e32 v57, 0x10001, v57
	v_pk_fma_f16 v3, v91, v53, v3
	v_pk_fma_f16 v11, v119, v56, v11
	;; [unrolled: 1-line block ×16, first 2 shown]
	s_wait_alu 0xfffe
	s_lshl_b64 s[20:21], s[20:21], 2
	v_mul_u32_u24_e32 v59, 0x10001, v59
	s_wait_alu 0xfffe
	v_add_co_u32 v135, vcc_lo, v115, s20
	s_wait_alu 0xfffd
	v_add_co_ci_u32_e64 v136, null, s21, v116, vcc_lo
	v_mul_u32_u24_e32 v102, 0x10001, v102
	v_pk_fma_f16 v3, v126, v55, v3
	v_pk_fma_f16 v11, v127, v58, v11
	;; [unrolled: 1-line block ×32, first 2 shown]
	s_wait_loadcnt 0x1
	ds_store_b128 v112, v[208:211]
	s_wait_loadcnt 0x0
	ds_store_b128 v113, v[212:215]
	s_wait_dscnt 0x0
	s_barrier_signal -1
	s_barrier_wait -1
	global_inv scope:SCOPE_SE
	ds_load_2addr_b64 v[4:7], v114 offset1:32
	ds_load_2addr_b64 v[8:11], v114 offset0:64 offset1:96
	ds_load_b128 v[16:19], v111 offset:192
	ds_load_b128 v[33:36], v111 offset:208
	ds_load_2addr_b64 v[44:47], v114 offset0:128 offset1:160
	ds_load_2addr_b64 v[48:51], v114 offset0:192 offset1:224
	ds_load_2addr_b64 v[52:55], v143 offset1:32
	ds_load_2addr_b64 v[56:59], v143 offset0:64 offset1:96
	ds_load_2addr_b64 v[60:63], v143 offset0:128 offset1:160
	ds_load_2addr_b64 v[64:67], v143 offset0:192 offset1:224
	ds_load_2addr_b64 v[68:71], v145 offset1:32
	ds_load_2addr_b64 v[72:75], v145 offset0:64 offset1:96
	;; [unrolled: 4-line block ×3, first 2 shown]
	ds_load_2addr_b64 v[118:121], v144 offset0:128 offset1:160
	ds_load_2addr_b64 v[0:3], v144 offset0:192 offset1:224
	s_wait_loadcnt_dscnt 0x0
	s_barrier_signal -1
	s_barrier_wait -1
	global_inv scope:SCOPE_SE
	s_clause 0x1
	global_load_b128 v[122:125], v[135:136], off
	global_load_b128 v[126:129], v[135:136], off offset:512
	v_pk_fma_f16 v15, v15, v102, v37
	v_lshrrev_b32_e32 v37, 16, v29
	v_and_b32_e32 v29, 0xffff, v29
	v_lshrrev_b32_e32 v102, 16, v30
	v_and_b32_e32 v30, 0xffff, v30
	v_lshrrev_b32_e32 v135, 16, v31
	v_mul_u32_u24_e32 v37, 0x10001, v37
	v_mul_u32_u24_e32 v29, 0x10001, v29
	v_and_b32_e32 v31, 0xffff, v31
	v_mul_u32_u24_e32 v30, 0x10001, v30
	v_mul_u32_u24_e32 v102, 0x10001, v102
	v_pk_fma_f16 v12, v25, v37, v12
	v_pk_fma_f16 v38, v21, v29, v38
	v_pk_fma_f16 v21, v21, v37, v39
	v_pk_fma_f16 v39, v22, v29, v130
	v_pk_fma_f16 v22, v22, v37, v131
	v_pk_fma_f16 v130, v23, v29, v132
	v_pk_fma_f16 v23, v23, v37, v133
	v_pk_fma_f16 v131, v24, v29, v134
	v_pk_fma_f16 v24, v24, v37, v137
	v_pk_fma_f16 v132, v25, v29, v146
	v_pk_fma_f16 v25, v26, v29, v147
	v_pk_fma_f16 v13, v26, v37, v13
	v_pk_fma_f16 v26, v27, v29, v200
	v_lshrrev_b32_e32 v136, 16, v32
	v_and_b32_e32 v32, 0xffff, v32
	v_mul_u32_u24_e32 v31, 0x10001, v31
	v_mul_u32_u24_e32 v135, 0x10001, v135
	v_pk_fma_f16 v14, v27, v37, v14
	v_pk_fma_f16 v27, v28, v29, v201
	v_pk_fma_f16 v15, v28, v37, v15
	v_pk_fma_f16 v28, v148, v30, v38
	v_pk_fma_f16 v21, v148, v102, v21
	v_pk_fma_f16 v29, v149, v30, v39
	v_pk_fma_f16 v22, v149, v102, v22
	v_pk_fma_f16 v37, v150, v30, v130
	v_pk_fma_f16 v23, v150, v102, v23
	v_pk_fma_f16 v38, v151, v30, v131
	v_pk_fma_f16 v24, v151, v102, v24
	v_pk_fma_f16 v39, v152, v30, v132
	v_pk_fma_f16 v12, v152, v102, v12
	v_pk_fma_f16 v25, v153, v30, v25
	v_pk_fma_f16 v13, v153, v102, v13
	v_pk_fma_f16 v26, v154, v30, v26
	v_lshrrev_b32_e32 v202, 16, v40
	v_and_b32_e32 v40, 0xffff, v40
	v_mul_u32_u24_e32 v32, 0x10001, v32
	v_mul_u32_u24_e32 v136, 0x10001, v136
	v_pk_fma_f16 v14, v154, v102, v14
	v_pk_fma_f16 v27, v155, v30, v27
	v_pk_fma_f16 v15, v155, v102, v15
	;; [unrolled: 20-line block ×5, first 2 shown]
	v_pk_fma_f16 v28, v180, v41, v28
	v_pk_fma_f16 v21, v180, v203, v21
	;; [unrolled: 1-line block ×13, first 2 shown]
	v_mul_u32_u24_e32 v43, 0x10001, v43
	v_mul_u32_u24_e32 v209, 0x10001, v209
	v_pk_fma_f16 v14, v186, v203, v14
	v_pk_fma_f16 v27, v187, v41, v27
	;; [unrolled: 1-line block ×16, first 2 shown]
	v_lshrrev_b32_e32 v37, 16, v16
	v_and_b32_e32 v16, 0xffff, v16
	v_pk_fma_f16 v14, v194, v208, v14
	v_pk_fma_f16 v27, v195, v42, v27
	;; [unrolled: 1-line block ×16, first 2 shown]
	v_lshrrev_b32_e32 v38, 16, v17
	v_and_b32_e32 v17, 0xffff, v17
	v_mul_u32_u24_e32 v16, 0x10001, v16
	v_mul_u32_u24_e32 v37, 0x10001, v37
	v_pk_fma_f16 v14, v206, v209, v14
	v_pk_fma_f16 v27, v207, v43, v27
	;; [unrolled: 1-line block ×3, first 2 shown]
	v_lshrrev_b32_e32 v39, 16, v18
	v_and_b32_e32 v18, 0xffff, v18
	v_mul_u32_u24_e32 v17, 0x10001, v17
	v_mul_u32_u24_e32 v38, 0x10001, v38
	v_pk_fma_f16 v28, v4, v16, v28
	v_pk_fma_f16 v4, v4, v37, v21
	v_pk_fma_f16 v21, v5, v16, v29
	v_pk_fma_f16 v5, v5, v37, v22
	v_pk_fma_f16 v22, v6, v16, v30
	v_pk_fma_f16 v6, v6, v37, v23
	v_pk_fma_f16 v23, v7, v16, v31
	v_pk_fma_f16 v7, v7, v37, v24
	v_pk_fma_f16 v24, v8, v16, v32
	v_pk_fma_f16 v8, v8, v37, v12
	v_pk_fma_f16 v12, v9, v16, v25
	v_pk_fma_f16 v9, v9, v37, v13
	v_pk_fma_f16 v13, v10, v16, v26
	v_lshrrev_b32_e32 v40, 16, v19
	v_and_b32_e32 v19, 0xffff, v19
	v_mul_u32_u24_e32 v18, 0x10001, v18
	v_mul_u32_u24_e32 v39, 0x10001, v39
	v_pk_fma_f16 v10, v10, v37, v14
	v_pk_fma_f16 v14, v11, v16, v27
	v_pk_fma_f16 v11, v11, v37, v15
	v_pk_fma_f16 v15, v44, v17, v28
	v_pk_fma_f16 v4, v44, v38, v4
	v_pk_fma_f16 v16, v45, v17, v21
	v_pk_fma_f16 v5, v45, v38, v5
	v_pk_fma_f16 v21, v46, v17, v22
	v_pk_fma_f16 v6, v46, v38, v6
	v_pk_fma_f16 v22, v47, v17, v23
	v_pk_fma_f16 v7, v47, v38, v7
	v_pk_fma_f16 v23, v48, v17, v24
	v_pk_fma_f16 v8, v48, v38, v8
	v_pk_fma_f16 v12, v49, v17, v12
	v_pk_fma_f16 v9, v49, v38, v9
	v_pk_fma_f16 v13, v50, v17, v13
	v_lshrrev_b32_e32 v41, 16, v33
	v_and_b32_e32 v33, 0xffff, v33
	v_mul_u32_u24_e32 v19, 0x10001, v19
	v_mul_u32_u24_e32 v40, 0x10001, v40
	v_pk_fma_f16 v10, v50, v38, v10
	v_pk_fma_f16 v14, v51, v17, v14
	v_pk_fma_f16 v11, v51, v38, v11
	;; [unrolled: 20-line block ×5, first 2 shown]
	v_pk_fma_f16 v15, v76, v34, v15
	v_pk_fma_f16 v4, v76, v42, v4
	;; [unrolled: 1-line block ×13, first 2 shown]
	v_mul_u32_u24_e32 v130, 0x10001, v36
	v_mul_u32_u24_e32 v102, 0x10001, v102
	v_pk_fma_f16 v10, v82, v42, v10
	v_pk_fma_f16 v14, v83, v34, v14
	;; [unrolled: 1-line block ×32, first 2 shown]
	s_wait_loadcnt 0x1
	ds_store_b128 v112, v[122:125]
	s_wait_loadcnt 0x0
	ds_store_b128 v113, v[126:129]
	s_wait_dscnt 0x0
	s_barrier_signal -1
	s_barrier_wait -1
	global_inv scope:SCOPE_SE
	ds_load_2addr_b64 v[4:7], v114 offset1:32
	ds_load_2addr_b64 v[8:11], v114 offset0:64 offset1:96
	ds_load_b128 v[12:15], v111 offset:224
	ds_load_b128 v[16:19], v111 offset:240
	ds_load_2addr_b64 v[21:24], v114 offset0:128 offset1:160
	ds_load_2addr_b64 v[25:28], v114 offset0:192 offset1:224
	ds_load_2addr_b64 v[29:32], v143 offset1:32
	ds_load_2addr_b64 v[33:36], v143 offset0:64 offset1:96
	ds_load_2addr_b64 v[37:40], v143 offset0:128 offset1:160
	ds_load_2addr_b64 v[41:44], v143 offset0:192 offset1:224
	ds_load_2addr_b64 v[45:48], v145 offset1:32
	ds_load_2addr_b64 v[49:52], v145 offset0:64 offset1:96
	;; [unrolled: 4-line block ×3, first 2 shown]
	ds_load_2addr_b64 v[69:72], v144 offset0:128 offset1:160
	ds_load_2addr_b64 v[73:76], v144 offset0:192 offset1:224
	v_pk_fma_f16 v2, v2, v102, v77
	v_pk_fma_f16 v77, v3, v130, v78
	;; [unrolled: 1-line block ×3, first 2 shown]
	s_wait_loadcnt_dscnt 0x0
	v_lshrrev_b32_e32 v78, 16, v12
	v_and_b32_e32 v12, 0xffff, v12
	v_lshrrev_b32_e32 v79, 16, v13
	v_and_b32_e32 v13, 0xffff, v13
	v_lshrrev_b32_e32 v91, 16, v14
	v_mul_u32_u24_e32 v78, 0x10001, v78
	v_mul_u32_u24_e32 v12, 0x10001, v12
	v_and_b32_e32 v14, 0xffff, v14
	v_mul_u32_u24_e32 v13, 0x10001, v13
	v_mul_u32_u24_e32 v79, 0x10001, v79
	v_pk_fma_f16 v0, v8, v78, v0
	v_pk_fma_f16 v80, v4, v12, v80
	;; [unrolled: 1-line block ×16, first 2 shown]
	v_lshrrev_b32_e32 v102, 16, v15
	v_and_b32_e32 v15, 0xffff, v15
	v_mul_u32_u24_e32 v14, 0x10001, v14
	v_mul_u32_u24_e32 v91, 0x10001, v91
	v_pk_fma_f16 v11, v21, v13, v80
	v_pk_fma_f16 v4, v21, v79, v4
	;; [unrolled: 1-line block ×16, first 2 shown]
	v_lshrrev_b32_e32 v118, 16, v16
	v_and_b32_e32 v16, 0xffff, v16
	v_mul_u32_u24_e32 v15, 0x10001, v15
	v_mul_u32_u24_e32 v102, 0x10001, v102
	v_pk_fma_f16 v11, v29, v14, v11
	v_pk_fma_f16 v4, v29, v91, v4
	;; [unrolled: 1-line block ×16, first 2 shown]
	s_barrier_signal -1
	s_barrier_wait -1
	global_inv scope:SCOPE_SE
	s_load_b32 s5, s[8:9], 0x4
	v_lshrrev_b32_e32 v119, 16, v17
	v_and_b32_e32 v17, 0xffff, v17
	v_mul_u32_u24_e32 v16, 0x10001, v16
	v_mul_u32_u24_e32 v118, 0x10001, v118
	v_pk_fma_f16 v11, v37, v15, v11
	v_pk_fma_f16 v4, v37, v102, v4
	v_pk_fma_f16 v12, v38, v15, v12
	v_pk_fma_f16 v5, v38, v102, v5
	v_pk_fma_f16 v13, v39, v15, v13
	v_pk_fma_f16 v6, v39, v102, v6
	v_pk_fma_f16 v14, v40, v15, v21
	v_pk_fma_f16 v7, v40, v102, v7
	v_pk_fma_f16 v21, v41, v15, v22
	v_pk_fma_f16 v0, v41, v102, v0
	v_pk_fma_f16 v8, v42, v15, v8
	v_pk_fma_f16 v1, v42, v102, v1
	v_pk_fma_f16 v9, v43, v15, v9
	v_pk_fma_f16 v2, v43, v102, v2
	v_pk_fma_f16 v10, v44, v15, v10
	v_pk_fma_f16 v3, v44, v102, v3
	v_lshrrev_b32_e32 v120, 16, v18
	v_and_b32_e32 v18, 0xffff, v18
	v_mul_u32_u24_e32 v17, 0x10001, v17
	v_mul_u32_u24_e32 v119, 0x10001, v119
	v_pk_fma_f16 v11, v45, v16, v11
	v_pk_fma_f16 v4, v45, v118, v4
	v_pk_fma_f16 v12, v46, v16, v12
	v_pk_fma_f16 v5, v46, v118, v5
	v_pk_fma_f16 v13, v47, v16, v13
	v_pk_fma_f16 v6, v47, v118, v6
	v_pk_fma_f16 v14, v48, v16, v14
	v_pk_fma_f16 v7, v48, v118, v7
	v_pk_fma_f16 v15, v49, v16, v21
	v_pk_fma_f16 v0, v49, v118, v0
	v_pk_fma_f16 v8, v50, v16, v8
	v_pk_fma_f16 v1, v50, v118, v1
	v_pk_fma_f16 v9, v51, v16, v9
	v_pk_fma_f16 v2, v51, v118, v2
	v_pk_fma_f16 v10, v52, v16, v10
	v_pk_fma_f16 v3, v52, v118, v3
	;; [unrolled: 20-line block ×3, first 2 shown]
	v_mul_u32_u24_e32 v19, 0x10001, v19
	v_mul_u32_u24_e32 v135, 0x10001, v121
	v_pk_fma_f16 v11, v61, v18, v11
	v_pk_fma_f16 v4, v61, v120, v4
	;; [unrolled: 1-line block ×16, first 2 shown]
	s_wait_kmcnt 0x0
	s_lshl_b32 s5, s5, 6
	v_pk_fma_f16 v129, v69, v19, v11
	v_pk_fma_f16 v122, v69, v135, v4
	;; [unrolled: 1-line block ×16, first 2 shown]
	s_wait_alu 0xfffe
	s_add_co_i32 s4, s5, s4
	s_wait_alu 0xfffe
	s_cmp_ge_i32 s4, s30
	s_cbranch_scc1 .LBB24_31
; %bb.30:                               ;   in Loop: Header=BB24_13 Depth=1
	v_dual_mov_b32 v136, v99 :: v_dual_mov_b32 v137, v100
	v_dual_mov_b32 v135, v101 :: v_dual_mov_b32 v118, v20
	s_branch .LBB24_13
.LBB24_31:
	v_mov_b32_e32 v0, v106
.LBB24_32:
	v_cmp_lt_i32_e32 vcc_lo, v142, v107
	s_cmp_lg_u64 s[12:13], 0
	s_cselect_b32 s3, -1, 0
	s_cmp_eq_u32 s2, 0
	s_wait_alu 0xfffd
	v_cndmask_b32_e32 v1, v0, v142, vcc_lo
	v_cmp_lt_i32_e32 vcc_lo, v138, v107
	s_cselect_b32 s4, -1, 0
	s_wait_alu 0xfffe
	s_and_b32 s3, s4, s3
	v_lshlrev_b32_e32 v1, 2, v1
	s_wait_alu 0xfffd
	v_cndmask_b32_e32 v3, v0, v138, vcc_lo
	v_cmp_lt_i32_e32 vcc_lo, v139, v107
	ds_bpermute_b32 v2, v1, v101
	v_lshlrev_b32_e32 v3, 2, v3
	s_wait_alu 0xfffd
	v_cndmask_b32_e32 v5, v0, v139, vcc_lo
	v_cmp_lt_i32_e32 vcc_lo, v140, v107
	s_wait_dscnt 0x0
	s_delay_alu instid0(VALU_DEP_2)
	v_dual_add_f32 v2, v101, v2 :: v_dual_lshlrev_b32 v5, 2, v5
	ds_bpermute_b32 v1, v1, v20
	ds_bpermute_b32 v4, v3, v2
	s_wait_dscnt 0x0
	v_dual_add_f32 v2, v2, v4 :: v_dual_add_f32 v1, v20, v1
	ds_bpermute_b32 v3, v3, v1
	s_wait_dscnt 0x0
	v_add_f32_e32 v1, v1, v3
	ds_bpermute_b32 v3, v5, v2
	ds_bpermute_b32 v4, v5, v1
	s_wait_alu 0xfffd
	v_cndmask_b32_e32 v5, v0, v140, vcc_lo
	v_cmp_lt_i32_e32 vcc_lo, v141, v107
	s_delay_alu instid0(VALU_DEP_2)
	v_lshlrev_b32_e32 v5, 2, v5
	s_wait_alu 0xfffd
	v_cndmask_b32_e32 v0, v0, v141, vcc_lo
	s_wait_alu 0xfffe
	s_and_b32 vcc_lo, exec_lo, s3
	s_mov_b32 s3, 0
	s_delay_alu instid0(VALU_DEP_1)
	v_lshlrev_b32_e32 v0, 2, v0
	s_wait_dscnt 0x0
	v_dual_add_f32 v2, v2, v3 :: v_dual_add_f32 v1, v1, v4
	ds_bpermute_b32 v3, v5, v2
	ds_bpermute_b32 v4, v5, v1
	s_wait_dscnt 0x0
	v_dual_add_f32 v2, v2, v3 :: v_dual_add_f32 v1, v1, v4
	ds_bpermute_b32 v3, v0, v2
	v_add_nc_u32_e32 v4, s33, v104
	ds_bpermute_b32 v0, v0, v1
	s_wait_dscnt 0x0
	v_dual_add_f32 v2, v2, v3 :: v_dual_add_f32 v3, v1, v0
	s_wait_alu 0xfffe
	s_cbranch_vccnz .LBB24_35
; %bb.33:
	s_delay_alu instid0(VALU_DEP_1) | instskip(NEXT) | instid1(VALU_DEP_2)
	v_dual_mov_b32 v0, v2 :: v_dual_add_nc_u32 v5, s33, v104
	v_mov_b32_e32 v1, v3
	s_and_not1_b32 vcc_lo, exec_lo, s3
	s_wait_alu 0xfffe
	s_cbranch_vccz .LBB24_36
; %bb.34:
	v_mov_b32_e32 v4, v5
	s_branch .LBB24_37
.LBB24_35:
                                        ; implicit-def: $vgpr5
                                        ; implicit-def: $vgpr0_vgpr1
.LBB24_36:
	v_ashrrev_i32_e32 v5, 31, v4
	s_delay_alu instid0(VALU_DEP_1) | instskip(NEXT) | instid1(VALU_DEP_1)
	v_lshlrev_b64_e32 v[0:1], 2, v[4:5]
	v_add_co_u32 v0, vcc_lo, s12, v0
	s_wait_alu 0xfffd
	s_delay_alu instid0(VALU_DEP_2)
	v_add_co_ci_u32_e64 v1, null, s13, v1, vcc_lo
	global_load_b64 v[0:1], v[0:1], off
	v_max_num_f32_e32 v5, v99, v99
	s_wait_loadcnt 0x0
	v_dual_max_num_f32 v7, v100, v100 :: v_dual_max_num_f32 v8, v1, v1
	v_max_num_f32_e32 v6, v0, v0
	s_delay_alu instid0(VALU_DEP_1) | instskip(NEXT) | instid1(VALU_DEP_1)
	v_dual_max_num_f32 v5, v5, v6 :: v_dual_max_num_f32 v6, v7, v8
	v_dual_sub_f32 v7, v99, v5 :: v_dual_sub_f32 v8, v100, v6
	v_dual_sub_f32 v0, v0, v5 :: v_dual_sub_f32 v1, v1, v6
	s_delay_alu instid0(VALU_DEP_2) | instskip(NEXT) | instid1(VALU_DEP_3)
	v_dual_mov_b32 v100, v6 :: v_dual_mul_f32 v9, 0x3fb8aa3b, v7
	v_mul_f32_e32 v11, 0x3fb8aa3b, v8
	s_delay_alu instid0(VALU_DEP_3) | instskip(NEXT) | instid1(VALU_DEP_4)
	v_mul_f32_e32 v10, 0x3fb8aa3b, v0
	v_mul_f32_e32 v12, 0x3fb8aa3b, v1
	v_cmp_ngt_f32_e32 vcc_lo, 0xc2ce8ed0, v7
	v_fma_f32 v13, 0x3fb8aa3b, v7, -v9
	v_rndne_f32_e32 v14, v9
	v_fma_f32 v15, 0x3fb8aa3b, v0, -v10
	v_fma_f32 v19, 0x3fb8aa3b, v1, -v12
	v_rndne_f32_e32 v20, v12
	v_rndne_f32_e32 v16, v10
	v_fma_f32 v17, 0x3fb8aa3b, v8, -v11
	v_rndne_f32_e32 v18, v11
	v_fmac_f32_e32 v13, 0x32a5705f, v7
	v_dual_sub_f32 v9, v9, v14 :: v_dual_sub_f32 v12, v12, v20
	v_fmac_f32_e32 v19, 0x32a5705f, v1
	v_fmac_f32_e32 v15, 0x32a5705f, v0
	v_dual_sub_f32 v10, v10, v16 :: v_dual_sub_f32 v11, v11, v18
	s_delay_alu instid0(VALU_DEP_3) | instskip(NEXT) | instid1(VALU_DEP_2)
	v_dual_add_f32 v9, v9, v13 :: v_dual_add_f32 v12, v12, v19
	v_dual_fmac_f32 v17, 0x32a5705f, v8 :: v_dual_add_f32 v10, v10, v15
	v_cvt_i32_f32_e32 v13, v14
	s_delay_alu instid0(VALU_DEP_3) | instskip(SKIP_1) | instid1(VALU_DEP_3)
	v_exp_f32_e32 v9, v9
	v_cvt_i32_f32_e32 v15, v18
	v_add_f32_e32 v11, v11, v17
	v_exp_f32_e32 v10, v10
	v_cvt_i32_f32_e32 v14, v16
	v_exp_f32_e32 v12, v12
	v_mov_b32_e32 v99, v5
	v_exp_f32_e32 v11, v11
	v_ldexp_f32 v9, v9, v13
	v_cvt_i32_f32_e32 v13, v20
	s_delay_alu instid0(TRANS32_DEP_3) | instskip(SKIP_1) | instid1(VALU_DEP_3)
	v_ldexp_f32 v10, v10, v14
	s_wait_alu 0xfffd
	v_cndmask_b32_e32 v9, 0, v9, vcc_lo
	v_cmp_ngt_f32_e32 vcc_lo, 0xc2ce8ed0, v8
	s_delay_alu instid0(TRANS32_DEP_1) | instskip(SKIP_2) | instid1(VALU_DEP_2)
	v_ldexp_f32 v11, v11, v15
	v_ldexp_f32 v12, v12, v13
	s_wait_alu 0xfffd
	v_cndmask_b32_e32 v11, 0, v11, vcc_lo
	v_cmp_nlt_f32_e32 vcc_lo, 0x42b17218, v7
	s_wait_alu 0xfffd
	v_cndmask_b32_e32 v7, 0x7f800000, v9, vcc_lo
	v_cmp_ngt_f32_e32 vcc_lo, 0xc2ce8ed0, v0
	s_wait_alu 0xfffd
	v_cndmask_b32_e32 v9, 0, v10, vcc_lo
	v_cmp_nlt_f32_e32 vcc_lo, 0x42b17218, v8
	v_cvt_f16_f32_e32 v10, v7
	s_wait_alu 0xfffd
	v_cndmask_b32_e32 v8, 0x7f800000, v11, vcc_lo
	v_cmp_ngt_f32_e32 vcc_lo, 0xc2ce8ed0, v1
	s_wait_alu 0xfffd
	v_dual_cndmask_b32 v11, 0, v12 :: v_dual_and_b32 v10, 0xffff, v10
	v_cmp_nlt_f32_e32 vcc_lo, 0x42b17218, v0
	s_wait_alu 0xfffd
	v_cndmask_b32_e32 v0, 0x7f800000, v9, vcc_lo
	v_cvt_f16_f32_e32 v9, v8
	v_cmp_nlt_f32_e32 vcc_lo, 0x42b17218, v1
	s_delay_alu instid0(VALU_DEP_2) | instskip(SKIP_3) | instid1(VALU_DEP_2)
	v_dual_fmac_f32 v0, v2, v7 :: v_dual_and_b32 v7, 0xffff, v9
	s_wait_alu 0xfffd
	v_cndmask_b32_e32 v1, 0x7f800000, v11, vcc_lo
	v_mul_u32_u24_e32 v9, 0x10001, v10
	v_dual_mov_b32 v2, v0 :: v_dual_fmac_f32 v1, v3, v8
	v_mul_u32_u24_e32 v3, 0x10001, v7
	s_delay_alu instid0(VALU_DEP_3)
	v_pk_mul_f16 v129, v129, v9
	v_pk_mul_f16 v134, v134, v9
	;; [unrolled: 1-line block ×16, first 2 shown]
	v_mov_b32_e32 v3, v1
.LBB24_37:
	s_load_b32 s1, s[0:1], 0xd4
	v_mov_b32_e32 v6, 1.0
	s_wait_kmcnt 0x0
	s_cmp_lg_u32 s1, 1
	s_cselect_b32 s4, -1, 0
	s_cmp_eq_u32 s1, 1
	s_cselect_b32 s3, -1, 0
	s_wait_alu 0xfffe
	s_and_b32 vcc_lo, exec_lo, s4
	s_wait_alu 0xfffe
	s_cbranch_vccnz .LBB24_39
; %bb.38:
	v_div_scale_f32 v5, null, v2, v2, 1.0
	s_delay_alu instid0(VALU_DEP_1) | instskip(NEXT) | instid1(TRANS32_DEP_1)
	v_rcp_f32_e32 v6, v5
	v_fma_f32 v7, -v5, v6, 1.0
	s_delay_alu instid0(VALU_DEP_1) | instskip(SKIP_1) | instid1(VALU_DEP_1)
	v_fmac_f32_e32 v6, v7, v6
	v_div_scale_f32 v7, vcc_lo, 1.0, v2, 1.0
	v_mul_f32_e32 v8, v7, v6
	s_delay_alu instid0(VALU_DEP_1) | instskip(NEXT) | instid1(VALU_DEP_1)
	v_fma_f32 v9, -v5, v8, v7
	v_fmac_f32_e32 v8, v9, v6
	s_delay_alu instid0(VALU_DEP_1) | instskip(SKIP_1) | instid1(VALU_DEP_1)
	v_fma_f32 v5, -v5, v8, v7
	s_wait_alu 0xfffd
	v_div_fmas_f32 v5, v5, v6, v8
	s_delay_alu instid0(VALU_DEP_1)
	v_div_fixup_f32 v6, v5, v2, 1.0
.LBB24_39:
	v_mad_co_u64_u32 v[7:8], null, s28, s22, v[92:93]
	v_lshrrev_b32_e32 v2, 16, v134
	v_cvt_f32_f16_e64 v8, v134
	v_lshrrev_b32_e32 v10, 16, v129
	v_mov_b32_e32 v20, 0
	v_lshrrev_b32_e32 v11, 16, v133
	v_cvt_f32_f16_e64 v15, v132
	v_mad_co_u64_u32 v[4:5], null, v7, s23, v[4:5]
	v_cvt_f32_f16_e64 v7, v129
	v_cvt_f32_f16_e32 v2, v2
	v_mul_f32_e32 v9, v6, v8
	v_cvt_f32_f16_e32 v8, v10
	v_cvt_f32_f16_e32 v21, v11
	v_dual_mul_f32 v7, v6, v7 :: v_dual_mov_b32 v16, v20
	v_mad_co_u64_u32 v[4:5], null, s1, v4, s[2:3]
	v_mul_f32_e32 v11, v6, v15
	v_lshrrev_b32_e32 v5, 16, v131
	v_cvt_f32_f16_e64 v12, v133
	v_lshrrev_b32_e32 v14, 16, v132
	v_cvt_f32_f16_e64 v27, v130
	v_cmp_eq_u32_e32 vcc_lo, 0, v93
	v_lshl_add_u32 v19, v4, 9, v103
	v_mul_f32_e32 v10, v6, v2
	v_lshrrev_b32_e32 v2, 16, v130
	v_cvt_f32_f16_e32 v5, v5
	v_mul_f32_e32 v13, v6, v12
	v_add_nc_u32_e32 v15, 0x80, v19
	v_lshlrev_b64_e32 v[17:18], 2, v[19:20]
	v_mul_f32_e32 v8, v6, v8
	v_cvt_f32_f16_e32 v2, v2
	v_cvt_f32_f16_e32 v12, v14
	v_lshlrev_b64_e32 v[15:16], 2, v[15:16]
	v_mul_f32_e32 v14, v6, v21
	v_add_co_u32 v23, s0, s16, v17
	s_wait_alu 0xf1ff
	v_add_co_ci_u32_e64 v24, null, s17, v18, s0
	s_delay_alu instid0(VALU_DEP_4)
	v_add_co_u32 v25, s0, s16, v15
	s_wait_alu 0xf1ff
	v_add_co_ci_u32_e64 v26, null, s17, v16, s0
	v_dual_mov_b32 v16, v20 :: v_dual_add_nc_u32 v15, 0x100, v19
	v_dual_mul_f32 v18, v6, v5 :: v_dual_add_nc_u32 v19, 0x180, v19
	v_lshrrev_b32_e32 v5, 16, v127
	v_cvt_f32_f16_e64 v17, v131
	s_delay_alu instid0(VALU_DEP_4)
	v_lshlrev_b64_e32 v[21:22], 2, v[15:16]
	v_mul_f32_e32 v16, v6, v2
	v_lshrrev_b32_e32 v2, 16, v128
	v_lshlrev_b64_e32 v[29:30], 2, v[19:20]
	v_cvt_f32_f16_e32 v5, v5
	v_mul_f32_e32 v15, v6, v27
	v_add_co_u32 v27, s0, s16, v21
	v_cvt_f32_f16_e32 v2, v2
	v_cvt_f32_f16_e64 v21, v128
	v_cvt_f32_f16_e32 v31, v127
	v_mul_f32_e32 v12, v6, v12
	s_wait_alu 0xf1ff
	v_add_co_ci_u32_e64 v28, null, s17, v22, s0
	v_mul_f32_e32 v20, v6, v5
	v_add_co_u32 v5, s0, s16, v29
	v_mul_f32_e32 v17, v6, v17
	v_mul_f32_e32 v22, v6, v2
	;; [unrolled: 1-line block ×4, first 2 shown]
	s_wait_alu 0xf1ff
	v_add_co_ci_u32_e64 v6, null, s17, v30, s0
	s_and_b32 s0, vcc_lo, s4
	s_clause 0x3
	global_store_b128 v[23:24], v[7:10], off
	global_store_b128 v[25:26], v[11:14], off
	;; [unrolled: 1-line block ×4, first 2 shown]
	s_wait_alu 0xfffe
	s_and_saveexec_b32 s2, s0
	s_cbranch_execz .LBB24_41
; %bb.40:
	v_ashrrev_i32_e32 v5, 31, v4
	v_dual_mov_b32 v7, v99 :: v_dual_mov_b32 v8, v0
	s_delay_alu instid0(VALU_DEP_2) | instskip(NEXT) | instid1(VALU_DEP_1)
	v_lshlrev_b64_e32 v[5:6], 3, v[4:5]
	v_add_co_u32 v5, vcc_lo, s18, v5
	s_wait_alu 0xfffd
	s_delay_alu instid0(VALU_DEP_2)
	v_add_co_ci_u32_e64 v6, null, s19, v6, vcc_lo
	global_store_b64 v[5:6], v[7:8], off
.LBB24_41:
	s_wait_alu 0xfffe
	s_or_b32 exec_lo, exec_lo, s2
	v_mov_b32_e32 v0, 1.0
	s_and_not1_b32 vcc_lo, exec_lo, s3
	s_wait_alu 0xfffe
	s_cbranch_vccnz .LBB24_43
; %bb.42:
	v_div_scale_f32 v0, null, v3, v3, 1.0
	s_delay_alu instid0(VALU_DEP_1) | instskip(NEXT) | instid1(TRANS32_DEP_1)
	v_rcp_f32_e32 v2, v0
	v_fma_f32 v5, -v0, v2, 1.0
	s_delay_alu instid0(VALU_DEP_1) | instskip(SKIP_1) | instid1(VALU_DEP_1)
	v_fmac_f32_e32 v2, v5, v2
	v_div_scale_f32 v5, vcc_lo, 1.0, v3, 1.0
	v_mul_f32_e32 v6, v5, v2
	s_delay_alu instid0(VALU_DEP_1) | instskip(NEXT) | instid1(VALU_DEP_1)
	v_fma_f32 v7, -v0, v6, v5
	v_fmac_f32_e32 v6, v7, v2
	s_delay_alu instid0(VALU_DEP_1) | instskip(SKIP_1) | instid1(VALU_DEP_1)
	v_fma_f32 v0, -v0, v6, v5
	s_wait_alu 0xfffd
	v_div_fmas_f32 v0, v0, v2, v6
	s_delay_alu instid0(VALU_DEP_1)
	v_div_fixup_f32 v0, v0, v3, 1.0
.LBB24_43:
	v_lshrrev_b32_e32 v3, 16, v126
	v_cvt_f32_f16_e32 v6, v122
	v_add_nc_u32_e32 v2, s1, v4
	v_cvt_f32_f16_e32 v4, v126
	v_lshrrev_b32_e32 v5, 16, v122
	v_mov_b32_e32 v16, 0
	v_cvt_f32_f16_e32 v10, v3
	v_mul_f32_e32 v3, v0, v6
	v_lshl_add_u32 v15, v2, 9, v103
	v_cvt_f32_f16_e32 v11, v5
	v_mul_f32_e32 v5, v0, v4
	v_lshrrev_b32_e32 v9, 16, v125
	v_mul_f32_e32 v6, v0, v10
	v_lshlrev_b64_e32 v[7:8], 2, v[15:16]
	v_lshrrev_b32_e32 v10, 16, v124
	v_cvt_f32_f16_e32 v13, v125
	v_cvt_f32_f16_e32 v9, v9
	v_mul_f32_e32 v4, v0, v11
	v_cvt_f32_f16_e32 v17, v124
	v_add_co_u32 v19, vcc_lo, s16, v7
	s_wait_alu 0xfffd
	v_add_co_ci_u32_e64 v20, null, s17, v8, vcc_lo
	v_dual_mov_b32 v8, v16 :: v_dual_add_nc_u32 v7, 0x80, v15
	v_cvt_f32_f16_e32 v14, v10
	v_mul_f32_e32 v10, v0, v9
	v_mul_f32_e32 v9, v0, v13
	v_lshrrev_b32_e32 v13, 16, v123
	v_lshlrev_b64_e32 v[11:12], 2, v[7:8]
	v_mul_f32_e32 v8, v0, v14
	v_mul_f32_e32 v7, v0, v17
	v_lshrrev_b32_e32 v14, 16, v121
	v_cvt_f32_f16_e32 v13, v13
	v_cvt_f32_f16_e32 v17, v123
	v_add_co_u32 v21, vcc_lo, s16, v11
	s_wait_alu 0xfffd
	v_add_co_ci_u32_e64 v22, null, s17, v12, vcc_lo
	v_dual_mov_b32 v12, v16 :: v_dual_add_nc_u32 v11, 0x100, v15
	v_cvt_f32_f16_e32 v23, v14
	v_mul_f32_e32 v14, v0, v13
	v_mul_f32_e32 v13, v0, v17
	v_lshrrev_b32_e32 v25, 16, v119
	v_lshlrev_b64_e32 v[17:18], 2, v[11:12]
	v_lshrrev_b32_e32 v26, 16, v120
	v_add_nc_u32_e32 v15, 0x180, v15
	v_mul_f32_e32 v12, v0, v23
	v_cvt_f32_f16_e32 v24, v121
	v_cvt_f32_f16_e32 v27, v119
	v_add_co_u32 v23, vcc_lo, s16, v17
	v_cvt_f32_f16_e32 v17, v25
	v_cvt_f32_f16_e32 v28, v26
	v_lshlrev_b64_e32 v[25:26], 2, v[15:16]
	v_cvt_f32_f16_e32 v29, v120
	v_mul_f32_e32 v11, v0, v24
	s_wait_alu 0xfffd
	v_add_co_ci_u32_e64 v24, null, s17, v18, vcc_lo
	v_mul_f32_e32 v18, v0, v17
	v_add_co_u32 v25, vcc_lo, s16, v25
	v_mul_f32_e32 v17, v0, v27
	v_mul_f32_e32 v16, v0, v28
	;; [unrolled: 1-line block ×3, first 2 shown]
	s_wait_alu 0xfffd
	v_add_co_ci_u32_e64 v26, null, s17, v26, vcc_lo
	s_clause 0x3
	global_store_b128 v[19:20], v[3:6], off
	global_store_b128 v[21:22], v[7:10], off
	;; [unrolled: 1-line block ×4, first 2 shown]
	s_and_saveexec_b32 s1, s0
	s_cbranch_execz .LBB24_45
; %bb.44:
	v_ashrrev_i32_e32 v3, 31, v2
	v_mov_b32_e32 v0, v100
	s_delay_alu instid0(VALU_DEP_2) | instskip(NEXT) | instid1(VALU_DEP_1)
	v_lshlrev_b64_e32 v[2:3], 3, v[2:3]
	v_add_co_u32 v2, vcc_lo, s18, v2
	s_wait_alu 0xfffd
	s_delay_alu instid0(VALU_DEP_2)
	v_add_co_ci_u32_e64 v3, null, s19, v3, vcc_lo
	global_store_b64 v[2:3], v[0:1], off
.LBB24_45:
	s_nop 0
	s_sendmsg sendmsg(MSG_DEALLOC_VGPRS)
	s_endpgm
	.section	.rodata,"a",@progbits
	.p2align	6, 0x0
	.amdhsa_kernel _ZL15flash_attn_tileILi576ELi512ELi1ELi16ELb1EEvPKcS1_S1_S1_S1_PKiPfP15HIP_vector_typeIfLj2EEffffjfiS5_IjLj3EEiiiiiiiiiiiliiliiiiil
		.amdhsa_group_segment_fixed_size 29696
		.amdhsa_private_segment_fixed_size 0
		.amdhsa_kernarg_size 464
		.amdhsa_user_sgpr_count 2
		.amdhsa_user_sgpr_dispatch_ptr 0
		.amdhsa_user_sgpr_queue_ptr 0
		.amdhsa_user_sgpr_kernarg_segment_ptr 1
		.amdhsa_user_sgpr_dispatch_id 0
		.amdhsa_user_sgpr_private_segment_size 0
		.amdhsa_wavefront_size32 1
		.amdhsa_uses_dynamic_stack 0
		.amdhsa_enable_private_segment 0
		.amdhsa_system_sgpr_workgroup_id_x 1
		.amdhsa_system_sgpr_workgroup_id_y 1
		.amdhsa_system_sgpr_workgroup_id_z 1
		.amdhsa_system_sgpr_workgroup_info 0
		.amdhsa_system_vgpr_workitem_id 1
		.amdhsa_next_free_vgpr 235
		.amdhsa_next_free_sgpr 43
		.amdhsa_reserve_vcc 1
		.amdhsa_float_round_mode_32 0
		.amdhsa_float_round_mode_16_64 0
		.amdhsa_float_denorm_mode_32 3
		.amdhsa_float_denorm_mode_16_64 3
		.amdhsa_fp16_overflow 0
		.amdhsa_workgroup_processor_mode 1
		.amdhsa_memory_ordered 1
		.amdhsa_forward_progress 1
		.amdhsa_inst_pref_size 189
		.amdhsa_round_robin_scheduling 0
		.amdhsa_exception_fp_ieee_invalid_op 0
		.amdhsa_exception_fp_denorm_src 0
		.amdhsa_exception_fp_ieee_div_zero 0
		.amdhsa_exception_fp_ieee_overflow 0
		.amdhsa_exception_fp_ieee_underflow 0
		.amdhsa_exception_fp_ieee_inexact 0
		.amdhsa_exception_int_div_zero 0
	.end_amdhsa_kernel
	.section	.text._ZL15flash_attn_tileILi576ELi512ELi1ELi16ELb1EEvPKcS1_S1_S1_S1_PKiPfP15HIP_vector_typeIfLj2EEffffjfiS5_IjLj3EEiiiiiiiiiiiliiliiiiil,"axG",@progbits,_ZL15flash_attn_tileILi576ELi512ELi1ELi16ELb1EEvPKcS1_S1_S1_S1_PKiPfP15HIP_vector_typeIfLj2EEffffjfiS5_IjLj3EEiiiiiiiiiiiliiliiiiil,comdat
.Lfunc_end24:
	.size	_ZL15flash_attn_tileILi576ELi512ELi1ELi16ELb1EEvPKcS1_S1_S1_S1_PKiPfP15HIP_vector_typeIfLj2EEffffjfiS5_IjLj3EEiiiiiiiiiiiliiliiiiil, .Lfunc_end24-_ZL15flash_attn_tileILi576ELi512ELi1ELi16ELb1EEvPKcS1_S1_S1_S1_PKiPfP15HIP_vector_typeIfLj2EEffffjfiS5_IjLj3EEiiiiiiiiiiiliiliiiiil
                                        ; -- End function
	.set _ZL15flash_attn_tileILi576ELi512ELi1ELi16ELb1EEvPKcS1_S1_S1_S1_PKiPfP15HIP_vector_typeIfLj2EEffffjfiS5_IjLj3EEiiiiiiiiiiiliiliiiiil.num_vgpr, 235
	.set _ZL15flash_attn_tileILi576ELi512ELi1ELi16ELb1EEvPKcS1_S1_S1_S1_PKiPfP15HIP_vector_typeIfLj2EEffffjfiS5_IjLj3EEiiiiiiiiiiiliiliiiiil.num_agpr, 0
	.set _ZL15flash_attn_tileILi576ELi512ELi1ELi16ELb1EEvPKcS1_S1_S1_S1_PKiPfP15HIP_vector_typeIfLj2EEffffjfiS5_IjLj3EEiiiiiiiiiiiliiliiiiil.numbered_sgpr, 43
	.set _ZL15flash_attn_tileILi576ELi512ELi1ELi16ELb1EEvPKcS1_S1_S1_S1_PKiPfP15HIP_vector_typeIfLj2EEffffjfiS5_IjLj3EEiiiiiiiiiiiliiliiiiil.num_named_barrier, 0
	.set _ZL15flash_attn_tileILi576ELi512ELi1ELi16ELb1EEvPKcS1_S1_S1_S1_PKiPfP15HIP_vector_typeIfLj2EEffffjfiS5_IjLj3EEiiiiiiiiiiiliiliiiiil.private_seg_size, 0
	.set _ZL15flash_attn_tileILi576ELi512ELi1ELi16ELb1EEvPKcS1_S1_S1_S1_PKiPfP15HIP_vector_typeIfLj2EEffffjfiS5_IjLj3EEiiiiiiiiiiiliiliiiiil.uses_vcc, 1
	.set _ZL15flash_attn_tileILi576ELi512ELi1ELi16ELb1EEvPKcS1_S1_S1_S1_PKiPfP15HIP_vector_typeIfLj2EEffffjfiS5_IjLj3EEiiiiiiiiiiiliiliiiiil.uses_flat_scratch, 0
	.set _ZL15flash_attn_tileILi576ELi512ELi1ELi16ELb1EEvPKcS1_S1_S1_S1_PKiPfP15HIP_vector_typeIfLj2EEffffjfiS5_IjLj3EEiiiiiiiiiiiliiliiiiil.has_dyn_sized_stack, 0
	.set _ZL15flash_attn_tileILi576ELi512ELi1ELi16ELb1EEvPKcS1_S1_S1_S1_PKiPfP15HIP_vector_typeIfLj2EEffffjfiS5_IjLj3EEiiiiiiiiiiiliiliiiiil.has_recursion, 0
	.set _ZL15flash_attn_tileILi576ELi512ELi1ELi16ELb1EEvPKcS1_S1_S1_S1_PKiPfP15HIP_vector_typeIfLj2EEffffjfiS5_IjLj3EEiiiiiiiiiiiliiliiiiil.has_indirect_call, 0
	.section	.AMDGPU.csdata,"",@progbits
; Kernel info:
; codeLenInByte = 24104
; TotalNumSgprs: 45
; NumVgprs: 235
; ScratchSize: 0
; MemoryBound: 0
; FloatMode: 240
; IeeeMode: 1
; LDSByteSize: 29696 bytes/workgroup (compile time only)
; SGPRBlocks: 0
; VGPRBlocks: 29
; NumSGPRsForWavesPerEU: 45
; NumVGPRsForWavesPerEU: 235
; Occupancy: 6
; WaveLimiterHint : 1
; COMPUTE_PGM_RSRC2:SCRATCH_EN: 0
; COMPUTE_PGM_RSRC2:USER_SGPR: 2
; COMPUTE_PGM_RSRC2:TRAP_HANDLER: 0
; COMPUTE_PGM_RSRC2:TGID_X_EN: 1
; COMPUTE_PGM_RSRC2:TGID_Y_EN: 1
; COMPUTE_PGM_RSRC2:TGID_Z_EN: 1
; COMPUTE_PGM_RSRC2:TIDIG_COMP_CNT: 1
	.section	.text._ZL15flash_attn_tileILi576ELi512ELi8ELi4ELb1EEvPKcS1_S1_S1_S1_PKiPfP15HIP_vector_typeIfLj2EEffffjfiS5_IjLj3EEiiiiiiiiiiiliiliiiiil,"axG",@progbits,_ZL15flash_attn_tileILi576ELi512ELi8ELi4ELb1EEvPKcS1_S1_S1_S1_PKiPfP15HIP_vector_typeIfLj2EEffffjfiS5_IjLj3EEiiiiiiiiiiiliiliiiiil,comdat
	.globl	_ZL15flash_attn_tileILi576ELi512ELi8ELi4ELb1EEvPKcS1_S1_S1_S1_PKiPfP15HIP_vector_typeIfLj2EEffffjfiS5_IjLj3EEiiiiiiiiiiiliiliiiiil ; -- Begin function _ZL15flash_attn_tileILi576ELi512ELi8ELi4ELb1EEvPKcS1_S1_S1_S1_PKiPfP15HIP_vector_typeIfLj2EEffffjfiS5_IjLj3EEiiiiiiiiiiiliiliiiiil
	.p2align	8
	.type	_ZL15flash_attn_tileILi576ELi512ELi8ELi4ELb1EEvPKcS1_S1_S1_S1_PKiPfP15HIP_vector_typeIfLj2EEffffjfiS5_IjLj3EEiiiiiiiiiiiliiliiiiil,@function
_ZL15flash_attn_tileILi576ELi512ELi8ELi4ELb1EEvPKcS1_S1_S1_S1_PKiPfP15HIP_vector_typeIfLj2EEffffjfiS5_IjLj3EEiiiiiiiiiiiliiliiiiil: ; @_ZL15flash_attn_tileILi576ELi512ELi8ELi4ELb1EEvPKcS1_S1_S1_S1_PKiPfP15HIP_vector_typeIfLj2EEffffjfiS5_IjLj3EEiiiiiiiiiiiliiliiiiil
; %bb.0:
	s_clause 0x1
	s_load_b128 s[20:23], s[0:1], 0x5c
	s_load_b64 s[34:35], s[0:1], 0x80
	s_lshr_b32 s5, ttmp7, 16
	s_mov_b32 s39, 0
	s_mov_b64 s[36:37], 0
	s_wait_kmcnt 0x0
	s_ashr_i32 s2, s23, 31
	s_delay_alu instid0(SALU_CYCLE_1) | instskip(NEXT) | instid1(SALU_CYCLE_1)
	s_lshr_b32 s2, s2, 30
	s_add_co_i32 s2, s23, s2
	s_delay_alu instid0(SALU_CYCLE_1) | instskip(NEXT) | instid1(SALU_CYCLE_1)
	s_ashr_i32 s2, s2, 2
	s_cvt_f32_u32 s3, s2
	s_sub_co_i32 s4, 0, s2
	s_delay_alu instid0(SALU_CYCLE_2) | instskip(NEXT) | instid1(TRANS32_DEP_1)
	v_rcp_iflag_f32_e32 v1, s3
	v_readfirstlane_b32 s3, v1
	s_mul_f32 s3, s3, 0x4f7ffffe
	s_wait_alu 0xfffe
	s_delay_alu instid0(SALU_CYCLE_2) | instskip(SKIP_1) | instid1(SALU_CYCLE_2)
	s_cvt_u32_f32 s3, s3
	s_wait_alu 0xfffe
	s_mul_i32 s4, s4, s3
	s_delay_alu instid0(SALU_CYCLE_1) | instskip(NEXT) | instid1(SALU_CYCLE_1)
	s_mul_hi_u32 s4, s3, s4
	s_add_co_i32 s3, s3, s4
	s_wait_alu 0xfffe
	s_mul_hi_u32 s3, s5, s3
	s_wait_alu 0xfffe
	s_mul_i32 s4, s3, s2
	s_add_co_i32 s6, s3, 1
	s_sub_co_i32 s4, s5, s4
	s_delay_alu instid0(SALU_CYCLE_1)
	s_sub_co_i32 s7, s4, s2
	s_cmp_ge_u32 s4, s2
	s_cselect_b32 s3, s6, s3
	s_cselect_b32 s4, s7, s4
	s_wait_alu 0xfffe
	s_add_co_i32 s6, s3, 1
	s_cmp_ge_u32 s4, s2
	s_cselect_b32 s28, s6, s3
	s_abs_i32 s2, s35
	s_abs_i32 s7, s23
	s_wait_alu 0xfffe
	s_cvt_f32_u32 s3, s2
	s_sub_co_i32 s4, 0, s2
	s_lshl_b32 s5, s5, 2
	s_mul_i32 s6, s28, s23
	s_wait_alu 0xfffe
	v_rcp_iflag_f32_e32 v1, s3
	s_sub_co_i32 s30, s5, s6
	s_delay_alu instid0(TRANS32_DEP_1) | instskip(SKIP_2) | instid1(SALU_CYCLE_2)
	v_readfirstlane_b32 s3, v1
	s_mul_f32 s3, s3, 0x4f7ffffe
	s_wait_alu 0xfffe
	s_cvt_u32_f32 s3, s3
	s_wait_alu 0xfffe
	s_delay_alu instid0(SALU_CYCLE_2) | instskip(NEXT) | instid1(SALU_CYCLE_1)
	s_mul_i32 s4, s4, s3
	s_mul_hi_u32 s4, s3, s4
	s_delay_alu instid0(SALU_CYCLE_1)
	s_add_co_i32 s3, s3, s4
	s_xor_b32 s4, s23, s35
	s_wait_alu 0xfffe
	s_mul_hi_u32 s3, s7, s3
	s_ashr_i32 s24, s4, 31
	s_wait_alu 0xfffe
	s_mul_i32 s5, s3, s2
	s_delay_alu instid0(SALU_CYCLE_1)
	s_sub_co_i32 s4, s7, s5
	s_add_co_i32 s5, s3, 1
	s_sub_co_i32 s6, s4, s2
	s_cmp_ge_u32 s4, s2
	s_cselect_b32 s3, s5, s3
	s_cselect_b32 s4, s6, s4
	s_wait_alu 0xfffe
	s_add_co_i32 s5, s3, 1
	s_cmp_ge_u32 s4, s2
	s_cselect_b32 s2, s5, s3
	s_load_b512 s[4:19], s[0:1], 0x0
	s_xor_b32 s2, s2, s24
	s_wait_alu 0xfffe
	s_sub_co_i32 s29, s2, s24
	s_load_b64 s[2:3], s[0:1], 0xb8
	s_abs_i32 s33, s29
	s_delay_alu instid0(SALU_CYCLE_1) | instskip(NEXT) | instid1(SALU_CYCLE_3)
	s_cvt_f32_u32 s24, s33
	v_rcp_iflag_f32_e32 v1, s24
	s_wait_kmcnt 0x0
	s_cmp_eq_u64 s[10:11], 0
	s_delay_alu instid0(TRANS32_DEP_1)
	v_readfirstlane_b32 s27, v1
	s_cbranch_scc1 .LBB25_2
; %bb.1:
	s_abs_i32 s2, s2
	s_wait_alu 0xfffe
	s_cvt_f32_u32 s24, s2
	s_wait_alu 0xfffe
	s_delay_alu instid0(SALU_CYCLE_2) | instskip(NEXT) | instid1(TRANS32_DEP_1)
	v_rcp_iflag_f32_e32 v1, s24
	v_readfirstlane_b32 s24, v1
	s_mul_f32 s24, s24, 0x4f7ffffe
	s_wait_alu 0xfffe
	s_delay_alu instid0(SALU_CYCLE_2) | instskip(SKIP_2) | instid1(SALU_CYCLE_1)
	s_cvt_u32_f32 s26, s24
	s_sub_co_i32 s24, 0, s2
	s_wait_alu 0xfffe
	s_mul_i32 s24, s24, s26
	s_wait_alu 0xfffe
	s_mul_hi_u32 s31, s26, s24
	s_load_b64 s[24:25], s[0:1], 0xc8
	s_add_co_i32 s26, s26, s31
	s_delay_alu instid0(SALU_CYCLE_1) | instskip(NEXT) | instid1(SALU_CYCLE_1)
	s_mul_hi_u32 s26, s28, s26
	s_mul_i32 s26, s26, s2
	s_delay_alu instid0(SALU_CYCLE_1) | instskip(NEXT) | instid1(SALU_CYCLE_1)
	s_sub_co_i32 s26, s28, s26
	s_sub_co_i32 s31, s26, s2
	s_cmp_ge_u32 s26, s2
	s_cselect_b32 s26, s31, s26
	s_delay_alu instid0(SALU_CYCLE_1) | instskip(SKIP_2) | instid1(SALU_CYCLE_1)
	s_sub_co_i32 s31, s26, s2
	s_cmp_ge_u32 s26, s2
	s_cselect_b32 s36, s31, s26
	s_ashr_i32 s37, s36, 31
	s_wait_kmcnt 0x0
	s_mul_u64 s[24:25], s[24:25], s[36:37]
	s_wait_alu 0xfffe
	s_add_nc_u64 s[36:37], s[10:11], s[24:25]
.LBB25_2:
	v_bfe_u32 v9, v0, 10, 10
	s_load_b96 s[24:26], s[0:1], 0x70
	v_and_b32_e32 v17, 0x3ff, v0
	s_delay_alu instid0(VALU_DEP_2) | instskip(SKIP_1) | instid1(VALU_DEP_3)
	v_lshl_add_u32 v16, ttmp9, 3, v9
	v_mul_u32_u24_e32 v33, 0x1200, v9
	v_lshlrev_b32_e32 v32, 3, v17
	s_delay_alu instid0(VALU_DEP_3) | instskip(NEXT) | instid1(VALU_DEP_2)
	v_mul_hi_u32 v1, s20, v16
	v_mad_u32_u24 v15, 0x1200, v9, v32
	s_delay_alu instid0(VALU_DEP_2) | instskip(SKIP_3) | instid1(VALU_DEP_1)
	v_add_nc_u32_e32 v1, v16, v1
	s_wait_kmcnt 0x0
	s_ashr_i32 s11, s24, 31
	s_mov_b32 s10, s24
	v_lshrrev_b32_e32 v1, s21, v1
	s_lshr_b64 s[20:21], s[10:11], 2
	s_lshr_b32 s2, s11, 2
	s_mul_i32 s10, s28, s26
	s_delay_alu instid0(SALU_CYCLE_1) | instskip(SKIP_3) | instid1(VALU_DEP_1)
	s_ashr_i32 s11, s10, 31
	v_mul_lo_u32 v1, v1, s22
	s_add_nc_u64 s[4:5], s[4:5], s[10:11]
	s_load_b32 s10, s[0:1], 0x40
	v_sub_nc_u32_e32 v10, v16, v1
	s_delay_alu instid0(VALU_DEP_1)
	v_mad_co_u64_u32 v[1:2], null, s20, v10, 0
	s_mul_i32 s20, s30, s25
	s_wait_alu 0xfffe
	s_ashr_i32 s21, s20, 31
	s_wait_alu 0xfffe
	s_add_nc_u64 s[4:5], s[4:5], s[20:21]
	v_mad_co_u64_u32 v[2:3], null, s2, v10, v[2:3]
	s_delay_alu instid0(VALU_DEP_1) | instskip(SKIP_1) | instid1(VALU_DEP_2)
	v_lshlrev_b64_e32 v[0:1], 2, v[1:2]
	v_lshlrev_b32_e32 v2, 4, v17
	v_add_co_u32 v0, vcc_lo, s4, v0
	s_delay_alu instid0(VALU_DEP_1) | instskip(NEXT) | instid1(VALU_DEP_2)
	v_add_co_ci_u32_e64 v1, null, s5, v1, vcc_lo
	v_add_co_u32 v0, vcc_lo, v0, v2
	s_wait_alu 0xfffd
	s_delay_alu instid0(VALU_DEP_2)
	v_add_co_ci_u32_e64 v1, null, 0, v1, vcc_lo
	v_cmp_gt_u32_e32 vcc_lo, 16, v17
	s_clause 0x3
	global_load_b128 v[2:5], v[0:1], off
	global_load_b128 v[11:14], v[0:1], off offset:512
	global_load_b128 v[18:21], v[0:1], off offset:1024
	;; [unrolled: 1-line block ×3, first 2 shown]
	s_wait_loadcnt 0x3
	s_wait_kmcnt 0x0
	v_fma_mixlo_f16 v2, s10, v2, 0
	v_fma_mixlo_f16 v3, s10, v3, 0
	;; [unrolled: 1-line block ×4, first 2 shown]
	s_wait_loadcnt 0x2
	v_fma_mixlo_f16 v6, s10, v11, 0
	v_fma_mixlo_f16 v7, s10, v12, 0
	;; [unrolled: 1-line block ×4, first 2 shown]
	s_wait_loadcnt 0x1
	v_fma_mixlo_f16 v12, s10, v18, 0
	v_fma_mixlo_f16 v13, s10, v19, 0
	;; [unrolled: 1-line block ×3, first 2 shown]
	s_wait_loadcnt 0x0
	v_fma_mixlo_f16 v19, s10, v22, 0
	v_fma_mixlo_f16 v20, s10, v23, 0
	v_lshlrev_b32_e32 v3, 16, v3
	v_and_b32_e32 v2, 0xffff, v2
	v_lshlrev_b32_e32 v5, 16, v5
	v_and_b32_e32 v4, 0xffff, v4
	;; [unrolled: 2-line block ×3, first 2 shown]
	v_fma_mixlo_f16 v18, s10, v21, 0
	v_fma_mixlo_f16 v21, s10, v24, 0
	;; [unrolled: 1-line block ×3, first 2 shown]
	v_lshlrev_b32_e32 v11, 16, v11
	v_and_b32_e32 v8, 0xffff, v8
	v_lshlrev_b32_e32 v13, 16, v13
	v_and_b32_e32 v12, 0xffff, v12
	;; [unrolled: 2-line block ×3, first 2 shown]
	v_or_b32_e32 v2, v3, v2
	v_or3_b32 v3, v5, v4, 0
	v_or_b32_e32 v4, v7, v6
	v_lshlrev_b32_e32 v18, 16, v18
	v_and_b32_e32 v14, 0xffff, v14
	v_lshlrev_b32_e32 v22, 16, v22
	v_and_b32_e32 v21, 0xffff, v21
	v_or3_b32 v6, v11, v8, 0
	v_or_b32_e32 v7, v13, v12
	v_or_b32_e32 v11, v20, v19
	v_or3_b32 v2, 0, 0, v2
	v_or3_b32 v5, 0, 0, v4
	v_add_nc_u32_e32 v4, v32, v33
	v_or3_b32 v8, v18, v14, 0
	v_or3_b32 v12, v22, v21, 0
	;; [unrolled: 1-line block ×4, first 2 shown]
	ds_store_2addr_b64 v15, v[2:3], v[5:6] offset1:32
	ds_store_2addr_b64 v15, v[7:8], v[11:12] offset0:64 offset1:96
	s_and_saveexec_b32 s2, vcc_lo
	s_cbranch_execz .LBB25_4
; %bb.3:
	global_load_b128 v[5:8], v[0:1], off offset:2048
	s_wait_loadcnt 0x0
	v_fma_mixlo_f16 v2, s10, v6, 0
	v_fma_mixlo_f16 v3, s10, v5, 0
	;; [unrolled: 1-line block ×4, first 2 shown]
	s_delay_alu instid0(VALU_DEP_4) | instskip(NEXT) | instid1(VALU_DEP_4)
	v_lshlrev_b32_e32 v2, 16, v2
	v_and_b32_e32 v3, 0xffff, v3
	s_delay_alu instid0(VALU_DEP_4) | instskip(NEXT) | instid1(VALU_DEP_4)
	v_and_b32_e32 v5, 0xffff, v5
	v_lshlrev_b32_e32 v6, 16, v6
	s_delay_alu instid0(VALU_DEP_3) | instskip(NEXT) | instid1(VALU_DEP_2)
	v_or_b32_e32 v2, v2, v3
	v_or3_b32 v3, v6, v5, 0
	s_delay_alu instid0(VALU_DEP_2)
	v_or3_b32 v2, 0, 0, v2
	ds_store_b64 v4, v[2:3] offset:1024
.LBB25_4:
	s_wait_alu 0xfffe
	s_or_b32 exec_lo, exec_lo, s2
	s_and_b32 s2, s25, -4
	s_ashr_i32 s5, s25, 31
	s_wait_alu 0xfffe
	v_add_co_u32 v2, s2, v0, s2
	s_wait_alu 0xf1ff
	v_add_co_ci_u32_e64 v3, null, s5, v1, s2
	s_mov_b32 s4, s25
	s_clause 0x3
	global_load_b128 v[5:8], v[2:3], off
	global_load_b128 v[11:14], v[2:3], off offset:512
	global_load_b128 v[18:21], v[2:3], off offset:1024
	;; [unrolled: 1-line block ×3, first 2 shown]
	s_wait_alu 0xfffe
	s_lshr_b64 s[4:5], s[4:5], 2
	s_wait_loadcnt 0x3
	v_fma_mixlo_f16 v5, s10, v5, 0
	v_fma_mixlo_f16 v6, s10, v6, 0
	v_fma_mixlo_f16 v7, s10, v7, 0
	v_fma_mixlo_f16 v8, s10, v8, 0
	s_wait_loadcnt 0x2
	v_fma_mixlo_f16 v11, s10, v11, 0
	v_fma_mixlo_f16 v12, s10, v12, 0
	v_fma_mixlo_f16 v13, s10, v13, 0
	v_fma_mixlo_f16 v14, s10, v14, 0
	;; [unrolled: 5-line block ×3, first 2 shown]
	s_wait_loadcnt 0x0
	v_fma_mixlo_f16 v21, s10, v22, 0
	v_fma_mixlo_f16 v22, s10, v23, 0
	v_lshlrev_b32_e32 v6, 16, v6
	v_and_b32_e32 v5, 0xffff, v5
	v_lshlrev_b32_e32 v8, 16, v8
	v_and_b32_e32 v7, 0xffff, v7
	;; [unrolled: 2-line block ×3, first 2 shown]
	v_fma_mixlo_f16 v23, s10, v24, 0
	v_fma_mixlo_f16 v24, s10, v25, 0
	v_lshlrev_b32_e32 v14, 16, v14
	v_and_b32_e32 v13, 0xffff, v13
	v_lshlrev_b32_e32 v18, 16, v18
	v_and_b32_e32 v15, 0xffff, v15
	;; [unrolled: 2-line block ×3, first 2 shown]
	v_or_b32_e32 v5, v6, v5
	v_or3_b32 v6, v8, v7, 0
	v_or_b32_e32 v7, v12, v11
	v_lshlrev_b32_e32 v20, 16, v20
	v_and_b32_e32 v19, 0xffff, v19
	v_lshlrev_b32_e32 v24, 16, v24
	v_and_b32_e32 v23, 0xffff, v23
	v_or3_b32 v8, v14, v13, 0
	v_or_b32_e32 v11, v18, v15
	v_or_b32_e32 v13, v22, v21
	v_or3_b32 v5, 0, 0, v5
	v_or3_b32 v7, 0, 0, v7
	;; [unrolled: 1-line block ×6, first 2 shown]
	ds_store_2addr_b64 v4, v[5:6], v[7:8] offset0:144 offset1:176
	ds_store_2addr_b64 v4, v[11:12], v[13:14] offset0:208 offset1:240
	s_and_saveexec_b32 s2, vcc_lo
	s_cbranch_execz .LBB25_6
; %bb.5:
	global_load_b128 v[5:8], v[2:3], off offset:2048
	s_wait_loadcnt 0x0
	v_fma_mixlo_f16 v2, s10, v6, 0
	v_fma_mixlo_f16 v3, s10, v5, 0
	;; [unrolled: 1-line block ×4, first 2 shown]
	s_delay_alu instid0(VALU_DEP_4) | instskip(NEXT) | instid1(VALU_DEP_4)
	v_lshlrev_b32_e32 v2, 16, v2
	v_and_b32_e32 v3, 0xffff, v3
	s_delay_alu instid0(VALU_DEP_4) | instskip(NEXT) | instid1(VALU_DEP_4)
	v_and_b32_e32 v5, 0xffff, v5
	v_lshlrev_b32_e32 v6, 16, v6
	s_delay_alu instid0(VALU_DEP_3) | instskip(NEXT) | instid1(VALU_DEP_2)
	v_or_b32_e32 v2, v2, v3
	v_or3_b32 v3, v6, v5, 0
	s_delay_alu instid0(VALU_DEP_2)
	v_or3_b32 v2, 0, 0, v2
	ds_store_b64 v4, v[2:3] offset:2176
.LBB25_6:
	s_wait_alu 0xfffe
	s_or_b32 exec_lo, exec_lo, s2
	s_lshl_b64 s[20:21], s[4:5], 3
	v_add_nc_u32_e32 v5, 0x800, v4
	s_wait_alu 0xfffe
	v_add_co_u32 v2, s2, v0, s20
	s_wait_alu 0xf1ff
	v_add_co_ci_u32_e64 v3, null, s21, v1, s2
	s_clause 0x3
	global_load_b128 v[11:14], v[2:3], off
	global_load_b128 v[18:21], v[2:3], off offset:512
	global_load_b128 v[22:25], v[2:3], off offset:1024
	;; [unrolled: 1-line block ×3, first 2 shown]
	s_wait_loadcnt 0x3
	v_fma_mixlo_f16 v6, s10, v11, 0
	v_fma_mixlo_f16 v7, s10, v12, 0
	;; [unrolled: 1-line block ×4, first 2 shown]
	s_wait_loadcnt 0x2
	v_fma_mixlo_f16 v12, s10, v18, 0
	v_fma_mixlo_f16 v13, s10, v19, 0
	;; [unrolled: 1-line block ×4, first 2 shown]
	s_wait_loadcnt 0x1
	v_fma_mixlo_f16 v18, s10, v22, 0
	v_fma_mixlo_f16 v19, s10, v23, 0
	s_wait_loadcnt 0x0
	v_fma_mixlo_f16 v22, s10, v26, 0
	v_fma_mixlo_f16 v23, s10, v27, 0
	v_lshlrev_b32_e32 v7, 16, v7
	v_and_b32_e32 v6, 0xffff, v6
	v_lshlrev_b32_e32 v11, 16, v11
	v_and_b32_e32 v8, 0xffff, v8
	;; [unrolled: 2-line block ×3, first 2 shown]
	v_fma_mixlo_f16 v20, s10, v24, 0
	v_fma_mixlo_f16 v21, s10, v25, 0
	;; [unrolled: 1-line block ×4, first 2 shown]
	v_lshlrev_b32_e32 v15, 16, v15
	v_and_b32_e32 v14, 0xffff, v14
	v_lshlrev_b32_e32 v19, 16, v19
	v_and_b32_e32 v18, 0xffff, v18
	;; [unrolled: 2-line block ×3, first 2 shown]
	v_or_b32_e32 v6, v7, v6
	v_or3_b32 v7, v11, v8, 0
	v_or_b32_e32 v8, v13, v12
	v_lshlrev_b32_e32 v21, 16, v21
	v_and_b32_e32 v20, 0xffff, v20
	v_lshlrev_b32_e32 v25, 16, v25
	v_and_b32_e32 v24, 0xffff, v24
	v_or3_b32 v12, v15, v14, 0
	v_or_b32_e32 v13, v19, v18
	v_or_b32_e32 v15, v23, v22
	v_or3_b32 v6, 0, 0, v6
	v_or3_b32 v11, 0, 0, v8
	;; [unrolled: 1-line block ×6, first 2 shown]
	ds_store_2addr_b64 v5, v[6:7], v[11:12] offset0:32 offset1:64
	ds_store_2addr_b64 v5, v[13:14], v[18:19] offset0:96 offset1:128
	s_and_saveexec_b32 s2, vcc_lo
	s_cbranch_execz .LBB25_8
; %bb.7:
	global_load_b128 v[11:14], v[2:3], off offset:2048
	s_wait_loadcnt 0x0
	v_fma_mixlo_f16 v2, s10, v12, 0
	v_fma_mixlo_f16 v3, s10, v11, 0
	;; [unrolled: 1-line block ×4, first 2 shown]
	s_delay_alu instid0(VALU_DEP_4) | instskip(NEXT) | instid1(VALU_DEP_4)
	v_lshlrev_b32_e32 v2, 16, v2
	v_and_b32_e32 v3, 0xffff, v3
	s_delay_alu instid0(VALU_DEP_4) | instskip(NEXT) | instid1(VALU_DEP_4)
	v_and_b32_e32 v6, 0xffff, v6
	v_lshlrev_b32_e32 v7, 16, v7
	s_delay_alu instid0(VALU_DEP_3) | instskip(NEXT) | instid1(VALU_DEP_2)
	v_or_b32_e32 v2, v2, v3
	v_or3_b32 v3, v7, v6, 0
	s_delay_alu instid0(VALU_DEP_2)
	v_or3_b32 v2, 0, 0, v2
	ds_store_b64 v4, v[2:3] offset:3328
.LBB25_8:
	s_wait_alu 0xfffe
	s_or_b32 exec_lo, exec_lo, s2
	v_mad_co_u64_u32 v[0:1], null, s4, 12, v[0:1]
	v_add_nc_u32_e32 v8, 0xc00, v4
	s_delay_alu instid0(VALU_DEP_2)
	v_mad_co_u64_u32 v[1:2], null, s5, 12, v[1:2]
	s_clause 0x3
	global_load_b128 v[11:14], v[0:1], off
	global_load_b128 v[18:21], v[0:1], off offset:512
	global_load_b128 v[22:25], v[0:1], off offset:1024
	;; [unrolled: 1-line block ×3, first 2 shown]
	s_wait_loadcnt 0x3
	v_fma_mixlo_f16 v2, s10, v11, 0
	v_fma_mixlo_f16 v3, s10, v12, 0
	;; [unrolled: 1-line block ×4, first 2 shown]
	s_wait_loadcnt 0x2
	v_fma_mixlo_f16 v11, s10, v18, 0
	v_fma_mixlo_f16 v12, s10, v19, 0
	;; [unrolled: 1-line block ×4, first 2 shown]
	s_wait_loadcnt 0x1
	v_fma_mixlo_f16 v15, s10, v22, 0
	v_fma_mixlo_f16 v18, s10, v23, 0
	s_wait_loadcnt 0x0
	v_fma_mixlo_f16 v21, s10, v26, 0
	v_fma_mixlo_f16 v22, s10, v27, 0
	v_lshlrev_b32_e32 v3, 16, v3
	v_and_b32_e32 v2, 0xffff, v2
	v_lshlrev_b32_e32 v7, 16, v7
	v_and_b32_e32 v6, 0xffff, v6
	;; [unrolled: 2-line block ×3, first 2 shown]
	v_fma_mixlo_f16 v19, s10, v24, 0
	v_fma_mixlo_f16 v20, s10, v25, 0
	;; [unrolled: 1-line block ×4, first 2 shown]
	v_lshlrev_b32_e32 v14, 16, v14
	v_and_b32_e32 v13, 0xffff, v13
	v_lshlrev_b32_e32 v18, 16, v18
	v_and_b32_e32 v15, 0xffff, v15
	;; [unrolled: 2-line block ×3, first 2 shown]
	v_or_b32_e32 v2, v3, v2
	v_or3_b32 v3, v7, v6, 0
	v_or_b32_e32 v6, v12, v11
	v_lshlrev_b32_e32 v20, 16, v20
	v_and_b32_e32 v19, 0xffff, v19
	v_lshlrev_b32_e32 v24, 16, v24
	v_and_b32_e32 v23, 0xffff, v23
	v_or3_b32 v7, v14, v13, 0
	v_or_b32_e32 v11, v18, v15
	v_or_b32_e32 v13, v22, v21
	v_or3_b32 v2, 0, 0, v2
	v_or3_b32 v6, 0, 0, v6
	;; [unrolled: 1-line block ×6, first 2 shown]
	ds_store_2addr_b64 v5, v[2:3], v[6:7] offset0:176 offset1:208
	ds_store_2addr_b64 v8, v[11:12], v[13:14] offset0:112 offset1:144
	s_and_saveexec_b32 s2, vcc_lo
	s_cbranch_execz .LBB25_10
; %bb.9:
	global_load_b128 v[0:3], v[0:1], off offset:2048
	s_wait_loadcnt 0x0
	v_fma_mixlo_f16 v1, s10, v1, 0
	v_fma_mixlo_f16 v0, s10, v0, 0
	;; [unrolled: 1-line block ×4, first 2 shown]
	s_delay_alu instid0(VALU_DEP_4) | instskip(NEXT) | instid1(VALU_DEP_4)
	v_lshlrev_b32_e32 v1, 16, v1
	v_and_b32_e32 v0, 0xffff, v0
	s_delay_alu instid0(VALU_DEP_4) | instskip(NEXT) | instid1(VALU_DEP_4)
	v_and_b32_e32 v2, 0xffff, v2
	v_lshlrev_b32_e32 v3, 16, v3
	s_delay_alu instid0(VALU_DEP_3) | instskip(NEXT) | instid1(VALU_DEP_2)
	v_or_b32_e32 v0, v1, v0
	v_or3_b32 v1, v3, v2, 0
	s_delay_alu instid0(VALU_DEP_2)
	v_or3_b32 v0, 0, 0, v0
	ds_store_b64 v4, v[0:1] offset:4480
.LBB25_10:
	s_wait_alu 0xfffe
	s_or_b32 exec_lo, exec_lo, s2
	s_cmp_eq_u64 s[14:15], 0
	s_wait_dscnt 0x0
	s_barrier_signal -1
	s_barrier_wait -1
	global_inv scope:SCOPE_SE
	s_cbranch_scc1 .LBB25_12
; %bb.11:
	s_load_b32 s2, s[0:1], 0xd0
	s_mov_b32 s5, 0
	s_wait_kmcnt 0x0
	s_mul_i32 s2, s2, s28
	s_wait_alu 0xfffe
	s_add_co_i32 s4, s2, ttmp9
	s_wait_alu 0xfffe
	s_lshl_b64 s[4:5], s[4:5], 2
	s_wait_alu 0xfffe
	s_add_nc_u64 s[4:5], s[14:15], s[4:5]
	s_load_b32 s34, s[4:5], 0x0
.LBB25_12:
	s_and_b32 s2, ttmp7, 0xffff
	v_lshlrev_b32_e32 v31, 2, v17
	v_mbcnt_lo_u32_b32 v35, -1, 0
	s_wait_alu 0xfffe
	s_lshl_b32 s4, s2, 7
	s_wait_kmcnt 0x0
	s_wait_alu 0xfffe
	s_cmp_lt_i32 s4, s34
	s_cbranch_scc1 .LBB25_15
; %bb.13:
	v_mbcnt_lo_u32_b32 v13, -1, 0
	v_mov_b32_e32 v34, 32
	s_delay_alu instid0(VALU_DEP_2)
	v_xor_b32_e32 v8, 16, v13
	v_xor_b32_e32 v7, 8, v13
	;; [unrolled: 1-line block ×5, first 2 shown]
	s_mov_b32 s11, 0
	s_cbranch_execz .LBB25_16
; %bb.14:
	v_dual_mov_b32 v66, 0 :: v_dual_mov_b32 v3, 0xfeffffff
	v_dual_mov_b32 v12, 0 :: v_dual_mov_b32 v1, 0xfeffffff
	;; [unrolled: 1-line block ×20, first 2 shown]
	s_branch .LBB25_88
.LBB25_15:
                                        ; implicit-def: $vgpr13
                                        ; implicit-def: $vgpr34
                                        ; implicit-def: $vgpr8
                                        ; implicit-def: $vgpr7
                                        ; implicit-def: $vgpr6
                                        ; implicit-def: $vgpr5
                                        ; implicit-def: $vgpr4
	s_mov_b32 s11, 0
.LBB25_16:
	s_mul_f32 s5, s27, 0x4f7ffffe
	s_clause 0x1
	s_load_b128 s[24:27], s[0:1], 0x98
	s_load_b64 s[20:21], s[0:1], 0x8c
	s_sub_co_i32 s10, 0, s33
	s_abs_i32 s38, s30
	s_cvt_u32_f32 s5, s5
	s_mov_b32 s15, s39
	s_clause 0x1
	s_load_b32 s31, s[0:1], 0x54
	s_load_b64 s[40:41], s[0:1], 0xa8
	s_mul_i32 s10, s10, s5
	s_ashr_i32 s35, s30, 31
	s_wait_alu 0xfffe
	s_mul_hi_u32 s10, s5, s10
	v_lshrrev_b32_e32 v0, 3, v17
	s_wait_alu 0xfffe
	s_add_co_i32 s14, s5, s10
	s_ashr_i32 s5, s29, 31
	s_mul_u64 s[14:15], s[38:39], s[14:15]
	s_ashr_i32 s3, s3, 1
	s_mul_i32 s10, s15, s33
	s_wait_alu 0xfffe
	s_xor_b32 s5, s35, s5
	s_sub_co_i32 s10, s38, s10
	s_add_co_i32 s35, s15, 1
	s_wait_kmcnt 0x0
	s_ashr_i32 s14, s26, 2
	s_ashr_i32 s20, s20, 2
	s_wait_alu 0xfffe
	s_sub_co_i32 s26, s10, s33
	s_cmp_ge_u32 s10, s33
	v_lshl_add_u32 v1, v9, 2, v0
	s_cselect_b32 s15, s35, s15
	s_cselect_b32 s10, s26, s10
	s_add_co_i32 s26, s15, 1
	s_wait_alu 0xfffe
	s_cmp_ge_u32 s10, s33
	v_dual_mov_b32 v47, 0 :: v_dual_and_b32 v12, 28, v31
	s_cselect_b32 s10, s26, s15
	v_mul_lo_u32 v0, s20, v1
	s_mov_b32 s29, s11
	s_wait_alu 0xfffe
	s_xor_b32 s10, s10, s5
	v_dual_mov_b32 v87, 0xfeffffff :: v_dual_lshlrev_b32 v2, 2, v12
	s_mul_u64 s[24:25], s[24:25], s[28:29]
	s_wait_alu 0xfffe
	s_sub_co_i32 s5, s10, s5
	s_mul_u64 s[38:39], s[40:41], s[28:29]
	s_wait_alu 0xfffe
	s_mul_i32 s40, s5, s21
	s_add_nc_u64 s[6:7], s[6:7], s[24:25]
	s_mul_i32 s24, s5, s27
	s_lshl_b32 s5, s20, 5
	v_mad_u32_u24 v7, 0x90, v1, v2
	s_wait_alu 0xfffe
	v_dual_mov_b32 v51, 0 :: v_dual_add_nc_u32 v2, s5, v0
	v_mul_lo_u32 v8, s14, v9
	v_dual_mov_b32 v48, 0 :: v_dual_lshlrev_b32 v11, 10, v9
	s_delay_alu instid0(VALU_DEP_3) | instskip(SKIP_2) | instid1(VALU_DEP_3)
	v_dual_mov_b32 v53, 0 :: v_dual_add_nc_u32 v4, s5, v2
	v_mad_co_u64_u32 v[18:19], null, v10, s3, v[17:18]
	v_dual_mov_b32 v49, 0 :: v_dual_add_nc_u32 v36, 0x9000, v7
	v_dual_mov_b32 v59, 0 :: v_dual_add_nc_u32 v6, s5, v4
	v_lshl_add_u32 v10, s14, 3, v8
	v_ashrrev_i32_e32 v1, 31, v0
	v_dual_mov_b32 v34, 32 :: v_dual_add_nc_u32 v37, 0xa200, v7
	v_ashrrev_i32_e32 v3, 31, v2
	v_dual_mov_b32 v55, 0 :: v_dual_add_nc_u32 v38, 0xb400, v7
	;; [unrolled: 2-line block ×3, first 2 shown]
	v_ashrrev_i32_e32 v7, 31, v6
	v_lshl_add_u32 v13, v31, 2, v11
	v_dual_mov_b32 v50, 0 :: v_dual_add_nc_u32 v41, 0xd800, v11
	v_ashrrev_i32_e32 v9, 31, v8
	v_ashrrev_i32_e32 v11, 31, v10
	s_mov_b32 s10, 0x9000
	v_lshlrev_b64_e32 v[19:20], 2, v[0:1]
	v_lshlrev_b64_e32 v[21:22], 2, v[2:3]
	;; [unrolled: 1-line block ×6, first 2 shown]
	s_wait_alu 0xfffe
	v_mad_u32_u24 v40, 0x90, v17, s10
	v_dual_mov_b32 v61, 0 :: v_dual_add_nc_u32 v42, 0x9000, v13
	v_dual_mov_b32 v54, 0 :: v_dual_add_nc_u32 v43, 0x9200, v13
	;; [unrolled: 1-line block ×4, first 2 shown]
	v_dual_mov_b32 v65, 0 :: v_dual_lshlrev_b32 v46, 2, v12
	v_dual_mov_b32 v58, 0 :: v_dual_mov_b32 v69, 0
	v_dual_mov_b32 v60, 0 :: v_dual_mov_b32 v67, 0
	;; [unrolled: 1-line block ×10, first 2 shown]
	v_mov_b32_e32 v66, 0
	v_mov_b32_e32 v84, 0xfeffffff
	;; [unrolled: 1-line block ×5, first 2 shown]
	s_ashr_i32 s41, s40, 31
	s_add_nc_u64 s[8:9], s[8:9], s[38:39]
	s_ashr_i32 s25, s24, 31
	s_add_nc_u64 s[6:7], s[6:7], s[40:41]
	s_wait_alu 0xfffe
	s_add_nc_u64 s[8:9], s[8:9], s[24:25]
	s_ashr_i32 s21, s20, 31
	s_ashr_i32 s15, s14, 31
	s_add_nc_u64 s[24:25], s[0:1], 0xd0
	s_mov_b32 s3, 0xbbbac73d
.LBB25_17:                              ; =>This Loop Header: Depth=1
                                        ;     Child Loop BB25_19 Depth 2
	s_ashr_i32 s5, s4, 31
	v_dual_mov_b32 v99, 0 :: v_dual_mov_b32 v88, 0
	s_wait_alu 0xfffe
	s_mul_u64 s[26:27], s[4:5], s[20:21]
	v_dual_mov_b32 v97, 0 :: v_dual_mov_b32 v100, 0
	v_dual_mov_b32 v91, 0 :: v_dual_mov_b32 v98, 0
	v_dual_mov_b32 v93, 0 :: v_dual_mov_b32 v90, 0
	v_dual_mov_b32 v101, 0 :: v_dual_mov_b32 v94, 0
	v_dual_mov_b32 v95, 0 :: v_dual_mov_b32 v102, 0
	v_dual_mov_b32 v89, 0 :: v_dual_mov_b32 v96, 0
	v_dual_mov_b32 v92, 0 :: v_dual_mov_b32 v85, 0
	s_wait_alu 0xfffe
	s_lshl_b64 s[26:27], s[26:27], 2
	s_mov_b32 s29, s11
	s_wait_alu 0xfffe
	s_add_nc_u64 s[26:27], s[6:7], s[26:27]
	s_branch .LBB25_19
.LBB25_18:                              ;   in Loop: Header=BB25_19 Depth=2
	s_wait_alu 0xfffe
	s_and_not1_b32 vcc_lo, exec_lo, s10
	s_wait_alu 0xfffe
	s_cbranch_vccz .LBB25_21
.LBB25_19:                              ;   Parent Loop BB25_17 Depth=1
                                        ; =>  This Inner Loop Header: Depth=2
	s_lshr_b32 s10, s29, 1
	v_lshl_add_u32 v103, s29, 1, v33
	s_wait_alu 0xfffe
	s_lshl_b64 s[38:39], s[10:11], 2
	s_add_co_i32 s33, s29, 64
	s_wait_alu 0xfffe
	s_add_nc_u64 s[38:39], s[26:27], s[38:39]
	s_lshr_b32 s10, s33, 1
	s_wait_alu 0xfffe
	v_add_co_u32 v0, vcc_lo, s38, v19
	s_wait_alu 0xfffd
	v_add_co_ci_u32_e64 v1, null, s39, v20, vcc_lo
	v_add_co_u32 v2, vcc_lo, s38, v21
	s_wait_alu 0xfffd
	v_add_co_ci_u32_e64 v3, null, s39, v22, vcc_lo
	;; [unrolled: 3-line block ×8, first 2 shown]
	s_clause 0x3
	global_load_b128 v[0:3], v[0:1], off
	global_load_b128 v[4:7], v[4:5], off
	;; [unrolled: 1-line block ×4, first 2 shown]
	s_lshl_b64 s[38:39], s[10:11], 2
	s_wait_loadcnt 0x3
	ds_store_b128 v36, v[0:3]
	s_wait_loadcnt 0x2
	ds_store_b128 v37, v[4:7]
	;; [unrolled: 2-line block ×4, first 2 shown]
	s_wait_dscnt 0x0
	s_barrier_signal -1
	s_barrier_wait -1
	global_inv scope:SCOPE_SE
	ds_load_b128 v[0:3], v40
	ds_load_b128 v[4:7], v103
	ds_load_b128 v[8:11], v103 offset:1152
	ds_load_b128 v[12:15], v103 offset:2304
	;; [unrolled: 1-line block ×6, first 2 shown]
	s_wait_dscnt 0x6
	;;#ASMSTART
	v_dot2_f32_f16 v99, v0, v4, v99
	;;#ASMEND
	;;#ASMSTART
	v_dot2_f32_f16 v99, v1, v5, v99
	;;#ASMEND
	;;#ASMSTART
	v_dot2_f32_f16 v99, v2, v6, v99
	;;#ASMEND
	;;#ASMSTART
	v_dot2_f32_f16 v99, v3, v7, v99
	;;#ASMEND
	s_wait_dscnt 0x5
	;;#ASMSTART
	v_dot2_f32_f16 v97, v0, v8, v97
	;;#ASMEND
	;;#ASMSTART
	v_dot2_f32_f16 v97, v1, v9, v97
	;;#ASMEND
	;;#ASMSTART
	v_dot2_f32_f16 v97, v2, v10, v97
	;;#ASMEND
	;;#ASMSTART
	v_dot2_f32_f16 v97, v3, v11, v97
	;;#ASMEND
	;; [unrolled: 13-line block ×5, first 2 shown]
	;;#ASMSTART
	v_dot2_f32_f16 v98, v108, v8, v98
	;;#ASMEND
	;;#ASMSTART
	v_dot2_f32_f16 v98, v109, v9, v98
	;;#ASMEND
	;; [unrolled: 3-line block ×12, first 2 shown]
	s_wait_dscnt 0x1
	;;#ASMSTART
	v_dot2_f32_f16 v101, v112, v4, v101
	;;#ASMEND
	;;#ASMSTART
	v_dot2_f32_f16 v101, v113, v5, v101
	;;#ASMEND
	;; [unrolled: 3-line block ×16, first 2 shown]
	s_wait_dscnt 0x0
	;;#ASMSTART
	v_dot2_f32_f16 v102, v116, v4, v102
	;;#ASMEND
	;;#ASMSTART
	v_dot2_f32_f16 v102, v117, v5, v102
	;;#ASMEND
	;; [unrolled: 3-line block ×16, first 2 shown]
	ds_load_b128 v[0:3], v40 offset:16
	ds_load_b128 v[4:7], v103 offset:16
	;; [unrolled: 1-line block ×8, first 2 shown]
	s_wait_dscnt 0x6
	;;#ASMSTART
	v_dot2_f32_f16 v99, v0, v4, v99
	;;#ASMEND
	;;#ASMSTART
	v_dot2_f32_f16 v99, v1, v5, v99
	;;#ASMEND
	;;#ASMSTART
	v_dot2_f32_f16 v99, v2, v6, v99
	;;#ASMEND
	;;#ASMSTART
	v_dot2_f32_f16 v99, v3, v7, v99
	;;#ASMEND
	s_wait_dscnt 0x5
	;;#ASMSTART
	v_dot2_f32_f16 v97, v0, v8, v97
	;;#ASMEND
	;;#ASMSTART
	v_dot2_f32_f16 v97, v1, v9, v97
	;;#ASMEND
	;;#ASMSTART
	v_dot2_f32_f16 v97, v2, v10, v97
	;;#ASMEND
	;;#ASMSTART
	v_dot2_f32_f16 v97, v3, v11, v97
	;;#ASMEND
	;; [unrolled: 13-line block ×5, first 2 shown]
	;;#ASMSTART
	v_dot2_f32_f16 v98, v108, v8, v98
	;;#ASMEND
	;;#ASMSTART
	v_dot2_f32_f16 v98, v109, v9, v98
	;;#ASMEND
	;; [unrolled: 3-line block ×12, first 2 shown]
	s_wait_dscnt 0x1
	;;#ASMSTART
	v_dot2_f32_f16 v101, v112, v4, v101
	;;#ASMEND
	;;#ASMSTART
	v_dot2_f32_f16 v101, v113, v5, v101
	;;#ASMEND
	;; [unrolled: 3-line block ×16, first 2 shown]
	s_wait_dscnt 0x0
	;;#ASMSTART
	v_dot2_f32_f16 v102, v116, v4, v102
	;;#ASMEND
	;;#ASMSTART
	v_dot2_f32_f16 v102, v117, v5, v102
	;;#ASMEND
	;; [unrolled: 3-line block ×16, first 2 shown]
	ds_load_b128 v[0:3], v40 offset:32
	ds_load_b128 v[4:7], v103 offset:32
	ds_load_b128 v[8:11], v103 offset:1184
	ds_load_b128 v[12:15], v103 offset:2336
	ds_load_b128 v[104:107], v103 offset:3488
	ds_load_b128 v[108:111], v40 offset:4640
	ds_load_b128 v[112:115], v40 offset:9248
	ds_load_b128 v[116:119], v40 offset:13856
	s_wait_dscnt 0x6
	;;#ASMSTART
	v_dot2_f32_f16 v99, v0, v4, v99
	;;#ASMEND
	;;#ASMSTART
	v_dot2_f32_f16 v99, v1, v5, v99
	;;#ASMEND
	;;#ASMSTART
	v_dot2_f32_f16 v99, v2, v6, v99
	;;#ASMEND
	;;#ASMSTART
	v_dot2_f32_f16 v99, v3, v7, v99
	;;#ASMEND
	s_wait_dscnt 0x5
	;;#ASMSTART
	v_dot2_f32_f16 v97, v0, v8, v97
	;;#ASMEND
	;;#ASMSTART
	v_dot2_f32_f16 v97, v1, v9, v97
	;;#ASMEND
	;;#ASMSTART
	v_dot2_f32_f16 v97, v2, v10, v97
	;;#ASMEND
	;;#ASMSTART
	v_dot2_f32_f16 v97, v3, v11, v97
	;;#ASMEND
	;; [unrolled: 13-line block ×5, first 2 shown]
	;;#ASMSTART
	v_dot2_f32_f16 v98, v108, v8, v98
	;;#ASMEND
	;;#ASMSTART
	v_dot2_f32_f16 v98, v109, v9, v98
	;;#ASMEND
	;; [unrolled: 3-line block ×12, first 2 shown]
	s_wait_dscnt 0x1
	;;#ASMSTART
	v_dot2_f32_f16 v101, v112, v4, v101
	;;#ASMEND
	;;#ASMSTART
	v_dot2_f32_f16 v101, v113, v5, v101
	;;#ASMEND
	;; [unrolled: 3-line block ×16, first 2 shown]
	s_wait_dscnt 0x0
	;;#ASMSTART
	v_dot2_f32_f16 v102, v116, v4, v102
	;;#ASMEND
	;;#ASMSTART
	v_dot2_f32_f16 v102, v117, v5, v102
	;;#ASMEND
	;; [unrolled: 3-line block ×16, first 2 shown]
	ds_load_b128 v[0:3], v40 offset:48
	ds_load_b128 v[4:7], v103 offset:48
	;; [unrolled: 1-line block ×8, first 2 shown]
	s_wait_dscnt 0x6
	;;#ASMSTART
	v_dot2_f32_f16 v99, v0, v4, v99
	;;#ASMEND
	;;#ASMSTART
	v_dot2_f32_f16 v99, v1, v5, v99
	;;#ASMEND
	;;#ASMSTART
	v_dot2_f32_f16 v99, v2, v6, v99
	;;#ASMEND
	;;#ASMSTART
	v_dot2_f32_f16 v99, v3, v7, v99
	;;#ASMEND
	s_wait_dscnt 0x5
	;;#ASMSTART
	v_dot2_f32_f16 v97, v0, v8, v97
	;;#ASMEND
	;;#ASMSTART
	v_dot2_f32_f16 v97, v1, v9, v97
	;;#ASMEND
	;;#ASMSTART
	v_dot2_f32_f16 v97, v2, v10, v97
	;;#ASMEND
	;;#ASMSTART
	v_dot2_f32_f16 v97, v3, v11, v97
	;;#ASMEND
	;; [unrolled: 13-line block ×5, first 2 shown]
	;;#ASMSTART
	v_dot2_f32_f16 v98, v108, v8, v98
	;;#ASMEND
	;;#ASMSTART
	v_dot2_f32_f16 v98, v109, v9, v98
	;;#ASMEND
	;; [unrolled: 3-line block ×12, first 2 shown]
	s_wait_dscnt 0x1
	;;#ASMSTART
	v_dot2_f32_f16 v101, v112, v4, v101
	;;#ASMEND
	;;#ASMSTART
	v_dot2_f32_f16 v101, v113, v5, v101
	;;#ASMEND
	;; [unrolled: 3-line block ×16, first 2 shown]
	s_wait_dscnt 0x0
	;;#ASMSTART
	v_dot2_f32_f16 v102, v116, v4, v102
	;;#ASMEND
	;;#ASMSTART
	v_dot2_f32_f16 v102, v117, v5, v102
	;;#ASMEND
	;; [unrolled: 3-line block ×16, first 2 shown]
	ds_load_b128 v[0:3], v40 offset:64
	ds_load_b128 v[4:7], v103 offset:64
	;; [unrolled: 1-line block ×8, first 2 shown]
	s_wait_dscnt 0x6
	;;#ASMSTART
	v_dot2_f32_f16 v99, v0, v4, v99
	;;#ASMEND
	;;#ASMSTART
	v_dot2_f32_f16 v99, v1, v5, v99
	;;#ASMEND
	;;#ASMSTART
	v_dot2_f32_f16 v99, v2, v6, v99
	;;#ASMEND
	;;#ASMSTART
	v_dot2_f32_f16 v99, v3, v7, v99
	;;#ASMEND
	s_wait_dscnt 0x5
	;;#ASMSTART
	v_dot2_f32_f16 v97, v0, v8, v97
	;;#ASMEND
	;;#ASMSTART
	v_dot2_f32_f16 v97, v1, v9, v97
	;;#ASMEND
	;;#ASMSTART
	v_dot2_f32_f16 v97, v2, v10, v97
	;;#ASMEND
	;;#ASMSTART
	v_dot2_f32_f16 v97, v3, v11, v97
	;;#ASMEND
	;; [unrolled: 13-line block ×5, first 2 shown]
	;;#ASMSTART
	v_dot2_f32_f16 v98, v108, v8, v98
	;;#ASMEND
	;;#ASMSTART
	v_dot2_f32_f16 v98, v109, v9, v98
	;;#ASMEND
	;; [unrolled: 3-line block ×12, first 2 shown]
	s_wait_dscnt 0x1
	;;#ASMSTART
	v_dot2_f32_f16 v101, v112, v4, v101
	;;#ASMEND
	;;#ASMSTART
	v_dot2_f32_f16 v101, v113, v5, v101
	;;#ASMEND
	;; [unrolled: 3-line block ×16, first 2 shown]
	s_wait_dscnt 0x0
	;;#ASMSTART
	v_dot2_f32_f16 v102, v116, v4, v102
	;;#ASMEND
	;;#ASMSTART
	v_dot2_f32_f16 v102, v117, v5, v102
	;;#ASMEND
	;; [unrolled: 3-line block ×16, first 2 shown]
	ds_load_b128 v[12:15], v40 offset:80
	ds_load_b128 v[0:3], v103 offset:80
	;; [unrolled: 1-line block ×8, first 2 shown]
	s_wait_dscnt 0x6
	;;#ASMSTART
	v_dot2_f32_f16 v99, v12, v0, v99
	;;#ASMEND
	;;#ASMSTART
	v_dot2_f32_f16 v99, v13, v1, v99
	;;#ASMEND
	;;#ASMSTART
	v_dot2_f32_f16 v99, v14, v2, v99
	;;#ASMEND
	;;#ASMSTART
	v_dot2_f32_f16 v99, v15, v3, v99
	;;#ASMEND
	s_wait_dscnt 0x5
	;;#ASMSTART
	v_dot2_f32_f16 v97, v12, v4, v97
	;;#ASMEND
	;;#ASMSTART
	v_dot2_f32_f16 v97, v13, v5, v97
	;;#ASMEND
	;;#ASMSTART
	v_dot2_f32_f16 v97, v14, v6, v97
	;;#ASMEND
	;;#ASMSTART
	v_dot2_f32_f16 v97, v15, v7, v97
	;;#ASMEND
	;; [unrolled: 13-line block ×5, first 2 shown]
	;;#ASMSTART
	v_dot2_f32_f16 v98, v108, v4, v98
	;;#ASMEND
	;;#ASMSTART
	v_dot2_f32_f16 v98, v109, v5, v98
	;;#ASMEND
	;; [unrolled: 3-line block ×12, first 2 shown]
	s_wait_dscnt 0x1
	;;#ASMSTART
	v_dot2_f32_f16 v101, v112, v0, v101
	;;#ASMEND
	;;#ASMSTART
	v_dot2_f32_f16 v101, v113, v1, v101
	;;#ASMEND
	;; [unrolled: 3-line block ×16, first 2 shown]
	s_wait_dscnt 0x0
	;;#ASMSTART
	v_dot2_f32_f16 v102, v116, v0, v102
	;;#ASMEND
	;;#ASMSTART
	v_dot2_f32_f16 v102, v117, v1, v102
	;;#ASMEND
	;; [unrolled: 3-line block ×16, first 2 shown]
	ds_load_b128 v[0:3], v40 offset:96
	ds_load_b128 v[4:7], v103 offset:96
	;; [unrolled: 1-line block ×8, first 2 shown]
	s_wait_dscnt 0x6
	;;#ASMSTART
	v_dot2_f32_f16 v99, v0, v4, v99
	;;#ASMEND
	;;#ASMSTART
	v_dot2_f32_f16 v99, v1, v5, v99
	;;#ASMEND
	;;#ASMSTART
	v_dot2_f32_f16 v99, v2, v6, v99
	;;#ASMEND
	;;#ASMSTART
	v_dot2_f32_f16 v99, v3, v7, v99
	;;#ASMEND
	s_wait_dscnt 0x5
	;;#ASMSTART
	v_dot2_f32_f16 v97, v0, v8, v97
	;;#ASMEND
	;;#ASMSTART
	v_dot2_f32_f16 v97, v1, v9, v97
	;;#ASMEND
	;;#ASMSTART
	v_dot2_f32_f16 v97, v2, v10, v97
	;;#ASMEND
	;;#ASMSTART
	v_dot2_f32_f16 v97, v3, v11, v97
	;;#ASMEND
	;; [unrolled: 13-line block ×5, first 2 shown]
	;;#ASMSTART
	v_dot2_f32_f16 v98, v108, v8, v98
	;;#ASMEND
	;;#ASMSTART
	v_dot2_f32_f16 v98, v109, v9, v98
	;;#ASMEND
	;; [unrolled: 3-line block ×12, first 2 shown]
	s_wait_dscnt 0x1
	;;#ASMSTART
	v_dot2_f32_f16 v101, v112, v4, v101
	;;#ASMEND
	;;#ASMSTART
	v_dot2_f32_f16 v101, v113, v5, v101
	;;#ASMEND
	;; [unrolled: 3-line block ×16, first 2 shown]
	s_wait_dscnt 0x0
	;;#ASMSTART
	v_dot2_f32_f16 v102, v116, v4, v102
	;;#ASMEND
	;;#ASMSTART
	v_dot2_f32_f16 v102, v117, v5, v102
	;;#ASMEND
	;; [unrolled: 3-line block ×16, first 2 shown]
	ds_load_b128 v[0:3], v40 offset:112
	ds_load_b128 v[4:7], v103 offset:112
	;; [unrolled: 1-line block ×8, first 2 shown]
	s_wait_dscnt 0x6
	;;#ASMSTART
	v_dot2_f32_f16 v99, v0, v4, v99
	;;#ASMEND
	;;#ASMSTART
	v_dot2_f32_f16 v99, v1, v5, v99
	;;#ASMEND
	;;#ASMSTART
	v_dot2_f32_f16 v99, v2, v6, v99
	;;#ASMEND
	;;#ASMSTART
	v_dot2_f32_f16 v99, v3, v7, v99
	;;#ASMEND
	s_wait_dscnt 0x5
	;;#ASMSTART
	v_dot2_f32_f16 v97, v0, v8, v97
	;;#ASMEND
	;;#ASMSTART
	v_dot2_f32_f16 v97, v1, v9, v97
	;;#ASMEND
	;;#ASMSTART
	v_dot2_f32_f16 v97, v2, v10, v97
	;;#ASMEND
	;;#ASMSTART
	v_dot2_f32_f16 v97, v3, v11, v97
	;;#ASMEND
	;; [unrolled: 13-line block ×5, first 2 shown]
	;;#ASMSTART
	v_dot2_f32_f16 v98, v107, v8, v98
	;;#ASMEND
	;;#ASMSTART
	v_dot2_f32_f16 v98, v108, v9, v98
	;;#ASMEND
	;;#ASMSTART
	v_dot2_f32_f16 v98, v109, v10, v98
	;;#ASMEND
	;;#ASMSTART
	v_dot2_f32_f16 v98, v110, v11, v98
	;;#ASMEND
	;;#ASMSTART
	v_dot2_f32_f16 v93, v107, v12, v93
	;;#ASMEND
	;;#ASMSTART
	v_dot2_f32_f16 v93, v108, v13, v93
	;;#ASMEND
	;;#ASMSTART
	v_dot2_f32_f16 v93, v109, v14, v93
	;;#ASMEND
	;;#ASMSTART
	v_dot2_f32_f16 v93, v110, v15, v93
	;;#ASMEND
	;;#ASMSTART
	v_dot2_f32_f16 v90, v107, v103, v90
	;;#ASMEND
	;;#ASMSTART
	v_dot2_f32_f16 v90, v108, v104, v90
	;;#ASMEND
	;;#ASMSTART
	v_dot2_f32_f16 v90, v109, v105, v90
	;;#ASMEND
	;;#ASMSTART
	v_dot2_f32_f16 v90, v110, v106, v90
	;;#ASMEND
	s_wait_dscnt 0x1
	;;#ASMSTART
	v_dot2_f32_f16 v101, v111, v4, v101
	;;#ASMEND
	;;#ASMSTART
	v_dot2_f32_f16 v101, v112, v5, v101
	;;#ASMEND
	;; [unrolled: 3-line block ×5, first 2 shown]
	s_wait_alu 0xfffe
	s_add_nc_u64 s[38:39], s[26:27], s[38:39]
	;;#ASMSTART
	v_dot2_f32_f16 v95, v112, v9, v95
	;;#ASMEND
	;;#ASMSTART
	v_dot2_f32_f16 v95, v113, v10, v95
	;;#ASMEND
	s_wait_alu 0xfffe
	v_add_co_u32 v120, vcc_lo, s38, v19
	;;#ASMSTART
	v_dot2_f32_f16 v95, v114, v11, v95
	;;#ASMEND
	;;#ASMSTART
	v_dot2_f32_f16 v94, v111, v12, v94
	;;#ASMEND
	;; [unrolled: 3-line block ×3, first 2 shown]
	s_wait_alu 0xfffd
	v_add_co_ci_u32_e64 v121, null, s39, v20, vcc_lo
	v_add_co_u32 v122, vcc_lo, s38, v21
	;;#ASMSTART
	v_dot2_f32_f16 v94, v113, v14, v94
	;;#ASMEND
	;;#ASMSTART
	v_dot2_f32_f16 v94, v114, v15, v94
	;;#ASMEND
	;; [unrolled: 3-line block ×3, first 2 shown]
	s_wait_alu 0xfffd
	v_add_co_ci_u32_e64 v123, null, s39, v22, vcc_lo
	v_add_co_u32 v124, vcc_lo, s38, v23
	;;#ASMSTART
	v_dot2_f32_f16 v89, v112, v104, v89
	;;#ASMEND
	;;#ASMSTART
	v_dot2_f32_f16 v89, v113, v105, v89
	;;#ASMEND
	s_wait_alu 0xfffd
	v_add_co_ci_u32_e64 v125, null, s39, v24, vcc_lo
	v_add_co_u32 v126, vcc_lo, s38, v25
	;;#ASMSTART
	v_dot2_f32_f16 v89, v114, v106, v89
	;;#ASMEND
	s_wait_dscnt 0x0
	;;#ASMSTART
	v_dot2_f32_f16 v102, v115, v4, v102
	;;#ASMEND
	;;#ASMSTART
	v_dot2_f32_f16 v102, v116, v5, v102
	;;#ASMEND
	s_wait_alu 0xfffd
	v_add_co_ci_u32_e64 v127, null, s39, v26, vcc_lo
	v_add_co_u32 v119, vcc_lo, v120, v46
	;;#ASMSTART
	v_dot2_f32_f16 v102, v117, v6, v102
	;;#ASMEND
	;;#ASMSTART
	v_dot2_f32_f16 v102, v118, v7, v102
	;;#ASMEND
	;; [unrolled: 3-line block ×3, first 2 shown]
	s_wait_alu 0xfffd
	v_add_co_ci_u32_e64 v120, null, 0, v121, vcc_lo
	v_add_co_u32 v121, vcc_lo, v122, v46
	;;#ASMSTART
	v_dot2_f32_f16 v96, v116, v9, v96
	;;#ASMEND
	;;#ASMSTART
	v_dot2_f32_f16 v96, v117, v10, v96
	;;#ASMEND
	s_wait_alu 0xfffd
	v_add_co_ci_u32_e64 v122, null, 0, v123, vcc_lo
	v_add_co_u32 v123, vcc_lo, v124, v46
	;;#ASMSTART
	v_dot2_f32_f16 v96, v118, v11, v96
	;;#ASMEND
	;;#ASMSTART
	v_dot2_f32_f16 v92, v115, v12, v92
	;;#ASMEND
	;; [unrolled: 3-line block ×3, first 2 shown]
	s_wait_alu 0xfffd
	v_add_co_ci_u32_e64 v124, null, 0, v125, vcc_lo
	v_add_co_u32 v125, vcc_lo, v126, v46
	;;#ASMSTART
	v_dot2_f32_f16 v92, v117, v14, v92
	;;#ASMEND
	;;#ASMSTART
	v_dot2_f32_f16 v92, v118, v15, v92
	;;#ASMEND
	;; [unrolled: 3-line block ×3, first 2 shown]
	s_wait_alu 0xfffd
	v_add_co_ci_u32_e64 v126, null, 0, v127, vcc_lo
	;;#ASMSTART
	v_dot2_f32_f16 v85, v116, v104, v85
	;;#ASMEND
	;;#ASMSTART
	v_dot2_f32_f16 v85, v117, v105, v85
	;;#ASMEND
	;; [unrolled: 3-line block ×3, first 2 shown]
	s_wait_loadcnt 0x0
	s_barrier_signal -1
	s_barrier_wait -1
	global_inv scope:SCOPE_SE
	s_clause 0x3
	global_load_b128 v[0:3], v[119:120], off
	global_load_b128 v[4:7], v[121:122], off
	global_load_b128 v[8:11], v[123:124], off
	global_load_b128 v[12:15], v[125:126], off
	v_lshl_add_u32 v103, s33, 1, v33
	s_add_co_i32 s33, s29, 0x80
	s_wait_loadcnt 0x3
	ds_store_b128 v36, v[0:3]
	s_wait_loadcnt 0x2
	ds_store_b128 v37, v[4:7]
	;; [unrolled: 2-line block ×4, first 2 shown]
	s_wait_dscnt 0x0
	s_barrier_signal -1
	s_barrier_wait -1
	global_inv scope:SCOPE_SE
	ds_load_b128 v[0:3], v40
	ds_load_b128 v[4:7], v103
	ds_load_b128 v[8:11], v103 offset:1152
	ds_load_b128 v[12:15], v103 offset:2304
	;; [unrolled: 1-line block ×6, first 2 shown]
	s_wait_dscnt 0x6
	;;#ASMSTART
	v_dot2_f32_f16 v99, v0, v4, v99
	;;#ASMEND
	;;#ASMSTART
	v_dot2_f32_f16 v99, v1, v5, v99
	;;#ASMEND
	;;#ASMSTART
	v_dot2_f32_f16 v99, v2, v6, v99
	;;#ASMEND
	;;#ASMSTART
	v_dot2_f32_f16 v99, v3, v7, v99
	;;#ASMEND
	s_wait_dscnt 0x5
	;;#ASMSTART
	v_dot2_f32_f16 v97, v0, v8, v97
	;;#ASMEND
	;;#ASMSTART
	v_dot2_f32_f16 v97, v1, v9, v97
	;;#ASMEND
	;;#ASMSTART
	v_dot2_f32_f16 v97, v2, v10, v97
	;;#ASMEND
	;;#ASMSTART
	v_dot2_f32_f16 v97, v3, v11, v97
	;;#ASMEND
	;; [unrolled: 13-line block ×5, first 2 shown]
	;;#ASMSTART
	v_dot2_f32_f16 v98, v108, v8, v98
	;;#ASMEND
	;;#ASMSTART
	v_dot2_f32_f16 v98, v109, v9, v98
	;;#ASMEND
	;; [unrolled: 3-line block ×12, first 2 shown]
	s_wait_dscnt 0x1
	;;#ASMSTART
	v_dot2_f32_f16 v101, v112, v4, v101
	;;#ASMEND
	;;#ASMSTART
	v_dot2_f32_f16 v101, v113, v5, v101
	;;#ASMEND
	;; [unrolled: 3-line block ×16, first 2 shown]
	s_wait_dscnt 0x0
	;;#ASMSTART
	v_dot2_f32_f16 v102, v116, v4, v102
	;;#ASMEND
	;;#ASMSTART
	v_dot2_f32_f16 v102, v117, v5, v102
	;;#ASMEND
	;; [unrolled: 3-line block ×16, first 2 shown]
	ds_load_b128 v[0:3], v40 offset:16
	ds_load_b128 v[4:7], v103 offset:16
	;; [unrolled: 1-line block ×8, first 2 shown]
	s_wait_dscnt 0x6
	;;#ASMSTART
	v_dot2_f32_f16 v99, v0, v4, v99
	;;#ASMEND
	;;#ASMSTART
	v_dot2_f32_f16 v99, v1, v5, v99
	;;#ASMEND
	;;#ASMSTART
	v_dot2_f32_f16 v99, v2, v6, v99
	;;#ASMEND
	;;#ASMSTART
	v_dot2_f32_f16 v99, v3, v7, v99
	;;#ASMEND
	s_wait_dscnt 0x5
	;;#ASMSTART
	v_dot2_f32_f16 v97, v0, v8, v97
	;;#ASMEND
	;;#ASMSTART
	v_dot2_f32_f16 v97, v1, v9, v97
	;;#ASMEND
	;;#ASMSTART
	v_dot2_f32_f16 v97, v2, v10, v97
	;;#ASMEND
	;;#ASMSTART
	v_dot2_f32_f16 v97, v3, v11, v97
	;;#ASMEND
	;; [unrolled: 13-line block ×5, first 2 shown]
	;;#ASMSTART
	v_dot2_f32_f16 v98, v108, v8, v98
	;;#ASMEND
	;;#ASMSTART
	v_dot2_f32_f16 v98, v109, v9, v98
	;;#ASMEND
	;;#ASMSTART
	v_dot2_f32_f16 v98, v110, v10, v98
	;;#ASMEND
	;;#ASMSTART
	v_dot2_f32_f16 v98, v111, v11, v98
	;;#ASMEND
	;;#ASMSTART
	v_dot2_f32_f16 v93, v108, v12, v93
	;;#ASMEND
	;;#ASMSTART
	v_dot2_f32_f16 v93, v109, v13, v93
	;;#ASMEND
	;;#ASMSTART
	v_dot2_f32_f16 v93, v110, v14, v93
	;;#ASMEND
	;;#ASMSTART
	v_dot2_f32_f16 v93, v111, v15, v93
	;;#ASMEND
	;;#ASMSTART
	v_dot2_f32_f16 v90, v108, v104, v90
	;;#ASMEND
	;;#ASMSTART
	v_dot2_f32_f16 v90, v109, v105, v90
	;;#ASMEND
	;;#ASMSTART
	v_dot2_f32_f16 v90, v110, v106, v90
	;;#ASMEND
	;;#ASMSTART
	v_dot2_f32_f16 v90, v111, v107, v90
	;;#ASMEND
	s_wait_dscnt 0x1
	;;#ASMSTART
	v_dot2_f32_f16 v101, v112, v4, v101
	;;#ASMEND
	;;#ASMSTART
	v_dot2_f32_f16 v101, v113, v5, v101
	;;#ASMEND
	;; [unrolled: 3-line block ×16, first 2 shown]
	s_wait_dscnt 0x0
	;;#ASMSTART
	v_dot2_f32_f16 v102, v116, v4, v102
	;;#ASMEND
	;;#ASMSTART
	v_dot2_f32_f16 v102, v117, v5, v102
	;;#ASMEND
	;; [unrolled: 3-line block ×16, first 2 shown]
	ds_load_b128 v[0:3], v40 offset:32
	ds_load_b128 v[4:7], v103 offset:32
	;; [unrolled: 1-line block ×8, first 2 shown]
	s_wait_dscnt 0x6
	;;#ASMSTART
	v_dot2_f32_f16 v99, v0, v4, v99
	;;#ASMEND
	;;#ASMSTART
	v_dot2_f32_f16 v99, v1, v5, v99
	;;#ASMEND
	;;#ASMSTART
	v_dot2_f32_f16 v99, v2, v6, v99
	;;#ASMEND
	;;#ASMSTART
	v_dot2_f32_f16 v99, v3, v7, v99
	;;#ASMEND
	s_wait_dscnt 0x5
	;;#ASMSTART
	v_dot2_f32_f16 v97, v0, v8, v97
	;;#ASMEND
	;;#ASMSTART
	v_dot2_f32_f16 v97, v1, v9, v97
	;;#ASMEND
	;;#ASMSTART
	v_dot2_f32_f16 v97, v2, v10, v97
	;;#ASMEND
	;;#ASMSTART
	v_dot2_f32_f16 v97, v3, v11, v97
	;;#ASMEND
	;; [unrolled: 13-line block ×5, first 2 shown]
	;;#ASMSTART
	v_dot2_f32_f16 v98, v108, v8, v98
	;;#ASMEND
	;;#ASMSTART
	v_dot2_f32_f16 v98, v109, v9, v98
	;;#ASMEND
	;; [unrolled: 3-line block ×12, first 2 shown]
	s_wait_dscnt 0x1
	;;#ASMSTART
	v_dot2_f32_f16 v101, v112, v4, v101
	;;#ASMEND
	;;#ASMSTART
	v_dot2_f32_f16 v101, v113, v5, v101
	;;#ASMEND
	;; [unrolled: 3-line block ×16, first 2 shown]
	s_wait_dscnt 0x0
	;;#ASMSTART
	v_dot2_f32_f16 v102, v116, v4, v102
	;;#ASMEND
	;;#ASMSTART
	v_dot2_f32_f16 v102, v117, v5, v102
	;;#ASMEND
	;; [unrolled: 3-line block ×16, first 2 shown]
	ds_load_b128 v[0:3], v40 offset:48
	ds_load_b128 v[4:7], v103 offset:48
	;; [unrolled: 1-line block ×8, first 2 shown]
	s_wait_dscnt 0x6
	;;#ASMSTART
	v_dot2_f32_f16 v99, v0, v4, v99
	;;#ASMEND
	;;#ASMSTART
	v_dot2_f32_f16 v99, v1, v5, v99
	;;#ASMEND
	;;#ASMSTART
	v_dot2_f32_f16 v99, v2, v6, v99
	;;#ASMEND
	;;#ASMSTART
	v_dot2_f32_f16 v99, v3, v7, v99
	;;#ASMEND
	s_wait_dscnt 0x5
	;;#ASMSTART
	v_dot2_f32_f16 v97, v0, v8, v97
	;;#ASMEND
	;;#ASMSTART
	v_dot2_f32_f16 v97, v1, v9, v97
	;;#ASMEND
	;;#ASMSTART
	v_dot2_f32_f16 v97, v2, v10, v97
	;;#ASMEND
	;;#ASMSTART
	v_dot2_f32_f16 v97, v3, v11, v97
	;;#ASMEND
	;; [unrolled: 13-line block ×5, first 2 shown]
	;;#ASMSTART
	v_dot2_f32_f16 v98, v108, v8, v98
	;;#ASMEND
	;;#ASMSTART
	v_dot2_f32_f16 v98, v109, v9, v98
	;;#ASMEND
	;; [unrolled: 3-line block ×12, first 2 shown]
	s_wait_dscnt 0x1
	;;#ASMSTART
	v_dot2_f32_f16 v101, v112, v4, v101
	;;#ASMEND
	;;#ASMSTART
	v_dot2_f32_f16 v101, v113, v5, v101
	;;#ASMEND
	;; [unrolled: 3-line block ×16, first 2 shown]
	s_wait_dscnt 0x0
	;;#ASMSTART
	v_dot2_f32_f16 v102, v116, v4, v102
	;;#ASMEND
	;;#ASMSTART
	v_dot2_f32_f16 v102, v117, v5, v102
	;;#ASMEND
	;; [unrolled: 3-line block ×16, first 2 shown]
	ds_load_b128 v[0:3], v40 offset:64
	ds_load_b128 v[4:7], v103 offset:64
	;; [unrolled: 1-line block ×8, first 2 shown]
	s_wait_dscnt 0x6
	;;#ASMSTART
	v_dot2_f32_f16 v99, v0, v4, v99
	;;#ASMEND
	;;#ASMSTART
	v_dot2_f32_f16 v99, v1, v5, v99
	;;#ASMEND
	;;#ASMSTART
	v_dot2_f32_f16 v99, v2, v6, v99
	;;#ASMEND
	;;#ASMSTART
	v_dot2_f32_f16 v99, v3, v7, v99
	;;#ASMEND
	s_wait_dscnt 0x5
	;;#ASMSTART
	v_dot2_f32_f16 v97, v0, v8, v97
	;;#ASMEND
	;;#ASMSTART
	v_dot2_f32_f16 v97, v1, v9, v97
	;;#ASMEND
	;;#ASMSTART
	v_dot2_f32_f16 v97, v2, v10, v97
	;;#ASMEND
	;;#ASMSTART
	v_dot2_f32_f16 v97, v3, v11, v97
	;;#ASMEND
	;; [unrolled: 13-line block ×5, first 2 shown]
	;;#ASMSTART
	v_dot2_f32_f16 v98, v108, v8, v98
	;;#ASMEND
	;;#ASMSTART
	v_dot2_f32_f16 v98, v109, v9, v98
	;;#ASMEND
	;; [unrolled: 3-line block ×12, first 2 shown]
	s_wait_dscnt 0x1
	;;#ASMSTART
	v_dot2_f32_f16 v101, v112, v4, v101
	;;#ASMEND
	;;#ASMSTART
	v_dot2_f32_f16 v101, v113, v5, v101
	;;#ASMEND
	;; [unrolled: 3-line block ×16, first 2 shown]
	s_wait_dscnt 0x0
	;;#ASMSTART
	v_dot2_f32_f16 v102, v116, v4, v102
	;;#ASMEND
	;;#ASMSTART
	v_dot2_f32_f16 v102, v117, v5, v102
	;;#ASMEND
	;; [unrolled: 3-line block ×16, first 2 shown]
	ds_load_b128 v[12:15], v40 offset:80
	ds_load_b128 v[0:3], v103 offset:80
	;; [unrolled: 1-line block ×8, first 2 shown]
	s_wait_dscnt 0x6
	;;#ASMSTART
	v_dot2_f32_f16 v99, v12, v0, v99
	;;#ASMEND
	;;#ASMSTART
	v_dot2_f32_f16 v99, v13, v1, v99
	;;#ASMEND
	;;#ASMSTART
	v_dot2_f32_f16 v99, v14, v2, v99
	;;#ASMEND
	;;#ASMSTART
	v_dot2_f32_f16 v99, v15, v3, v99
	;;#ASMEND
	s_wait_dscnt 0x5
	;;#ASMSTART
	v_dot2_f32_f16 v97, v12, v4, v97
	;;#ASMEND
	;;#ASMSTART
	v_dot2_f32_f16 v97, v13, v5, v97
	;;#ASMEND
	;;#ASMSTART
	v_dot2_f32_f16 v97, v14, v6, v97
	;;#ASMEND
	;;#ASMSTART
	v_dot2_f32_f16 v97, v15, v7, v97
	;;#ASMEND
	s_wait_dscnt 0x4
	;;#ASMSTART
	v_dot2_f32_f16 v91, v12, v8, v91
	;;#ASMEND
	;;#ASMSTART
	v_dot2_f32_f16 v91, v13, v9, v91
	;;#ASMEND
	;;#ASMSTART
	v_dot2_f32_f16 v91, v14, v10, v91
	;;#ASMEND
	;;#ASMSTART
	v_dot2_f32_f16 v91, v15, v11, v91
	;;#ASMEND
	s_wait_dscnt 0x3
	;;#ASMSTART
	v_dot2_f32_f16 v88, v12, v104, v88
	;;#ASMEND
	;;#ASMSTART
	v_dot2_f32_f16 v88, v13, v105, v88
	;;#ASMEND
	;;#ASMSTART
	v_dot2_f32_f16 v88, v14, v106, v88
	;;#ASMEND
	;;#ASMSTART
	v_dot2_f32_f16 v88, v15, v107, v88
	;;#ASMEND
	s_wait_dscnt 0x2
	;;#ASMSTART
	v_dot2_f32_f16 v100, v108, v0, v100
	;;#ASMEND
	;;#ASMSTART
	v_dot2_f32_f16 v100, v109, v1, v100
	;;#ASMEND
	;;#ASMSTART
	v_dot2_f32_f16 v100, v110, v2, v100
	;;#ASMEND
	;;#ASMSTART
	v_dot2_f32_f16 v100, v111, v3, v100
	;;#ASMEND
	;;#ASMSTART
	v_dot2_f32_f16 v98, v108, v4, v98
	;;#ASMEND
	;;#ASMSTART
	v_dot2_f32_f16 v98, v109, v5, v98
	;;#ASMEND
	;; [unrolled: 3-line block ×12, first 2 shown]
	s_wait_dscnt 0x1
	;;#ASMSTART
	v_dot2_f32_f16 v101, v112, v0, v101
	;;#ASMEND
	;;#ASMSTART
	v_dot2_f32_f16 v101, v113, v1, v101
	;;#ASMEND
	;; [unrolled: 3-line block ×16, first 2 shown]
	s_wait_dscnt 0x0
	;;#ASMSTART
	v_dot2_f32_f16 v102, v116, v0, v102
	;;#ASMEND
	;;#ASMSTART
	v_dot2_f32_f16 v102, v117, v1, v102
	;;#ASMEND
	;;#ASMSTART
	v_dot2_f32_f16 v102, v118, v2, v102
	;;#ASMEND
	;;#ASMSTART
	v_dot2_f32_f16 v102, v119, v3, v102
	;;#ASMEND
	;;#ASMSTART
	v_dot2_f32_f16 v96, v116, v4, v96
	;;#ASMEND
	;;#ASMSTART
	v_dot2_f32_f16 v96, v117, v5, v96
	;;#ASMEND
	;;#ASMSTART
	v_dot2_f32_f16 v96, v118, v6, v96
	;;#ASMEND
	;;#ASMSTART
	v_dot2_f32_f16 v96, v119, v7, v96
	;;#ASMEND
	;;#ASMSTART
	v_dot2_f32_f16 v92, v116, v8, v92
	;;#ASMEND
	;;#ASMSTART
	v_dot2_f32_f16 v92, v117, v9, v92
	;;#ASMEND
	;;#ASMSTART
	v_dot2_f32_f16 v92, v118, v10, v92
	;;#ASMEND
	;;#ASMSTART
	v_dot2_f32_f16 v92, v119, v11, v92
	;;#ASMEND
	;;#ASMSTART
	v_dot2_f32_f16 v85, v116, v104, v85
	;;#ASMEND
	;;#ASMSTART
	v_dot2_f32_f16 v85, v117, v105, v85
	;;#ASMEND
	;;#ASMSTART
	v_dot2_f32_f16 v85, v118, v106, v85
	;;#ASMEND
	;;#ASMSTART
	v_dot2_f32_f16 v85, v119, v107, v85
	;;#ASMEND
	ds_load_b128 v[0:3], v40 offset:96
	ds_load_b128 v[4:7], v103 offset:96
	;; [unrolled: 1-line block ×8, first 2 shown]
	s_wait_dscnt 0x6
	;;#ASMSTART
	v_dot2_f32_f16 v99, v0, v4, v99
	;;#ASMEND
	;;#ASMSTART
	v_dot2_f32_f16 v99, v1, v5, v99
	;;#ASMEND
	;;#ASMSTART
	v_dot2_f32_f16 v99, v2, v6, v99
	;;#ASMEND
	;;#ASMSTART
	v_dot2_f32_f16 v99, v3, v7, v99
	;;#ASMEND
	s_wait_dscnt 0x5
	;;#ASMSTART
	v_dot2_f32_f16 v97, v0, v8, v97
	;;#ASMEND
	;;#ASMSTART
	v_dot2_f32_f16 v97, v1, v9, v97
	;;#ASMEND
	;;#ASMSTART
	v_dot2_f32_f16 v97, v2, v10, v97
	;;#ASMEND
	;;#ASMSTART
	v_dot2_f32_f16 v97, v3, v11, v97
	;;#ASMEND
	;; [unrolled: 13-line block ×5, first 2 shown]
	;;#ASMSTART
	v_dot2_f32_f16 v98, v108, v8, v98
	;;#ASMEND
	;;#ASMSTART
	v_dot2_f32_f16 v98, v109, v9, v98
	;;#ASMEND
	;; [unrolled: 3-line block ×12, first 2 shown]
	s_wait_dscnt 0x1
	;;#ASMSTART
	v_dot2_f32_f16 v101, v112, v4, v101
	;;#ASMEND
	;;#ASMSTART
	v_dot2_f32_f16 v101, v113, v5, v101
	;;#ASMEND
	;; [unrolled: 3-line block ×16, first 2 shown]
	s_wait_dscnt 0x0
	;;#ASMSTART
	v_dot2_f32_f16 v102, v116, v4, v102
	;;#ASMEND
	;;#ASMSTART
	v_dot2_f32_f16 v102, v117, v5, v102
	;;#ASMEND
	;; [unrolled: 3-line block ×16, first 2 shown]
	ds_load_b128 v[0:3], v40 offset:112
	ds_load_b128 v[4:7], v103 offset:112
	ds_load_b128 v[8:11], v103 offset:1264
	ds_load_b128 v[12:15], v103 offset:2416
	ds_load_b128 v[103:106], v103 offset:3568
	ds_load_b128 v[107:110], v40 offset:4720
	ds_load_b128 v[111:114], v40 offset:9328
	ds_load_b128 v[115:118], v40 offset:13936
	s_wait_dscnt 0x6
	;;#ASMSTART
	v_dot2_f32_f16 v99, v0, v4, v99
	;;#ASMEND
	;;#ASMSTART
	v_dot2_f32_f16 v99, v1, v5, v99
	;;#ASMEND
	;;#ASMSTART
	v_dot2_f32_f16 v99, v2, v6, v99
	;;#ASMEND
	;;#ASMSTART
	v_dot2_f32_f16 v99, v3, v7, v99
	;;#ASMEND
	s_wait_dscnt 0x5
	;;#ASMSTART
	v_dot2_f32_f16 v97, v0, v8, v97
	;;#ASMEND
	;;#ASMSTART
	v_dot2_f32_f16 v97, v1, v9, v97
	;;#ASMEND
	;;#ASMSTART
	v_dot2_f32_f16 v97, v2, v10, v97
	;;#ASMEND
	;;#ASMSTART
	v_dot2_f32_f16 v97, v3, v11, v97
	;;#ASMEND
	s_wait_dscnt 0x4
	;;#ASMSTART
	v_dot2_f32_f16 v91, v0, v12, v91
	;;#ASMEND
	;;#ASMSTART
	v_dot2_f32_f16 v91, v1, v13, v91
	;;#ASMEND
	;;#ASMSTART
	v_dot2_f32_f16 v91, v2, v14, v91
	;;#ASMEND
	;;#ASMSTART
	v_dot2_f32_f16 v91, v3, v15, v91
	;;#ASMEND
	s_wait_dscnt 0x3
	;;#ASMSTART
	v_dot2_f32_f16 v88, v0, v103, v88
	;;#ASMEND
	;;#ASMSTART
	v_dot2_f32_f16 v88, v1, v104, v88
	;;#ASMEND
	;;#ASMSTART
	v_dot2_f32_f16 v88, v2, v105, v88
	;;#ASMEND
	;;#ASMSTART
	v_dot2_f32_f16 v88, v3, v106, v88
	;;#ASMEND
	s_wait_dscnt 0x2
	;;#ASMSTART
	v_dot2_f32_f16 v100, v107, v4, v100
	;;#ASMEND
	;;#ASMSTART
	v_dot2_f32_f16 v100, v108, v5, v100
	;;#ASMEND
	;;#ASMSTART
	v_dot2_f32_f16 v100, v109, v6, v100
	;;#ASMEND
	;;#ASMSTART
	v_dot2_f32_f16 v100, v110, v7, v100
	;;#ASMEND
	;;#ASMSTART
	v_dot2_f32_f16 v98, v107, v8, v98
	;;#ASMEND
	;;#ASMSTART
	v_dot2_f32_f16 v98, v108, v9, v98
	;;#ASMEND
	;; [unrolled: 3-line block ×11, first 2 shown]
	s_wait_alu 0xfffe
	s_lshr_b32 s10, s33, 1
	;;#ASMSTART
	v_dot2_f32_f16 v90, v110, v106, v90
	;;#ASMEND
	s_wait_dscnt 0x1
	;;#ASMSTART
	v_dot2_f32_f16 v101, v111, v4, v101
	;;#ASMEND
	;;#ASMSTART
	v_dot2_f32_f16 v101, v112, v5, v101
	;;#ASMEND
	s_wait_alu 0xfffe
	s_lshl_b64 s[38:39], s[10:11], 2
	;;#ASMSTART
	v_dot2_f32_f16 v101, v113, v6, v101
	;;#ASMEND
	;;#ASMSTART
	v_dot2_f32_f16 v101, v114, v7, v101
	;;#ASMEND
	;; [unrolled: 3-line block ×3, first 2 shown]
	s_wait_alu 0xfffe
	s_add_nc_u64 s[38:39], s[26:27], s[38:39]
	;;#ASMSTART
	v_dot2_f32_f16 v95, v112, v9, v95
	;;#ASMEND
	;;#ASMSTART
	v_dot2_f32_f16 v95, v113, v10, v95
	;;#ASMEND
	s_wait_alu 0xfffe
	v_add_co_u32 v120, vcc_lo, s38, v19
	;;#ASMSTART
	v_dot2_f32_f16 v95, v114, v11, v95
	;;#ASMEND
	;;#ASMSTART
	v_dot2_f32_f16 v94, v111, v12, v94
	;;#ASMEND
	;; [unrolled: 3-line block ×3, first 2 shown]
	s_wait_alu 0xfffd
	v_add_co_ci_u32_e64 v121, null, s39, v20, vcc_lo
	v_add_co_u32 v122, vcc_lo, s38, v21
	;;#ASMSTART
	v_dot2_f32_f16 v94, v113, v14, v94
	;;#ASMEND
	;;#ASMSTART
	v_dot2_f32_f16 v94, v114, v15, v94
	;;#ASMEND
	;; [unrolled: 3-line block ×3, first 2 shown]
	s_wait_alu 0xfffd
	v_add_co_ci_u32_e64 v123, null, s39, v22, vcc_lo
	v_add_co_u32 v124, vcc_lo, s38, v23
	;;#ASMSTART
	v_dot2_f32_f16 v89, v112, v104, v89
	;;#ASMEND
	;;#ASMSTART
	v_dot2_f32_f16 v89, v113, v105, v89
	;;#ASMEND
	s_wait_alu 0xfffd
	v_add_co_ci_u32_e64 v125, null, s39, v24, vcc_lo
	v_add_co_u32 v126, vcc_lo, s38, v25
	;;#ASMSTART
	v_dot2_f32_f16 v89, v114, v106, v89
	;;#ASMEND
	s_wait_dscnt 0x0
	;;#ASMSTART
	v_dot2_f32_f16 v102, v115, v4, v102
	;;#ASMEND
	;;#ASMSTART
	v_dot2_f32_f16 v102, v116, v5, v102
	;;#ASMEND
	s_wait_alu 0xfffd
	v_add_co_ci_u32_e64 v127, null, s39, v26, vcc_lo
	v_add_co_u32 v119, vcc_lo, v120, v46
	;;#ASMSTART
	v_dot2_f32_f16 v102, v117, v6, v102
	;;#ASMEND
	;;#ASMSTART
	v_dot2_f32_f16 v102, v118, v7, v102
	;;#ASMEND
	;; [unrolled: 3-line block ×3, first 2 shown]
	s_wait_alu 0xfffd
	v_add_co_ci_u32_e64 v120, null, 0, v121, vcc_lo
	v_add_co_u32 v121, vcc_lo, v122, v46
	;;#ASMSTART
	v_dot2_f32_f16 v96, v116, v9, v96
	;;#ASMEND
	;;#ASMSTART
	v_dot2_f32_f16 v96, v117, v10, v96
	;;#ASMEND
	s_wait_alu 0xfffd
	v_add_co_ci_u32_e64 v122, null, 0, v123, vcc_lo
	v_add_co_u32 v123, vcc_lo, v124, v46
	;;#ASMSTART
	v_dot2_f32_f16 v96, v118, v11, v96
	;;#ASMEND
	;;#ASMSTART
	v_dot2_f32_f16 v92, v115, v12, v92
	;;#ASMEND
	;; [unrolled: 3-line block ×3, first 2 shown]
	s_wait_alu 0xfffd
	v_add_co_ci_u32_e64 v124, null, 0, v125, vcc_lo
	v_add_co_u32 v125, vcc_lo, v126, v46
	;;#ASMSTART
	v_dot2_f32_f16 v92, v117, v14, v92
	;;#ASMEND
	;;#ASMSTART
	v_dot2_f32_f16 v92, v118, v15, v92
	;;#ASMEND
	;; [unrolled: 3-line block ×3, first 2 shown]
	s_wait_alu 0xfffd
	v_add_co_ci_u32_e64 v126, null, 0, v127, vcc_lo
	;;#ASMSTART
	v_dot2_f32_f16 v85, v116, v104, v85
	;;#ASMEND
	;;#ASMSTART
	v_dot2_f32_f16 v85, v117, v105, v85
	;;#ASMEND
	;; [unrolled: 3-line block ×3, first 2 shown]
	s_wait_loadcnt 0x0
	s_barrier_signal -1
	s_barrier_wait -1
	global_inv scope:SCOPE_SE
	s_clause 0x3
	global_load_b128 v[1:4], v[119:120], off
	global_load_b128 v[5:8], v[121:122], off
	;; [unrolled: 1-line block ×4, first 2 shown]
	v_lshl_add_u32 v0, s33, 1, v33
	s_wait_loadcnt 0x3
	ds_store_b128 v36, v[1:4]
	s_wait_loadcnt 0x2
	ds_store_b128 v37, v[5:8]
	;; [unrolled: 2-line block ×4, first 2 shown]
	s_wait_dscnt 0x0
	s_barrier_signal -1
	s_barrier_wait -1
	global_inv scope:SCOPE_SE
	ds_load_b128 v[1:4], v40
	ds_load_b128 v[5:8], v0
	ds_load_b128 v[9:12], v0 offset:1152
	ds_load_b128 v[103:106], v0 offset:2304
	ds_load_b128 v[107:110], v0 offset:3456
	ds_load_b128 v[111:114], v40 offset:4608
	ds_load_b128 v[115:118], v40 offset:9216
	ds_load_b128 v[119:122], v40 offset:13824
	s_wait_dscnt 0x6
	;;#ASMSTART
	v_dot2_f32_f16 v99, v1, v5, v99
	;;#ASMEND
	;;#ASMSTART
	v_dot2_f32_f16 v99, v2, v6, v99
	;;#ASMEND
	;;#ASMSTART
	v_dot2_f32_f16 v99, v3, v7, v99
	;;#ASMEND
	;;#ASMSTART
	v_dot2_f32_f16 v99, v4, v8, v99
	;;#ASMEND
	s_wait_dscnt 0x5
	;;#ASMSTART
	v_dot2_f32_f16 v97, v1, v9, v97
	;;#ASMEND
	;;#ASMSTART
	v_dot2_f32_f16 v97, v2, v10, v97
	;;#ASMEND
	;;#ASMSTART
	v_dot2_f32_f16 v97, v3, v11, v97
	;;#ASMEND
	;;#ASMSTART
	v_dot2_f32_f16 v97, v4, v12, v97
	;;#ASMEND
	;; [unrolled: 13-line block ×5, first 2 shown]
	;;#ASMSTART
	v_dot2_f32_f16 v98, v111, v9, v98
	;;#ASMEND
	;;#ASMSTART
	v_dot2_f32_f16 v98, v112, v10, v98
	;;#ASMEND
	;; [unrolled: 3-line block ×12, first 2 shown]
	s_wait_dscnt 0x1
	;;#ASMSTART
	v_dot2_f32_f16 v101, v115, v5, v101
	;;#ASMEND
	;;#ASMSTART
	v_dot2_f32_f16 v101, v116, v6, v101
	;;#ASMEND
	;; [unrolled: 3-line block ×16, first 2 shown]
	s_wait_dscnt 0x0
	;;#ASMSTART
	v_dot2_f32_f16 v102, v119, v5, v102
	;;#ASMEND
	;;#ASMSTART
	v_dot2_f32_f16 v102, v120, v6, v102
	;;#ASMEND
	;; [unrolled: 3-line block ×16, first 2 shown]
	ds_load_b128 v[1:4], v40 offset:16
	ds_load_b128 v[5:8], v0 offset:16
	;; [unrolled: 1-line block ×8, first 2 shown]
	s_wait_dscnt 0x6
	;;#ASMSTART
	v_dot2_f32_f16 v99, v1, v5, v99
	;;#ASMEND
	;;#ASMSTART
	v_dot2_f32_f16 v99, v2, v6, v99
	;;#ASMEND
	;;#ASMSTART
	v_dot2_f32_f16 v99, v3, v7, v99
	;;#ASMEND
	;;#ASMSTART
	v_dot2_f32_f16 v99, v4, v8, v99
	;;#ASMEND
	s_wait_dscnt 0x5
	;;#ASMSTART
	v_dot2_f32_f16 v97, v1, v9, v97
	;;#ASMEND
	;;#ASMSTART
	v_dot2_f32_f16 v97, v2, v10, v97
	;;#ASMEND
	;;#ASMSTART
	v_dot2_f32_f16 v97, v3, v11, v97
	;;#ASMEND
	;;#ASMSTART
	v_dot2_f32_f16 v97, v4, v12, v97
	;;#ASMEND
	;; [unrolled: 13-line block ×5, first 2 shown]
	;;#ASMSTART
	v_dot2_f32_f16 v98, v111, v9, v98
	;;#ASMEND
	;;#ASMSTART
	v_dot2_f32_f16 v98, v112, v10, v98
	;;#ASMEND
	;; [unrolled: 3-line block ×12, first 2 shown]
	s_wait_dscnt 0x1
	;;#ASMSTART
	v_dot2_f32_f16 v101, v115, v5, v101
	;;#ASMEND
	;;#ASMSTART
	v_dot2_f32_f16 v101, v116, v6, v101
	;;#ASMEND
	;; [unrolled: 3-line block ×16, first 2 shown]
	s_wait_dscnt 0x0
	;;#ASMSTART
	v_dot2_f32_f16 v102, v119, v5, v102
	;;#ASMEND
	;;#ASMSTART
	v_dot2_f32_f16 v102, v120, v6, v102
	;;#ASMEND
	;; [unrolled: 3-line block ×16, first 2 shown]
	ds_load_b128 v[1:4], v40 offset:32
	ds_load_b128 v[5:8], v0 offset:32
	;; [unrolled: 1-line block ×8, first 2 shown]
	s_wait_dscnt 0x6
	;;#ASMSTART
	v_dot2_f32_f16 v99, v1, v5, v99
	;;#ASMEND
	;;#ASMSTART
	v_dot2_f32_f16 v99, v2, v6, v99
	;;#ASMEND
	;;#ASMSTART
	v_dot2_f32_f16 v99, v3, v7, v99
	;;#ASMEND
	;;#ASMSTART
	v_dot2_f32_f16 v99, v4, v8, v99
	;;#ASMEND
	s_wait_dscnt 0x5
	;;#ASMSTART
	v_dot2_f32_f16 v97, v1, v9, v97
	;;#ASMEND
	;;#ASMSTART
	v_dot2_f32_f16 v97, v2, v10, v97
	;;#ASMEND
	;;#ASMSTART
	v_dot2_f32_f16 v97, v3, v11, v97
	;;#ASMEND
	;;#ASMSTART
	v_dot2_f32_f16 v97, v4, v12, v97
	;;#ASMEND
	;; [unrolled: 13-line block ×5, first 2 shown]
	;;#ASMSTART
	v_dot2_f32_f16 v98, v111, v9, v98
	;;#ASMEND
	;;#ASMSTART
	v_dot2_f32_f16 v98, v112, v10, v98
	;;#ASMEND
	;; [unrolled: 3-line block ×12, first 2 shown]
	s_wait_dscnt 0x1
	;;#ASMSTART
	v_dot2_f32_f16 v101, v115, v5, v101
	;;#ASMEND
	;;#ASMSTART
	v_dot2_f32_f16 v101, v116, v6, v101
	;;#ASMEND
	;; [unrolled: 3-line block ×16, first 2 shown]
	s_wait_dscnt 0x0
	;;#ASMSTART
	v_dot2_f32_f16 v102, v119, v5, v102
	;;#ASMEND
	;;#ASMSTART
	v_dot2_f32_f16 v102, v120, v6, v102
	;;#ASMEND
	;; [unrolled: 3-line block ×16, first 2 shown]
	ds_load_b128 v[1:4], v40 offset:48
	ds_load_b128 v[5:8], v0 offset:48
	;; [unrolled: 1-line block ×8, first 2 shown]
	s_wait_dscnt 0x6
	;;#ASMSTART
	v_dot2_f32_f16 v99, v1, v5, v99
	;;#ASMEND
	;;#ASMSTART
	v_dot2_f32_f16 v99, v2, v6, v99
	;;#ASMEND
	;;#ASMSTART
	v_dot2_f32_f16 v99, v3, v7, v99
	;;#ASMEND
	;;#ASMSTART
	v_dot2_f32_f16 v99, v4, v8, v99
	;;#ASMEND
	s_wait_dscnt 0x5
	;;#ASMSTART
	v_dot2_f32_f16 v97, v1, v9, v97
	;;#ASMEND
	;;#ASMSTART
	v_dot2_f32_f16 v97, v2, v10, v97
	;;#ASMEND
	;;#ASMSTART
	v_dot2_f32_f16 v97, v3, v11, v97
	;;#ASMEND
	;;#ASMSTART
	v_dot2_f32_f16 v97, v4, v12, v97
	;;#ASMEND
	;; [unrolled: 13-line block ×5, first 2 shown]
	;;#ASMSTART
	v_dot2_f32_f16 v98, v111, v9, v98
	;;#ASMEND
	;;#ASMSTART
	v_dot2_f32_f16 v98, v112, v10, v98
	;;#ASMEND
	;; [unrolled: 3-line block ×12, first 2 shown]
	s_wait_dscnt 0x1
	;;#ASMSTART
	v_dot2_f32_f16 v101, v115, v5, v101
	;;#ASMEND
	;;#ASMSTART
	v_dot2_f32_f16 v101, v116, v6, v101
	;;#ASMEND
	;; [unrolled: 3-line block ×16, first 2 shown]
	s_wait_dscnt 0x0
	;;#ASMSTART
	v_dot2_f32_f16 v102, v119, v5, v102
	;;#ASMEND
	;;#ASMSTART
	v_dot2_f32_f16 v102, v120, v6, v102
	;;#ASMEND
	;; [unrolled: 3-line block ×16, first 2 shown]
	ds_load_b128 v[1:4], v40 offset:64
	ds_load_b128 v[5:8], v0 offset:64
	;; [unrolled: 1-line block ×8, first 2 shown]
	s_wait_dscnt 0x6
	;;#ASMSTART
	v_dot2_f32_f16 v99, v1, v5, v99
	;;#ASMEND
	;;#ASMSTART
	v_dot2_f32_f16 v99, v2, v6, v99
	;;#ASMEND
	;;#ASMSTART
	v_dot2_f32_f16 v99, v3, v7, v99
	;;#ASMEND
	;;#ASMSTART
	v_dot2_f32_f16 v99, v4, v8, v99
	;;#ASMEND
	s_wait_dscnt 0x5
	;;#ASMSTART
	v_dot2_f32_f16 v97, v1, v9, v97
	;;#ASMEND
	;;#ASMSTART
	v_dot2_f32_f16 v97, v2, v10, v97
	;;#ASMEND
	;;#ASMSTART
	v_dot2_f32_f16 v97, v3, v11, v97
	;;#ASMEND
	;;#ASMSTART
	v_dot2_f32_f16 v97, v4, v12, v97
	;;#ASMEND
	;; [unrolled: 13-line block ×5, first 2 shown]
	;;#ASMSTART
	v_dot2_f32_f16 v98, v111, v9, v98
	;;#ASMEND
	;;#ASMSTART
	v_dot2_f32_f16 v98, v112, v10, v98
	;;#ASMEND
	;; [unrolled: 3-line block ×12, first 2 shown]
	s_wait_dscnt 0x1
	;;#ASMSTART
	v_dot2_f32_f16 v101, v115, v5, v101
	;;#ASMEND
	;;#ASMSTART
	v_dot2_f32_f16 v101, v116, v6, v101
	;;#ASMEND
	;; [unrolled: 3-line block ×16, first 2 shown]
	s_wait_dscnt 0x0
	;;#ASMSTART
	v_dot2_f32_f16 v102, v119, v5, v102
	;;#ASMEND
	;;#ASMSTART
	v_dot2_f32_f16 v102, v120, v6, v102
	;;#ASMEND
	;; [unrolled: 3-line block ×16, first 2 shown]
	ds_load_b128 v[1:4], v40 offset:80
	ds_load_b128 v[5:8], v0 offset:80
	;; [unrolled: 1-line block ×8, first 2 shown]
	s_wait_dscnt 0x6
	;;#ASMSTART
	v_dot2_f32_f16 v99, v1, v5, v99
	;;#ASMEND
	;;#ASMSTART
	v_dot2_f32_f16 v99, v2, v6, v99
	;;#ASMEND
	;;#ASMSTART
	v_dot2_f32_f16 v99, v3, v7, v99
	;;#ASMEND
	;;#ASMSTART
	v_dot2_f32_f16 v99, v4, v8, v99
	;;#ASMEND
	s_wait_dscnt 0x5
	;;#ASMSTART
	v_dot2_f32_f16 v97, v1, v9, v97
	;;#ASMEND
	;;#ASMSTART
	v_dot2_f32_f16 v97, v2, v10, v97
	;;#ASMEND
	;;#ASMSTART
	v_dot2_f32_f16 v97, v3, v11, v97
	;;#ASMEND
	;;#ASMSTART
	v_dot2_f32_f16 v97, v4, v12, v97
	;;#ASMEND
	;; [unrolled: 13-line block ×5, first 2 shown]
	;;#ASMSTART
	v_dot2_f32_f16 v98, v111, v9, v98
	;;#ASMEND
	;;#ASMSTART
	v_dot2_f32_f16 v98, v112, v10, v98
	;;#ASMEND
	;; [unrolled: 3-line block ×12, first 2 shown]
	s_wait_dscnt 0x1
	;;#ASMSTART
	v_dot2_f32_f16 v101, v115, v5, v101
	;;#ASMEND
	;;#ASMSTART
	v_dot2_f32_f16 v101, v116, v6, v101
	;;#ASMEND
	;; [unrolled: 3-line block ×16, first 2 shown]
	s_wait_dscnt 0x0
	;;#ASMSTART
	v_dot2_f32_f16 v102, v119, v5, v102
	;;#ASMEND
	;;#ASMSTART
	v_dot2_f32_f16 v102, v120, v6, v102
	;;#ASMEND
	;; [unrolled: 3-line block ×16, first 2 shown]
	ds_load_b128 v[1:4], v40 offset:96
	ds_load_b128 v[5:8], v0 offset:96
	;; [unrolled: 1-line block ×8, first 2 shown]
	s_wait_dscnt 0x6
	;;#ASMSTART
	v_dot2_f32_f16 v99, v1, v5, v99
	;;#ASMEND
	;;#ASMSTART
	v_dot2_f32_f16 v99, v2, v6, v99
	;;#ASMEND
	;;#ASMSTART
	v_dot2_f32_f16 v99, v3, v7, v99
	;;#ASMEND
	;;#ASMSTART
	v_dot2_f32_f16 v99, v4, v8, v99
	;;#ASMEND
	s_wait_dscnt 0x5
	;;#ASMSTART
	v_dot2_f32_f16 v97, v1, v9, v97
	;;#ASMEND
	;;#ASMSTART
	v_dot2_f32_f16 v97, v2, v10, v97
	;;#ASMEND
	;;#ASMSTART
	v_dot2_f32_f16 v97, v3, v11, v97
	;;#ASMEND
	;;#ASMSTART
	v_dot2_f32_f16 v97, v4, v12, v97
	;;#ASMEND
	;; [unrolled: 13-line block ×5, first 2 shown]
	;;#ASMSTART
	v_dot2_f32_f16 v98, v111, v9, v98
	;;#ASMEND
	;;#ASMSTART
	v_dot2_f32_f16 v98, v112, v10, v98
	;;#ASMEND
	;; [unrolled: 3-line block ×12, first 2 shown]
	s_wait_dscnt 0x1
	;;#ASMSTART
	v_dot2_f32_f16 v101, v115, v5, v101
	;;#ASMEND
	;;#ASMSTART
	v_dot2_f32_f16 v101, v116, v6, v101
	;;#ASMEND
	;; [unrolled: 3-line block ×16, first 2 shown]
	s_wait_dscnt 0x0
	;;#ASMSTART
	v_dot2_f32_f16 v102, v119, v5, v102
	;;#ASMEND
	;;#ASMSTART
	v_dot2_f32_f16 v102, v120, v6, v102
	;;#ASMEND
	;; [unrolled: 3-line block ×16, first 2 shown]
	ds_load_b128 v[1:4], v40 offset:112
	ds_load_b128 v[5:8], v0 offset:112
	;; [unrolled: 1-line block ×8, first 2 shown]
	s_wait_dscnt 0x6
	;;#ASMSTART
	v_dot2_f32_f16 v99, v1, v5, v99
	;;#ASMEND
	;;#ASMSTART
	v_dot2_f32_f16 v99, v2, v6, v99
	;;#ASMEND
	;;#ASMSTART
	v_dot2_f32_f16 v99, v3, v7, v99
	;;#ASMEND
	;;#ASMSTART
	v_dot2_f32_f16 v99, v4, v8, v99
	;;#ASMEND
	s_wait_dscnt 0x5
	;;#ASMSTART
	v_dot2_f32_f16 v97, v1, v9, v97
	;;#ASMEND
	;;#ASMSTART
	v_dot2_f32_f16 v97, v2, v10, v97
	;;#ASMEND
	;;#ASMSTART
	v_dot2_f32_f16 v97, v3, v11, v97
	;;#ASMEND
	;;#ASMSTART
	v_dot2_f32_f16 v97, v4, v12, v97
	;;#ASMEND
	;; [unrolled: 13-line block ×5, first 2 shown]
	;;#ASMSTART
	v_dot2_f32_f16 v98, v111, v9, v98
	;;#ASMEND
	;;#ASMSTART
	v_dot2_f32_f16 v98, v112, v10, v98
	;;#ASMEND
	;; [unrolled: 3-line block ×12, first 2 shown]
	s_wait_dscnt 0x1
	;;#ASMSTART
	v_dot2_f32_f16 v101, v115, v5, v101
	;;#ASMEND
	;;#ASMSTART
	v_dot2_f32_f16 v101, v116, v6, v101
	;;#ASMEND
	;; [unrolled: 3-line block ×16, first 2 shown]
	s_wait_dscnt 0x0
	;;#ASMSTART
	v_dot2_f32_f16 v102, v119, v5, v102
	;;#ASMEND
	;;#ASMSTART
	v_dot2_f32_f16 v102, v120, v6, v102
	;;#ASMEND
	;; [unrolled: 3-line block ×13, first 2 shown]
	s_cmp_gt_u32 s29, 0x17f
	;;#ASMSTART
	v_dot2_f32_f16 v85, v120, v108, v85
	;;#ASMEND
	s_mov_b32 s10, -1
	;;#ASMSTART
	v_dot2_f32_f16 v85, v121, v109, v85
	;;#ASMEND
	;;#ASMSTART
	v_dot2_f32_f16 v85, v122, v110, v85
	;;#ASMEND
	s_cbranch_scc1 .LBB25_18
; %bb.20:                               ;   in Loop: Header=BB25_19 Depth=2
	s_wait_loadcnt 0x0
	s_barrier_signal -1
	s_barrier_wait -1
	s_addk_co_i32 s29, 0xc0
	s_mov_b32 s10, 0
	global_inv scope:SCOPE_SE
	s_branch .LBB25_18
.LBB25_21:                              ;   in Loop: Header=BB25_17 Depth=1
	v_cmp_ngt_f32_e64 s10, 0x3f200000, |v99|
                                        ; implicit-def: $vgpr2
	s_and_saveexec_b32 s26, s10
	s_wait_alu 0xfffe
	s_xor_b32 s10, exec_lo, s26
	s_cbranch_execz .LBB25_23
; %bb.22:                               ;   in Loop: Header=BB25_17 Depth=1
	v_add_f32_e64 v0, |v99|, |v99|
	s_delay_alu instid0(VALU_DEP_1) | instskip(SKIP_1) | instid1(VALU_DEP_2)
	v_mul_f32_e32 v1, 0x3fb8aa3b, v0
	v_cmp_ngt_f32_e32 vcc_lo, 0xc2ce8ed0, v0
	v_rndne_f32_e32 v2, v1
	v_fma_f32 v3, 0x3fb8aa3b, v0, -v1
	s_delay_alu instid0(VALU_DEP_2) | instskip(NEXT) | instid1(VALU_DEP_2)
	v_sub_f32_e32 v1, v1, v2
	v_fmac_f32_e32 v3, 0x32a5705f, v0
	v_cvt_i32_f32_e32 v2, v2
	s_delay_alu instid0(VALU_DEP_2) | instskip(NEXT) | instid1(VALU_DEP_1)
	v_add_f32_e32 v1, v1, v3
	v_exp_f32_e32 v1, v1
	s_delay_alu instid0(TRANS32_DEP_1) | instskip(SKIP_1) | instid1(VALU_DEP_1)
	v_ldexp_f32 v1, v1, v2
	s_wait_alu 0xfffd
	v_cndmask_b32_e32 v1, 0, v1, vcc_lo
	v_cmp_nlt_f32_e32 vcc_lo, 0x42b17218, v0
	s_wait_alu 0xfffd
	s_delay_alu instid0(VALU_DEP_2) | instskip(NEXT) | instid1(VALU_DEP_1)
	v_cndmask_b32_e32 v0, 0x7f800000, v1, vcc_lo
	v_add_f32_e32 v0, 1.0, v0
	s_delay_alu instid0(VALU_DEP_1) | instskip(NEXT) | instid1(TRANS32_DEP_1)
	v_rcp_f32_e32 v0, v0
	v_fma_f32 v2, v0, -2.0, 1.0
.LBB25_23:                              ;   in Loop: Header=BB25_17 Depth=1
	s_wait_alu 0xfffe
	s_and_not1_saveexec_b32 s10, s10
	s_cbranch_execz .LBB25_25
; %bb.24:                               ;   in Loop: Header=BB25_17 Depth=1
	v_mul_f32_e32 v0, v99, v99
	s_delay_alu instid0(VALU_DEP_1) | instskip(NEXT) | instid1(VALU_DEP_1)
	v_fmaak_f32 v1, s3, v0, 0x3ca908c9
	v_fmaak_f32 v1, v0, v1, 0xbd5c1c4e
	s_delay_alu instid0(VALU_DEP_1) | instskip(NEXT) | instid1(VALU_DEP_1)
	v_fmaak_f32 v1, v0, v1, 0x3e088382
	v_fmaak_f32 v1, v0, v1, 0xbeaaaa99
	s_delay_alu instid0(VALU_DEP_1) | instskip(NEXT) | instid1(VALU_DEP_1)
	v_mul_f32_e64 v1, |v99|, v1
	v_fma_f32 v2, v0, v1, |v99|
.LBB25_25:                              ;   in Loop: Header=BB25_17 Depth=1
	s_wait_alu 0xfffe
	s_or_b32 exec_lo, exec_lo, s10
	v_add_nc_u32_e32 v0, s4, v18
	v_cmp_ngt_f32_e64 s10, 0x3f200000, |v100|
                                        ; implicit-def: $vgpr3
	s_delay_alu instid0(VALU_DEP_2) | instskip(NEXT) | instid1(VALU_DEP_1)
	v_ashrrev_i32_e32 v1, 31, v0
	v_lshlrev_b64_e32 v[0:1], 1, v[0:1]
	s_delay_alu instid0(VALU_DEP_1) | instskip(SKIP_1) | instid1(VALU_DEP_2)
	v_add_co_u32 v0, vcc_lo, s36, v0
	s_wait_alu 0xfffd
	v_add_co_ci_u32_e64 v1, null, s37, v1, vcc_lo
	global_load_u16 v11, v[0:1], off
	s_and_saveexec_b32 s26, s10
	s_wait_alu 0xfffe
	s_xor_b32 s10, exec_lo, s26
	s_cbranch_execz .LBB25_27
; %bb.26:                               ;   in Loop: Header=BB25_17 Depth=1
	v_add_f32_e64 v3, |v100|, |v100|
	s_delay_alu instid0(VALU_DEP_1) | instskip(SKIP_1) | instid1(VALU_DEP_2)
	v_mul_f32_e32 v4, 0x3fb8aa3b, v3
	v_cmp_ngt_f32_e32 vcc_lo, 0xc2ce8ed0, v3
	v_rndne_f32_e32 v5, v4
	v_fma_f32 v6, 0x3fb8aa3b, v3, -v4
	s_delay_alu instid0(VALU_DEP_2) | instskip(NEXT) | instid1(VALU_DEP_2)
	v_sub_f32_e32 v4, v4, v5
	v_fmac_f32_e32 v6, 0x32a5705f, v3
	v_cvt_i32_f32_e32 v5, v5
	s_delay_alu instid0(VALU_DEP_2) | instskip(NEXT) | instid1(VALU_DEP_1)
	v_add_f32_e32 v4, v4, v6
	v_exp_f32_e32 v4, v4
	s_delay_alu instid0(TRANS32_DEP_1) | instskip(SKIP_1) | instid1(VALU_DEP_1)
	v_ldexp_f32 v4, v4, v5
	s_wait_alu 0xfffd
	v_cndmask_b32_e32 v4, 0, v4, vcc_lo
	v_cmp_nlt_f32_e32 vcc_lo, 0x42b17218, v3
	s_wait_alu 0xfffd
	s_delay_alu instid0(VALU_DEP_2) | instskip(NEXT) | instid1(VALU_DEP_1)
	v_cndmask_b32_e32 v3, 0x7f800000, v4, vcc_lo
	v_add_f32_e32 v3, 1.0, v3
	s_delay_alu instid0(VALU_DEP_1) | instskip(NEXT) | instid1(TRANS32_DEP_1)
	v_rcp_f32_e32 v3, v3
	v_fma_f32 v3, v3, -2.0, 1.0
.LBB25_27:                              ;   in Loop: Header=BB25_17 Depth=1
	s_wait_alu 0xfffe
	s_and_not1_saveexec_b32 s10, s10
	s_cbranch_execz .LBB25_29
; %bb.28:                               ;   in Loop: Header=BB25_17 Depth=1
	v_mul_f32_e32 v3, v100, v100
	s_delay_alu instid0(VALU_DEP_1) | instskip(NEXT) | instid1(VALU_DEP_1)
	v_fmaak_f32 v4, s3, v3, 0x3ca908c9
	v_fmaak_f32 v4, v3, v4, 0xbd5c1c4e
	s_delay_alu instid0(VALU_DEP_1) | instskip(NEXT) | instid1(VALU_DEP_1)
	v_fmaak_f32 v4, v3, v4, 0x3e088382
	v_fmaak_f32 v4, v3, v4, 0xbeaaaa99
	s_delay_alu instid0(VALU_DEP_1) | instskip(NEXT) | instid1(VALU_DEP_1)
	v_mul_f32_e64 v4, |v100|, v4
	v_fma_f32 v3, v3, v4, |v100|
.LBB25_29:                              ;   in Loop: Header=BB25_17 Depth=1
	s_wait_alu 0xfffe
	s_or_b32 exec_lo, exec_lo, s10
	global_load_u16 v12, v[0:1], off offset:64
	v_cmp_ngt_f32_e64 s10, 0x3f200000, |v101|
                                        ; implicit-def: $vgpr4
	s_and_saveexec_b32 s26, s10
	s_wait_alu 0xfffe
	s_xor_b32 s10, exec_lo, s26
	s_cbranch_execz .LBB25_31
; %bb.30:                               ;   in Loop: Header=BB25_17 Depth=1
	v_add_f32_e64 v4, |v101|, |v101|
	s_delay_alu instid0(VALU_DEP_1) | instskip(SKIP_1) | instid1(VALU_DEP_2)
	v_mul_f32_e32 v5, 0x3fb8aa3b, v4
	v_cmp_ngt_f32_e32 vcc_lo, 0xc2ce8ed0, v4
	v_rndne_f32_e32 v6, v5
	v_fma_f32 v7, 0x3fb8aa3b, v4, -v5
	s_delay_alu instid0(VALU_DEP_2) | instskip(NEXT) | instid1(VALU_DEP_2)
	v_sub_f32_e32 v5, v5, v6
	v_fmac_f32_e32 v7, 0x32a5705f, v4
	v_cvt_i32_f32_e32 v6, v6
	s_delay_alu instid0(VALU_DEP_2) | instskip(NEXT) | instid1(VALU_DEP_1)
	v_add_f32_e32 v5, v5, v7
	v_exp_f32_e32 v5, v5
	s_delay_alu instid0(TRANS32_DEP_1) | instskip(SKIP_1) | instid1(VALU_DEP_1)
	v_ldexp_f32 v5, v5, v6
	s_wait_alu 0xfffd
	v_cndmask_b32_e32 v5, 0, v5, vcc_lo
	v_cmp_nlt_f32_e32 vcc_lo, 0x42b17218, v4
	s_wait_alu 0xfffd
	s_delay_alu instid0(VALU_DEP_2) | instskip(NEXT) | instid1(VALU_DEP_1)
	v_cndmask_b32_e32 v4, 0x7f800000, v5, vcc_lo
	v_add_f32_e32 v4, 1.0, v4
	s_delay_alu instid0(VALU_DEP_1) | instskip(NEXT) | instid1(TRANS32_DEP_1)
	v_rcp_f32_e32 v4, v4
	v_fma_f32 v4, v4, -2.0, 1.0
.LBB25_31:                              ;   in Loop: Header=BB25_17 Depth=1
	s_wait_alu 0xfffe
	s_and_not1_saveexec_b32 s10, s10
	s_cbranch_execz .LBB25_33
; %bb.32:                               ;   in Loop: Header=BB25_17 Depth=1
	v_mul_f32_e32 v4, v101, v101
	s_delay_alu instid0(VALU_DEP_1) | instskip(NEXT) | instid1(VALU_DEP_1)
	v_fmaak_f32 v5, s3, v4, 0x3ca908c9
	v_fmaak_f32 v5, v4, v5, 0xbd5c1c4e
	s_delay_alu instid0(VALU_DEP_1) | instskip(NEXT) | instid1(VALU_DEP_1)
	v_fmaak_f32 v5, v4, v5, 0x3e088382
	v_fmaak_f32 v5, v4, v5, 0xbeaaaa99
	s_delay_alu instid0(VALU_DEP_1) | instskip(NEXT) | instid1(VALU_DEP_1)
	v_mul_f32_e64 v5, |v101|, v5
	v_fma_f32 v4, v4, v5, |v101|
.LBB25_33:                              ;   in Loop: Header=BB25_17 Depth=1
	s_wait_alu 0xfffe
	s_or_b32 exec_lo, exec_lo, s10
	global_load_u16 v13, v[0:1], off offset:128
	v_cmp_ngt_f32_e64 s10, 0x3f200000, |v102|
                                        ; implicit-def: $vgpr5
	s_and_saveexec_b32 s26, s10
	s_wait_alu 0xfffe
	s_xor_b32 s10, exec_lo, s26
	s_cbranch_execz .LBB25_35
; %bb.34:                               ;   in Loop: Header=BB25_17 Depth=1
	v_add_f32_e64 v5, |v102|, |v102|
	s_delay_alu instid0(VALU_DEP_1) | instskip(SKIP_1) | instid1(VALU_DEP_2)
	v_mul_f32_e32 v6, 0x3fb8aa3b, v5
	v_cmp_ngt_f32_e32 vcc_lo, 0xc2ce8ed0, v5
	v_rndne_f32_e32 v7, v6
	v_fma_f32 v8, 0x3fb8aa3b, v5, -v6
	s_delay_alu instid0(VALU_DEP_2) | instskip(NEXT) | instid1(VALU_DEP_2)
	v_sub_f32_e32 v6, v6, v7
	v_fmac_f32_e32 v8, 0x32a5705f, v5
	v_cvt_i32_f32_e32 v7, v7
	s_delay_alu instid0(VALU_DEP_2) | instskip(NEXT) | instid1(VALU_DEP_1)
	v_add_f32_e32 v6, v6, v8
	v_exp_f32_e32 v6, v6
	s_delay_alu instid0(TRANS32_DEP_1) | instskip(SKIP_1) | instid1(VALU_DEP_1)
	v_ldexp_f32 v6, v6, v7
	s_wait_alu 0xfffd
	v_cndmask_b32_e32 v6, 0, v6, vcc_lo
	v_cmp_nlt_f32_e32 vcc_lo, 0x42b17218, v5
	s_wait_alu 0xfffd
	s_delay_alu instid0(VALU_DEP_2) | instskip(NEXT) | instid1(VALU_DEP_1)
	v_cndmask_b32_e32 v5, 0x7f800000, v6, vcc_lo
	v_add_f32_e32 v5, 1.0, v5
	s_delay_alu instid0(VALU_DEP_1) | instskip(NEXT) | instid1(TRANS32_DEP_1)
	v_rcp_f32_e32 v5, v5
	v_fma_f32 v5, v5, -2.0, 1.0
.LBB25_35:                              ;   in Loop: Header=BB25_17 Depth=1
	s_wait_alu 0xfffe
	s_and_not1_saveexec_b32 s10, s10
	s_cbranch_execz .LBB25_37
; %bb.36:                               ;   in Loop: Header=BB25_17 Depth=1
	v_mul_f32_e32 v5, v102, v102
	s_delay_alu instid0(VALU_DEP_1) | instskip(NEXT) | instid1(VALU_DEP_1)
	v_fmaak_f32 v6, s3, v5, 0x3ca908c9
	v_fmaak_f32 v6, v5, v6, 0xbd5c1c4e
	s_delay_alu instid0(VALU_DEP_1) | instskip(NEXT) | instid1(VALU_DEP_1)
	v_fmaak_f32 v6, v5, v6, 0x3e088382
	v_fmaak_f32 v6, v5, v6, 0xbeaaaa99
	s_delay_alu instid0(VALU_DEP_1) | instskip(NEXT) | instid1(VALU_DEP_1)
	v_mul_f32_e64 v6, |v102|, v6
	v_fma_f32 v5, v5, v6, |v102|
.LBB25_37:                              ;   in Loop: Header=BB25_17 Depth=1
	s_wait_alu 0xfffe
	s_or_b32 exec_lo, exec_lo, s10
	global_load_u16 v103, v[0:1], off offset:192
	v_bfi_b32 v0, 0x7fffffff, v2, v99
	v_bfi_b32 v1, 0x7fffffff, v3, v100
	;; [unrolled: 1-line block ×3, first 2 shown]
	v_xor_b32_e32 v8, 16, v35
	v_xor_b32_e32 v7, 8, v35
	s_wait_loadcnt 0x3
	v_fma_mix_f32 v15, s31, v0, v11 op_sel_hi:[0,0,1]
	s_wait_loadcnt 0x2
	v_fma_mix_f32 v99, s31, v1, v12 op_sel_hi:[0,0,1]
	v_bfi_b32 v0, 0x7fffffff, v4, v101
	v_cmp_gt_i32_e32 vcc_lo, 32, v8
	v_xor_b32_e32 v6, 4, v35
	v_xor_b32_e32 v5, 2, v35
	v_add_f32_e32 v3, 0x40051340, v99
	s_wait_loadcnt 0x1
	v_fma_mix_f32 v100, s31, v0, v13 op_sel_hi:[0,0,1]
	s_wait_alu 0xfffd
	v_dual_add_f32 v1, 0x40051340, v15 :: v_dual_cndmask_b32 v0, v35, v8
	v_cmp_gt_i32_e32 vcc_lo, 32, v7
	v_xor_b32_e32 v4, 1, v35
	v_cmp_ngt_f32_e64 s10, 0x3f200000, |v97|
                                        ; implicit-def: $vgpr104
	s_delay_alu instid0(VALU_DEP_4) | instskip(SKIP_4) | instid1(VALU_DEP_3)
	v_lshlrev_b32_e32 v0, 2, v0
	s_wait_loadcnt 0x0
	v_fma_mix_f32 v101, s31, v2, v103 op_sel_hi:[0,0,1]
	v_add_f32_e32 v2, 0x40051340, v100
	v_max3_num_f32 v1, v87, v1, v3
	v_add_f32_e32 v3, 0x40051340, v101
	s_delay_alu instid0(VALU_DEP_1)
	v_max3_num_f32 v1, v1, v2, v3
	ds_bpermute_b32 v2, v0, v1
	s_wait_alu 0xfffd
	v_cndmask_b32_e32 v3, v35, v7, vcc_lo
	v_cmp_gt_i32_e32 vcc_lo, 32, v6
	s_wait_dscnt 0x0
	v_max_num_f32_e32 v2, v2, v2
	s_wait_alu 0xfffd
	v_dual_cndmask_b32 v3, v35, v6 :: v_dual_lshlrev_b32 v102, 2, v3
	v_cmp_gt_i32_e32 vcc_lo, 32, v5
	s_delay_alu instid0(VALU_DEP_3)
	v_max_num_f32_e32 v1, v1, v2
	ds_bpermute_b32 v2, v102, v1
	s_wait_dscnt 0x0
	v_max_num_f32_e32 v2, v2, v2
	s_wait_alu 0xfffd
	v_dual_cndmask_b32 v3, v35, v5 :: v_dual_lshlrev_b32 v10, 2, v3
	v_cmp_gt_i32_e32 vcc_lo, 32, v4
	s_delay_alu instid0(VALU_DEP_3) | instskip(NEXT) | instid1(VALU_DEP_3)
	v_max_num_f32_e32 v1, v1, v2
	v_lshlrev_b32_e32 v9, 2, v3
	ds_bpermute_b32 v2, v10, v1
	s_wait_dscnt 0x0
	v_max_num_f32_e32 v2, v2, v2
	s_delay_alu instid0(VALU_DEP_1) | instskip(SKIP_4) | instid1(VALU_DEP_1)
	v_max_num_f32_e32 v1, v1, v2
	ds_bpermute_b32 v2, v9, v1
	s_wait_dscnt 0x0
	s_wait_alu 0xfffd
	v_dual_cndmask_b32 v3, v35, v4 :: v_dual_max_num_f32 v2, v2, v2
	v_lshlrev_b32_e32 v3, 2, v3
	s_delay_alu instid0(VALU_DEP_2)
	v_max_num_f32_e32 v1, v1, v2
	ds_bpermute_b32 v2, v3, v1
	s_and_saveexec_b32 s26, s10
	s_wait_alu 0xfffe
	s_xor_b32 s10, exec_lo, s26
	s_cbranch_execz .LBB25_39
; %bb.38:                               ;   in Loop: Header=BB25_17 Depth=1
	v_add_f32_e64 v14, |v97|, |v97|
	s_delay_alu instid0(VALU_DEP_1) | instskip(SKIP_1) | instid1(VALU_DEP_2)
	v_mul_f32_e32 v104, 0x3fb8aa3b, v14
	v_cmp_ngt_f32_e32 vcc_lo, 0xc2ce8ed0, v14
	v_rndne_f32_e32 v105, v104
	v_fma_f32 v106, 0x3fb8aa3b, v14, -v104
	s_delay_alu instid0(VALU_DEP_2) | instskip(NEXT) | instid1(VALU_DEP_2)
	v_sub_f32_e32 v104, v104, v105
	v_fmac_f32_e32 v106, 0x32a5705f, v14
	v_cvt_i32_f32_e32 v105, v105
	s_delay_alu instid0(VALU_DEP_2) | instskip(NEXT) | instid1(VALU_DEP_1)
	v_add_f32_e32 v104, v104, v106
	v_exp_f32_e32 v104, v104
	s_delay_alu instid0(TRANS32_DEP_1) | instskip(SKIP_1) | instid1(VALU_DEP_1)
	v_ldexp_f32 v104, v104, v105
	s_wait_alu 0xfffd
	v_cndmask_b32_e32 v104, 0, v104, vcc_lo
	v_cmp_nlt_f32_e32 vcc_lo, 0x42b17218, v14
	s_wait_alu 0xfffd
	s_delay_alu instid0(VALU_DEP_2) | instskip(NEXT) | instid1(VALU_DEP_1)
	v_cndmask_b32_e32 v14, 0x7f800000, v104, vcc_lo
	v_add_f32_e32 v14, 1.0, v14
	s_delay_alu instid0(VALU_DEP_1) | instskip(NEXT) | instid1(TRANS32_DEP_1)
	v_rcp_f32_e32 v14, v14
	v_fma_f32 v104, v14, -2.0, 1.0
.LBB25_39:                              ;   in Loop: Header=BB25_17 Depth=1
	s_wait_alu 0xfffe
	s_and_not1_saveexec_b32 s10, s10
	s_cbranch_execz .LBB25_41
; %bb.40:                               ;   in Loop: Header=BB25_17 Depth=1
	v_mul_f32_e32 v14, v97, v97
	s_delay_alu instid0(VALU_DEP_1) | instskip(NEXT) | instid1(VALU_DEP_1)
	v_fmaak_f32 v104, s3, v14, 0x3ca908c9
	v_fmaak_f32 v104, v14, v104, 0xbd5c1c4e
	s_delay_alu instid0(VALU_DEP_1) | instskip(NEXT) | instid1(VALU_DEP_1)
	v_fmaak_f32 v104, v14, v104, 0x3e088382
	v_fmaak_f32 v104, v14, v104, 0xbeaaaa99
	s_delay_alu instid0(VALU_DEP_1) | instskip(NEXT) | instid1(VALU_DEP_1)
	v_mul_f32_e64 v104, |v97|, v104
	v_fma_f32 v104, v14, v104, |v97|
.LBB25_41:                              ;   in Loop: Header=BB25_17 Depth=1
	s_wait_alu 0xfffe
	s_or_b32 exec_lo, exec_lo, s10
	v_cmp_ngt_f32_e64 s10, 0x3f200000, |v98|
                                        ; implicit-def: $vgpr105
	s_and_saveexec_b32 s26, s10
	s_wait_alu 0xfffe
	s_xor_b32 s10, exec_lo, s26
	s_cbranch_execz .LBB25_43
; %bb.42:                               ;   in Loop: Header=BB25_17 Depth=1
	v_add_f32_e64 v14, |v98|, |v98|
	s_delay_alu instid0(VALU_DEP_1) | instskip(SKIP_1) | instid1(VALU_DEP_2)
	v_mul_f32_e32 v105, 0x3fb8aa3b, v14
	v_cmp_ngt_f32_e32 vcc_lo, 0xc2ce8ed0, v14
	v_rndne_f32_e32 v106, v105
	v_fma_f32 v107, 0x3fb8aa3b, v14, -v105
	s_delay_alu instid0(VALU_DEP_2) | instskip(NEXT) | instid1(VALU_DEP_2)
	v_sub_f32_e32 v105, v105, v106
	v_fmac_f32_e32 v107, 0x32a5705f, v14
	v_cvt_i32_f32_e32 v106, v106
	s_delay_alu instid0(VALU_DEP_2) | instskip(NEXT) | instid1(VALU_DEP_1)
	v_add_f32_e32 v105, v105, v107
	v_exp_f32_e32 v105, v105
	s_delay_alu instid0(TRANS32_DEP_1) | instskip(SKIP_1) | instid1(VALU_DEP_1)
	v_ldexp_f32 v105, v105, v106
	s_wait_alu 0xfffd
	v_cndmask_b32_e32 v105, 0, v105, vcc_lo
	v_cmp_nlt_f32_e32 vcc_lo, 0x42b17218, v14
	s_wait_alu 0xfffd
	s_delay_alu instid0(VALU_DEP_2) | instskip(NEXT) | instid1(VALU_DEP_1)
	v_cndmask_b32_e32 v14, 0x7f800000, v105, vcc_lo
	v_add_f32_e32 v14, 1.0, v14
	s_delay_alu instid0(VALU_DEP_1) | instskip(NEXT) | instid1(TRANS32_DEP_1)
	v_rcp_f32_e32 v14, v14
	v_fma_f32 v105, v14, -2.0, 1.0
.LBB25_43:                              ;   in Loop: Header=BB25_17 Depth=1
	s_wait_alu 0xfffe
	s_and_not1_saveexec_b32 s10, s10
	s_cbranch_execz .LBB25_45
; %bb.44:                               ;   in Loop: Header=BB25_17 Depth=1
	v_mul_f32_e32 v14, v98, v98
	s_delay_alu instid0(VALU_DEP_1) | instskip(NEXT) | instid1(VALU_DEP_1)
	v_fmaak_f32 v105, s3, v14, 0x3ca908c9
	v_fmaak_f32 v105, v14, v105, 0xbd5c1c4e
	s_delay_alu instid0(VALU_DEP_1) | instskip(NEXT) | instid1(VALU_DEP_1)
	v_fmaak_f32 v105, v14, v105, 0x3e088382
	v_fmaak_f32 v105, v14, v105, 0xbeaaaa99
	s_delay_alu instid0(VALU_DEP_1) | instskip(NEXT) | instid1(VALU_DEP_1)
	v_mul_f32_e64 v105, |v98|, v105
	v_fma_f32 v105, v14, v105, |v98|
.LBB25_45:                              ;   in Loop: Header=BB25_17 Depth=1
	s_wait_alu 0xfffe
	s_or_b32 exec_lo, exec_lo, s10
	v_cmp_ngt_f32_e64 s10, 0x3f200000, |v95|
                                        ; implicit-def: $vgpr106
	s_and_saveexec_b32 s26, s10
	s_wait_alu 0xfffe
	s_xor_b32 s10, exec_lo, s26
	s_cbranch_execz .LBB25_47
; %bb.46:                               ;   in Loop: Header=BB25_17 Depth=1
	v_add_f32_e64 v14, |v95|, |v95|
	s_delay_alu instid0(VALU_DEP_1) | instskip(SKIP_1) | instid1(VALU_DEP_2)
	v_mul_f32_e32 v106, 0x3fb8aa3b, v14
	v_cmp_ngt_f32_e32 vcc_lo, 0xc2ce8ed0, v14
	v_rndne_f32_e32 v107, v106
	v_fma_f32 v108, 0x3fb8aa3b, v14, -v106
	s_delay_alu instid0(VALU_DEP_2) | instskip(NEXT) | instid1(VALU_DEP_2)
	v_sub_f32_e32 v106, v106, v107
	v_fmac_f32_e32 v108, 0x32a5705f, v14
	v_cvt_i32_f32_e32 v107, v107
	s_delay_alu instid0(VALU_DEP_2) | instskip(NEXT) | instid1(VALU_DEP_1)
	v_add_f32_e32 v106, v106, v108
	v_exp_f32_e32 v106, v106
	s_delay_alu instid0(TRANS32_DEP_1) | instskip(SKIP_1) | instid1(VALU_DEP_1)
	v_ldexp_f32 v106, v106, v107
	s_wait_alu 0xfffd
	v_cndmask_b32_e32 v106, 0, v106, vcc_lo
	v_cmp_nlt_f32_e32 vcc_lo, 0x42b17218, v14
	s_wait_alu 0xfffd
	s_delay_alu instid0(VALU_DEP_2) | instskip(NEXT) | instid1(VALU_DEP_1)
	v_cndmask_b32_e32 v14, 0x7f800000, v106, vcc_lo
	v_add_f32_e32 v14, 1.0, v14
	s_delay_alu instid0(VALU_DEP_1) | instskip(NEXT) | instid1(TRANS32_DEP_1)
	v_rcp_f32_e32 v14, v14
	v_fma_f32 v106, v14, -2.0, 1.0
.LBB25_47:                              ;   in Loop: Header=BB25_17 Depth=1
	s_wait_alu 0xfffe
	s_and_not1_saveexec_b32 s10, s10
	s_cbranch_execz .LBB25_49
; %bb.48:                               ;   in Loop: Header=BB25_17 Depth=1
	v_mul_f32_e32 v14, v95, v95
	s_delay_alu instid0(VALU_DEP_1) | instskip(NEXT) | instid1(VALU_DEP_1)
	v_fmaak_f32 v106, s3, v14, 0x3ca908c9
	v_fmaak_f32 v106, v14, v106, 0xbd5c1c4e
	s_delay_alu instid0(VALU_DEP_1) | instskip(NEXT) | instid1(VALU_DEP_1)
	v_fmaak_f32 v106, v14, v106, 0x3e088382
	v_fmaak_f32 v106, v14, v106, 0xbeaaaa99
	s_delay_alu instid0(VALU_DEP_1) | instskip(NEXT) | instid1(VALU_DEP_1)
	v_mul_f32_e64 v106, |v95|, v106
	v_fma_f32 v106, v14, v106, |v95|
.LBB25_49:                              ;   in Loop: Header=BB25_17 Depth=1
	s_wait_alu 0xfffe
	s_or_b32 exec_lo, exec_lo, s10
	v_cmp_ngt_f32_e64 s10, 0x3f200000, |v96|
                                        ; implicit-def: $vgpr107
	s_and_saveexec_b32 s26, s10
	s_wait_alu 0xfffe
	s_xor_b32 s10, exec_lo, s26
	s_cbranch_execz .LBB25_51
; %bb.50:                               ;   in Loop: Header=BB25_17 Depth=1
	v_add_f32_e64 v14, |v96|, |v96|
	s_delay_alu instid0(VALU_DEP_1) | instskip(SKIP_1) | instid1(VALU_DEP_2)
	v_mul_f32_e32 v107, 0x3fb8aa3b, v14
	v_cmp_ngt_f32_e32 vcc_lo, 0xc2ce8ed0, v14
	v_rndne_f32_e32 v108, v107
	v_fma_f32 v109, 0x3fb8aa3b, v14, -v107
	s_delay_alu instid0(VALU_DEP_2) | instskip(NEXT) | instid1(VALU_DEP_2)
	v_sub_f32_e32 v107, v107, v108
	v_fmac_f32_e32 v109, 0x32a5705f, v14
	v_cvt_i32_f32_e32 v108, v108
	s_delay_alu instid0(VALU_DEP_2) | instskip(NEXT) | instid1(VALU_DEP_1)
	v_add_f32_e32 v107, v107, v109
	v_exp_f32_e32 v107, v107
	s_delay_alu instid0(TRANS32_DEP_1) | instskip(SKIP_1) | instid1(VALU_DEP_1)
	v_ldexp_f32 v107, v107, v108
	s_wait_alu 0xfffd
	v_cndmask_b32_e32 v107, 0, v107, vcc_lo
	v_cmp_nlt_f32_e32 vcc_lo, 0x42b17218, v14
	s_wait_alu 0xfffd
	s_delay_alu instid0(VALU_DEP_2) | instskip(NEXT) | instid1(VALU_DEP_1)
	v_cndmask_b32_e32 v14, 0x7f800000, v107, vcc_lo
	v_add_f32_e32 v14, 1.0, v14
	s_delay_alu instid0(VALU_DEP_1) | instskip(NEXT) | instid1(TRANS32_DEP_1)
	v_rcp_f32_e32 v14, v14
	v_fma_f32 v107, v14, -2.0, 1.0
.LBB25_51:                              ;   in Loop: Header=BB25_17 Depth=1
	s_wait_alu 0xfffe
	s_and_not1_saveexec_b32 s10, s10
	s_cbranch_execz .LBB25_53
; %bb.52:                               ;   in Loop: Header=BB25_17 Depth=1
	v_mul_f32_e32 v14, v96, v96
	s_delay_alu instid0(VALU_DEP_1) | instskip(NEXT) | instid1(VALU_DEP_1)
	v_fmaak_f32 v107, s3, v14, 0x3ca908c9
	v_fmaak_f32 v107, v14, v107, 0xbd5c1c4e
	s_delay_alu instid0(VALU_DEP_1) | instskip(NEXT) | instid1(VALU_DEP_1)
	v_fmaak_f32 v107, v14, v107, 0x3e088382
	v_fmaak_f32 v107, v14, v107, 0xbeaaaa99
	s_delay_alu instid0(VALU_DEP_1) | instskip(NEXT) | instid1(VALU_DEP_1)
	v_mul_f32_e64 v107, |v96|, v107
	v_fma_f32 v107, v14, v107, |v96|
.LBB25_53:                              ;   in Loop: Header=BB25_17 Depth=1
	s_wait_alu 0xfffe
	s_or_b32 exec_lo, exec_lo, s10
	v_cvt_f32_f16_e32 v14, v11
	v_bfi_b32 v97, 0x7fffffff, v104, v97
	v_cvt_f32_f16_e32 v11, v12
	v_bfi_b32 v98, 0x7fffffff, v105, v98
	v_cvt_f32_f16_e32 v12, v13
	v_cvt_f32_f16_e32 v13, v103
	v_fma_f32 v97, s31, v97, v14
	v_bfi_b32 v95, 0x7fffffff, v106, v95
	v_fma_f32 v98, s31, v98, v11
	v_bfi_b32 v103, 0x7fffffff, v107, v96
	v_cmp_ngt_f32_e64 s10, 0x3f200000, |v91|
	v_add_f32_e32 v104, 0x40051340, v97
	v_fma_f32 v96, s31, v95, v12
	v_add_f32_e32 v105, 0x40051340, v98
	v_fma_f32 v95, s31, v103, v13
	s_delay_alu instid0(VALU_DEP_3) | instskip(NEXT) | instid1(VALU_DEP_3)
	v_add_f32_e32 v103, 0x40051340, v96
	v_max3_num_f32 v104, v84, v104, v105
	s_delay_alu instid0(VALU_DEP_3) | instskip(NEXT) | instid1(VALU_DEP_1)
	v_add_f32_e32 v105, 0x40051340, v95
	v_max3_num_f32 v103, v104, v103, v105
                                        ; implicit-def: $vgpr105
	ds_bpermute_b32 v104, v0, v103
	s_wait_dscnt 0x0
	v_max_num_f32_e32 v104, v104, v104
	s_delay_alu instid0(VALU_DEP_1) | instskip(SKIP_3) | instid1(VALU_DEP_1)
	v_max_num_f32_e32 v103, v103, v104
	ds_bpermute_b32 v104, v102, v103
	s_wait_dscnt 0x0
	v_max_num_f32_e32 v104, v104, v104
	v_max_num_f32_e32 v103, v103, v104
	ds_bpermute_b32 v104, v10, v103
	s_wait_dscnt 0x0
	v_max_num_f32_e32 v104, v104, v104
	s_delay_alu instid0(VALU_DEP_1) | instskip(SKIP_3) | instid1(VALU_DEP_1)
	v_max_num_f32_e32 v103, v103, v104
	ds_bpermute_b32 v104, v9, v103
	s_wait_dscnt 0x0
	v_max_num_f32_e32 v104, v104, v104
	v_max_num_f32_e32 v103, v103, v104
	ds_bpermute_b32 v104, v3, v103
	s_and_saveexec_b32 s26, s10
	s_wait_alu 0xfffe
	s_xor_b32 s10, exec_lo, s26
	s_cbranch_execz .LBB25_55
; %bb.54:                               ;   in Loop: Header=BB25_17 Depth=1
	v_add_f32_e64 v105, |v91|, |v91|
	s_delay_alu instid0(VALU_DEP_1) | instskip(SKIP_1) | instid1(VALU_DEP_2)
	v_mul_f32_e32 v106, 0x3fb8aa3b, v105
	v_cmp_ngt_f32_e32 vcc_lo, 0xc2ce8ed0, v105
	v_rndne_f32_e32 v107, v106
	v_fma_f32 v108, 0x3fb8aa3b, v105, -v106
	s_delay_alu instid0(VALU_DEP_2) | instskip(NEXT) | instid1(VALU_DEP_2)
	v_sub_f32_e32 v106, v106, v107
	v_fmac_f32_e32 v108, 0x32a5705f, v105
	v_cvt_i32_f32_e32 v107, v107
	s_delay_alu instid0(VALU_DEP_2) | instskip(NEXT) | instid1(VALU_DEP_1)
	v_add_f32_e32 v106, v106, v108
	v_exp_f32_e32 v106, v106
	s_delay_alu instid0(TRANS32_DEP_1) | instskip(SKIP_1) | instid1(VALU_DEP_1)
	v_ldexp_f32 v106, v106, v107
	s_wait_alu 0xfffd
	v_cndmask_b32_e32 v106, 0, v106, vcc_lo
	v_cmp_nlt_f32_e32 vcc_lo, 0x42b17218, v105
	s_wait_alu 0xfffd
	s_delay_alu instid0(VALU_DEP_2) | instskip(NEXT) | instid1(VALU_DEP_1)
	v_cndmask_b32_e32 v105, 0x7f800000, v106, vcc_lo
	v_add_f32_e32 v105, 1.0, v105
	s_delay_alu instid0(VALU_DEP_1) | instskip(NEXT) | instid1(TRANS32_DEP_1)
	v_rcp_f32_e32 v105, v105
	v_fma_f32 v105, v105, -2.0, 1.0
.LBB25_55:                              ;   in Loop: Header=BB25_17 Depth=1
	s_wait_alu 0xfffe
	s_and_not1_saveexec_b32 s10, s10
	s_cbranch_execz .LBB25_57
; %bb.56:                               ;   in Loop: Header=BB25_17 Depth=1
	v_mul_f32_e32 v105, v91, v91
	s_delay_alu instid0(VALU_DEP_1) | instskip(NEXT) | instid1(VALU_DEP_1)
	v_fmaak_f32 v106, s3, v105, 0x3ca908c9
	v_fmaak_f32 v106, v105, v106, 0xbd5c1c4e
	s_delay_alu instid0(VALU_DEP_1) | instskip(NEXT) | instid1(VALU_DEP_1)
	v_fmaak_f32 v106, v105, v106, 0x3e088382
	v_fmaak_f32 v106, v105, v106, 0xbeaaaa99
	s_delay_alu instid0(VALU_DEP_1) | instskip(NEXT) | instid1(VALU_DEP_1)
	v_mul_f32_e64 v106, |v91|, v106
	v_fma_f32 v105, v105, v106, |v91|
.LBB25_57:                              ;   in Loop: Header=BB25_17 Depth=1
	s_wait_alu 0xfffe
	s_or_b32 exec_lo, exec_lo, s10
	v_cmp_ngt_f32_e64 s10, 0x3f200000, |v93|
                                        ; implicit-def: $vgpr106
	s_and_saveexec_b32 s26, s10
	s_wait_alu 0xfffe
	s_xor_b32 s10, exec_lo, s26
	s_cbranch_execz .LBB25_59
; %bb.58:                               ;   in Loop: Header=BB25_17 Depth=1
	v_add_f32_e64 v106, |v93|, |v93|
	s_delay_alu instid0(VALU_DEP_1) | instskip(SKIP_1) | instid1(VALU_DEP_2)
	v_mul_f32_e32 v107, 0x3fb8aa3b, v106
	v_cmp_ngt_f32_e32 vcc_lo, 0xc2ce8ed0, v106
	v_rndne_f32_e32 v108, v107
	v_fma_f32 v109, 0x3fb8aa3b, v106, -v107
	s_delay_alu instid0(VALU_DEP_2) | instskip(NEXT) | instid1(VALU_DEP_2)
	v_sub_f32_e32 v107, v107, v108
	v_fmac_f32_e32 v109, 0x32a5705f, v106
	v_cvt_i32_f32_e32 v108, v108
	s_delay_alu instid0(VALU_DEP_2) | instskip(NEXT) | instid1(VALU_DEP_1)
	v_add_f32_e32 v107, v107, v109
	v_exp_f32_e32 v107, v107
	s_delay_alu instid0(TRANS32_DEP_1) | instskip(SKIP_1) | instid1(VALU_DEP_1)
	v_ldexp_f32 v107, v107, v108
	s_wait_alu 0xfffd
	v_cndmask_b32_e32 v107, 0, v107, vcc_lo
	v_cmp_nlt_f32_e32 vcc_lo, 0x42b17218, v106
	s_wait_alu 0xfffd
	s_delay_alu instid0(VALU_DEP_2) | instskip(NEXT) | instid1(VALU_DEP_1)
	v_cndmask_b32_e32 v106, 0x7f800000, v107, vcc_lo
	v_add_f32_e32 v106, 1.0, v106
	s_delay_alu instid0(VALU_DEP_1) | instskip(NEXT) | instid1(TRANS32_DEP_1)
	v_rcp_f32_e32 v106, v106
	v_fma_f32 v106, v106, -2.0, 1.0
.LBB25_59:                              ;   in Loop: Header=BB25_17 Depth=1
	s_wait_alu 0xfffe
	s_and_not1_saveexec_b32 s10, s10
	s_cbranch_execz .LBB25_61
; %bb.60:                               ;   in Loop: Header=BB25_17 Depth=1
	v_mul_f32_e32 v106, v93, v93
	s_delay_alu instid0(VALU_DEP_1) | instskip(NEXT) | instid1(VALU_DEP_1)
	v_fmaak_f32 v107, s3, v106, 0x3ca908c9
	v_fmaak_f32 v107, v106, v107, 0xbd5c1c4e
	s_delay_alu instid0(VALU_DEP_1) | instskip(NEXT) | instid1(VALU_DEP_1)
	v_fmaak_f32 v107, v106, v107, 0x3e088382
	v_fmaak_f32 v107, v106, v107, 0xbeaaaa99
	s_delay_alu instid0(VALU_DEP_1) | instskip(NEXT) | instid1(VALU_DEP_1)
	v_mul_f32_e64 v107, |v93|, v107
	v_fma_f32 v106, v106, v107, |v93|
.LBB25_61:                              ;   in Loop: Header=BB25_17 Depth=1
	s_wait_alu 0xfffe
	s_or_b32 exec_lo, exec_lo, s10
	v_cmp_ngt_f32_e64 s10, 0x3f200000, |v94|
                                        ; implicit-def: $vgpr107
	s_and_saveexec_b32 s26, s10
	s_wait_alu 0xfffe
	s_xor_b32 s10, exec_lo, s26
	s_cbranch_execz .LBB25_63
; %bb.62:                               ;   in Loop: Header=BB25_17 Depth=1
	v_add_f32_e64 v107, |v94|, |v94|
	s_delay_alu instid0(VALU_DEP_1) | instskip(SKIP_1) | instid1(VALU_DEP_2)
	v_mul_f32_e32 v108, 0x3fb8aa3b, v107
	v_cmp_ngt_f32_e32 vcc_lo, 0xc2ce8ed0, v107
	v_rndne_f32_e32 v109, v108
	v_fma_f32 v110, 0x3fb8aa3b, v107, -v108
	s_delay_alu instid0(VALU_DEP_2) | instskip(NEXT) | instid1(VALU_DEP_2)
	v_sub_f32_e32 v108, v108, v109
	v_fmac_f32_e32 v110, 0x32a5705f, v107
	v_cvt_i32_f32_e32 v109, v109
	s_delay_alu instid0(VALU_DEP_2) | instskip(NEXT) | instid1(VALU_DEP_1)
	v_add_f32_e32 v108, v108, v110
	v_exp_f32_e32 v108, v108
	s_delay_alu instid0(TRANS32_DEP_1) | instskip(SKIP_1) | instid1(VALU_DEP_1)
	v_ldexp_f32 v108, v108, v109
	s_wait_alu 0xfffd
	v_cndmask_b32_e32 v108, 0, v108, vcc_lo
	v_cmp_nlt_f32_e32 vcc_lo, 0x42b17218, v107
	s_wait_alu 0xfffd
	s_delay_alu instid0(VALU_DEP_2) | instskip(NEXT) | instid1(VALU_DEP_1)
	v_cndmask_b32_e32 v107, 0x7f800000, v108, vcc_lo
	v_add_f32_e32 v107, 1.0, v107
	s_delay_alu instid0(VALU_DEP_1) | instskip(NEXT) | instid1(TRANS32_DEP_1)
	v_rcp_f32_e32 v107, v107
	v_fma_f32 v107, v107, -2.0, 1.0
.LBB25_63:                              ;   in Loop: Header=BB25_17 Depth=1
	s_wait_alu 0xfffe
	s_and_not1_saveexec_b32 s10, s10
	s_cbranch_execz .LBB25_65
; %bb.64:                               ;   in Loop: Header=BB25_17 Depth=1
	v_mul_f32_e32 v107, v94, v94
	s_delay_alu instid0(VALU_DEP_1) | instskip(NEXT) | instid1(VALU_DEP_1)
	v_fmaak_f32 v108, s3, v107, 0x3ca908c9
	v_fmaak_f32 v108, v107, v108, 0xbd5c1c4e
	s_delay_alu instid0(VALU_DEP_1) | instskip(NEXT) | instid1(VALU_DEP_1)
	v_fmaak_f32 v108, v107, v108, 0x3e088382
	v_fmaak_f32 v108, v107, v108, 0xbeaaaa99
	s_delay_alu instid0(VALU_DEP_1) | instskip(NEXT) | instid1(VALU_DEP_1)
	v_mul_f32_e64 v108, |v94|, v108
	v_fma_f32 v107, v107, v108, |v94|
.LBB25_65:                              ;   in Loop: Header=BB25_17 Depth=1
	s_wait_alu 0xfffe
	s_or_b32 exec_lo, exec_lo, s10
	v_cmp_ngt_f32_e64 s10, 0x3f200000, |v92|
                                        ; implicit-def: $vgpr108
	s_and_saveexec_b32 s26, s10
	s_wait_alu 0xfffe
	s_xor_b32 s10, exec_lo, s26
	s_cbranch_execz .LBB25_67
; %bb.66:                               ;   in Loop: Header=BB25_17 Depth=1
	v_add_f32_e64 v108, |v92|, |v92|
	s_delay_alu instid0(VALU_DEP_1) | instskip(SKIP_1) | instid1(VALU_DEP_2)
	v_mul_f32_e32 v109, 0x3fb8aa3b, v108
	v_cmp_ngt_f32_e32 vcc_lo, 0xc2ce8ed0, v108
	v_rndne_f32_e32 v110, v109
	v_fma_f32 v111, 0x3fb8aa3b, v108, -v109
	s_delay_alu instid0(VALU_DEP_2) | instskip(NEXT) | instid1(VALU_DEP_2)
	v_sub_f32_e32 v109, v109, v110
	v_fmac_f32_e32 v111, 0x32a5705f, v108
	v_cvt_i32_f32_e32 v110, v110
	s_delay_alu instid0(VALU_DEP_2) | instskip(NEXT) | instid1(VALU_DEP_1)
	v_add_f32_e32 v109, v109, v111
	v_exp_f32_e32 v109, v109
	s_delay_alu instid0(TRANS32_DEP_1) | instskip(SKIP_1) | instid1(VALU_DEP_1)
	v_ldexp_f32 v109, v109, v110
	s_wait_alu 0xfffd
	v_cndmask_b32_e32 v109, 0, v109, vcc_lo
	v_cmp_nlt_f32_e32 vcc_lo, 0x42b17218, v108
	s_wait_alu 0xfffd
	s_delay_alu instid0(VALU_DEP_2) | instskip(NEXT) | instid1(VALU_DEP_1)
	v_cndmask_b32_e32 v108, 0x7f800000, v109, vcc_lo
	v_add_f32_e32 v108, 1.0, v108
	s_delay_alu instid0(VALU_DEP_1) | instskip(NEXT) | instid1(TRANS32_DEP_1)
	v_rcp_f32_e32 v108, v108
	v_fma_f32 v108, v108, -2.0, 1.0
.LBB25_67:                              ;   in Loop: Header=BB25_17 Depth=1
	s_wait_alu 0xfffe
	s_and_not1_saveexec_b32 s10, s10
	s_cbranch_execz .LBB25_69
; %bb.68:                               ;   in Loop: Header=BB25_17 Depth=1
	v_mul_f32_e32 v108, v92, v92
	s_delay_alu instid0(VALU_DEP_1) | instskip(NEXT) | instid1(VALU_DEP_1)
	v_fmaak_f32 v109, s3, v108, 0x3ca908c9
	v_fmaak_f32 v109, v108, v109, 0xbd5c1c4e
	s_delay_alu instid0(VALU_DEP_1) | instskip(NEXT) | instid1(VALU_DEP_1)
	v_fmaak_f32 v109, v108, v109, 0x3e088382
	v_fmaak_f32 v109, v108, v109, 0xbeaaaa99
	s_delay_alu instid0(VALU_DEP_1) | instskip(NEXT) | instid1(VALU_DEP_1)
	v_mul_f32_e64 v109, |v92|, v109
	v_fma_f32 v108, v108, v109, |v92|
.LBB25_69:                              ;   in Loop: Header=BB25_17 Depth=1
	s_wait_alu 0xfffe
	s_or_b32 exec_lo, exec_lo, s10
	v_bfi_b32 v91, 0x7fffffff, v105, v91
	v_bfi_b32 v93, 0x7fffffff, v106, v93
	;; [unrolled: 1-line block ×3, first 2 shown]
	v_cmp_ngt_f32_e64 s10, 0x3f200000, |v88|
	s_delay_alu instid0(VALU_DEP_4) | instskip(NEXT) | instid1(VALU_DEP_4)
	v_fma_f32 v94, s31, v91, v14
	v_fma_f32 v93, s31, v93, v11
	v_bfi_b32 v91, 0x7fffffff, v108, v92
	v_fma_f32 v92, s31, v105, v12
	s_delay_alu instid0(VALU_DEP_3) | instskip(NEXT) | instid1(VALU_DEP_3)
	v_dual_add_f32 v105, 0x40051340, v94 :: v_dual_add_f32 v106, 0x40051340, v93
	v_fma_f32 v91, s31, v91, v13
	s_delay_alu instid0(VALU_DEP_3) | instskip(NEXT) | instid1(VALU_DEP_3)
	v_add_f32_e32 v107, 0x40051340, v92
	v_max3_num_f32 v105, v82, v105, v106
	s_delay_alu instid0(VALU_DEP_3) | instskip(NEXT) | instid1(VALU_DEP_1)
	v_add_f32_e32 v106, 0x40051340, v91
	v_max3_num_f32 v105, v105, v107, v106
                                        ; implicit-def: $vgpr107
	ds_bpermute_b32 v106, v0, v105
	s_wait_dscnt 0x0
	v_max_num_f32_e32 v106, v106, v106
	s_delay_alu instid0(VALU_DEP_1) | instskip(SKIP_3) | instid1(VALU_DEP_1)
	v_max_num_f32_e32 v105, v105, v106
	ds_bpermute_b32 v106, v102, v105
	s_wait_dscnt 0x0
	v_max_num_f32_e32 v106, v106, v106
	v_max_num_f32_e32 v105, v105, v106
	ds_bpermute_b32 v106, v10, v105
	s_wait_dscnt 0x0
	v_max_num_f32_e32 v106, v106, v106
	s_delay_alu instid0(VALU_DEP_1) | instskip(SKIP_3) | instid1(VALU_DEP_1)
	v_max_num_f32_e32 v105, v105, v106
	ds_bpermute_b32 v106, v9, v105
	s_wait_dscnt 0x0
	v_max_num_f32_e32 v106, v106, v106
	v_max_num_f32_e32 v105, v105, v106
	ds_bpermute_b32 v106, v3, v105
	s_and_saveexec_b32 s26, s10
	s_wait_alu 0xfffe
	s_xor_b32 s10, exec_lo, s26
	s_cbranch_execz .LBB25_71
; %bb.70:                               ;   in Loop: Header=BB25_17 Depth=1
	v_add_f32_e64 v107, |v88|, |v88|
	s_delay_alu instid0(VALU_DEP_1) | instskip(SKIP_1) | instid1(VALU_DEP_2)
	v_mul_f32_e32 v108, 0x3fb8aa3b, v107
	v_cmp_ngt_f32_e32 vcc_lo, 0xc2ce8ed0, v107
	v_rndne_f32_e32 v109, v108
	v_fma_f32 v110, 0x3fb8aa3b, v107, -v108
	s_delay_alu instid0(VALU_DEP_2) | instskip(NEXT) | instid1(VALU_DEP_2)
	v_sub_f32_e32 v108, v108, v109
	v_fmac_f32_e32 v110, 0x32a5705f, v107
	v_cvt_i32_f32_e32 v109, v109
	s_delay_alu instid0(VALU_DEP_2) | instskip(NEXT) | instid1(VALU_DEP_1)
	v_add_f32_e32 v108, v108, v110
	v_exp_f32_e32 v108, v108
	s_delay_alu instid0(TRANS32_DEP_1) | instskip(SKIP_1) | instid1(VALU_DEP_1)
	v_ldexp_f32 v108, v108, v109
	s_wait_alu 0xfffd
	v_cndmask_b32_e32 v108, 0, v108, vcc_lo
	v_cmp_nlt_f32_e32 vcc_lo, 0x42b17218, v107
	s_wait_alu 0xfffd
	s_delay_alu instid0(VALU_DEP_2) | instskip(NEXT) | instid1(VALU_DEP_1)
	v_cndmask_b32_e32 v107, 0x7f800000, v108, vcc_lo
	v_add_f32_e32 v107, 1.0, v107
	s_delay_alu instid0(VALU_DEP_1) | instskip(NEXT) | instid1(TRANS32_DEP_1)
	v_rcp_f32_e32 v107, v107
	v_fma_f32 v107, v107, -2.0, 1.0
.LBB25_71:                              ;   in Loop: Header=BB25_17 Depth=1
	s_wait_alu 0xfffe
	s_and_not1_saveexec_b32 s10, s10
	s_cbranch_execz .LBB25_73
; %bb.72:                               ;   in Loop: Header=BB25_17 Depth=1
	v_mul_f32_e32 v107, v88, v88
	s_delay_alu instid0(VALU_DEP_1) | instskip(NEXT) | instid1(VALU_DEP_1)
	v_fmaak_f32 v108, s3, v107, 0x3ca908c9
	v_fmaak_f32 v108, v107, v108, 0xbd5c1c4e
	s_delay_alu instid0(VALU_DEP_1) | instskip(NEXT) | instid1(VALU_DEP_1)
	v_fmaak_f32 v108, v107, v108, 0x3e088382
	v_fmaak_f32 v108, v107, v108, 0xbeaaaa99
	s_delay_alu instid0(VALU_DEP_1) | instskip(NEXT) | instid1(VALU_DEP_1)
	v_mul_f32_e64 v108, |v88|, v108
	v_fma_f32 v107, v107, v108, |v88|
.LBB25_73:                              ;   in Loop: Header=BB25_17 Depth=1
	s_wait_alu 0xfffe
	s_or_b32 exec_lo, exec_lo, s10
	v_cmp_ngt_f32_e64 s10, 0x3f200000, |v90|
                                        ; implicit-def: $vgpr108
	s_and_saveexec_b32 s26, s10
	s_wait_alu 0xfffe
	s_xor_b32 s10, exec_lo, s26
	s_cbranch_execz .LBB25_75
; %bb.74:                               ;   in Loop: Header=BB25_17 Depth=1
	v_add_f32_e64 v108, |v90|, |v90|
	s_delay_alu instid0(VALU_DEP_1) | instskip(SKIP_1) | instid1(VALU_DEP_2)
	v_mul_f32_e32 v109, 0x3fb8aa3b, v108
	v_cmp_ngt_f32_e32 vcc_lo, 0xc2ce8ed0, v108
	v_rndne_f32_e32 v110, v109
	v_fma_f32 v111, 0x3fb8aa3b, v108, -v109
	s_delay_alu instid0(VALU_DEP_2) | instskip(NEXT) | instid1(VALU_DEP_2)
	v_sub_f32_e32 v109, v109, v110
	v_fmac_f32_e32 v111, 0x32a5705f, v108
	v_cvt_i32_f32_e32 v110, v110
	s_delay_alu instid0(VALU_DEP_2) | instskip(NEXT) | instid1(VALU_DEP_1)
	v_add_f32_e32 v109, v109, v111
	v_exp_f32_e32 v109, v109
	s_delay_alu instid0(TRANS32_DEP_1) | instskip(SKIP_1) | instid1(VALU_DEP_1)
	v_ldexp_f32 v109, v109, v110
	s_wait_alu 0xfffd
	v_cndmask_b32_e32 v109, 0, v109, vcc_lo
	v_cmp_nlt_f32_e32 vcc_lo, 0x42b17218, v108
	s_wait_alu 0xfffd
	s_delay_alu instid0(VALU_DEP_2) | instskip(NEXT) | instid1(VALU_DEP_1)
	v_cndmask_b32_e32 v108, 0x7f800000, v109, vcc_lo
	v_add_f32_e32 v108, 1.0, v108
	s_delay_alu instid0(VALU_DEP_1) | instskip(NEXT) | instid1(TRANS32_DEP_1)
	v_rcp_f32_e32 v108, v108
	v_fma_f32 v108, v108, -2.0, 1.0
.LBB25_75:                              ;   in Loop: Header=BB25_17 Depth=1
	s_wait_alu 0xfffe
	s_and_not1_saveexec_b32 s10, s10
	s_cbranch_execz .LBB25_77
; %bb.76:                               ;   in Loop: Header=BB25_17 Depth=1
	v_mul_f32_e32 v108, v90, v90
	s_delay_alu instid0(VALU_DEP_1) | instskip(NEXT) | instid1(VALU_DEP_1)
	v_fmaak_f32 v109, s3, v108, 0x3ca908c9
	v_fmaak_f32 v109, v108, v109, 0xbd5c1c4e
	s_delay_alu instid0(VALU_DEP_1) | instskip(NEXT) | instid1(VALU_DEP_1)
	v_fmaak_f32 v109, v108, v109, 0x3e088382
	v_fmaak_f32 v109, v108, v109, 0xbeaaaa99
	s_delay_alu instid0(VALU_DEP_1) | instskip(NEXT) | instid1(VALU_DEP_1)
	v_mul_f32_e64 v109, |v90|, v109
	v_fma_f32 v108, v108, v109, |v90|
.LBB25_77:                              ;   in Loop: Header=BB25_17 Depth=1
	s_wait_alu 0xfffe
	s_or_b32 exec_lo, exec_lo, s10
	v_cmp_ngt_f32_e64 s10, 0x3f200000, |v89|
                                        ; implicit-def: $vgpr109
	s_and_saveexec_b32 s26, s10
	s_wait_alu 0xfffe
	s_xor_b32 s10, exec_lo, s26
	s_cbranch_execz .LBB25_79
; %bb.78:                               ;   in Loop: Header=BB25_17 Depth=1
	v_add_f32_e64 v109, |v89|, |v89|
	s_delay_alu instid0(VALU_DEP_1) | instskip(SKIP_1) | instid1(VALU_DEP_2)
	v_mul_f32_e32 v110, 0x3fb8aa3b, v109
	v_cmp_ngt_f32_e32 vcc_lo, 0xc2ce8ed0, v109
	v_rndne_f32_e32 v111, v110
	v_fma_f32 v112, 0x3fb8aa3b, v109, -v110
	s_delay_alu instid0(VALU_DEP_2) | instskip(NEXT) | instid1(VALU_DEP_2)
	v_sub_f32_e32 v110, v110, v111
	v_fmac_f32_e32 v112, 0x32a5705f, v109
	v_cvt_i32_f32_e32 v111, v111
	s_delay_alu instid0(VALU_DEP_2) | instskip(NEXT) | instid1(VALU_DEP_1)
	v_add_f32_e32 v110, v110, v112
	v_exp_f32_e32 v110, v110
	s_delay_alu instid0(TRANS32_DEP_1) | instskip(SKIP_1) | instid1(VALU_DEP_1)
	v_ldexp_f32 v110, v110, v111
	s_wait_alu 0xfffd
	v_cndmask_b32_e32 v110, 0, v110, vcc_lo
	v_cmp_nlt_f32_e32 vcc_lo, 0x42b17218, v109
	s_wait_alu 0xfffd
	s_delay_alu instid0(VALU_DEP_2) | instskip(NEXT) | instid1(VALU_DEP_1)
	v_cndmask_b32_e32 v109, 0x7f800000, v110, vcc_lo
	v_add_f32_e32 v109, 1.0, v109
	s_delay_alu instid0(VALU_DEP_1) | instskip(NEXT) | instid1(TRANS32_DEP_1)
	v_rcp_f32_e32 v109, v109
	v_fma_f32 v109, v109, -2.0, 1.0
.LBB25_79:                              ;   in Loop: Header=BB25_17 Depth=1
	s_wait_alu 0xfffe
	s_and_not1_saveexec_b32 s10, s10
	s_cbranch_execz .LBB25_81
; %bb.80:                               ;   in Loop: Header=BB25_17 Depth=1
	v_mul_f32_e32 v109, v89, v89
	s_delay_alu instid0(VALU_DEP_1) | instskip(NEXT) | instid1(VALU_DEP_1)
	v_fmaak_f32 v110, s3, v109, 0x3ca908c9
	v_fmaak_f32 v110, v109, v110, 0xbd5c1c4e
	s_delay_alu instid0(VALU_DEP_1) | instskip(NEXT) | instid1(VALU_DEP_1)
	v_fmaak_f32 v110, v109, v110, 0x3e088382
	v_fmaak_f32 v110, v109, v110, 0xbeaaaa99
	s_delay_alu instid0(VALU_DEP_1) | instskip(NEXT) | instid1(VALU_DEP_1)
	v_mul_f32_e64 v110, |v89|, v110
	v_fma_f32 v109, v109, v110, |v89|
.LBB25_81:                              ;   in Loop: Header=BB25_17 Depth=1
	s_wait_alu 0xfffe
	s_or_b32 exec_lo, exec_lo, s10
	v_cmp_ngt_f32_e64 s10, 0x3f200000, |v85|
                                        ; implicit-def: $vgpr110
	s_and_saveexec_b32 s26, s10
	s_wait_alu 0xfffe
	s_xor_b32 s10, exec_lo, s26
	s_cbranch_execz .LBB25_83
; %bb.82:                               ;   in Loop: Header=BB25_17 Depth=1
	v_add_f32_e64 v110, |v85|, |v85|
	s_delay_alu instid0(VALU_DEP_1) | instskip(SKIP_1) | instid1(VALU_DEP_2)
	v_mul_f32_e32 v111, 0x3fb8aa3b, v110
	v_cmp_ngt_f32_e32 vcc_lo, 0xc2ce8ed0, v110
	v_rndne_f32_e32 v112, v111
	v_fma_f32 v113, 0x3fb8aa3b, v110, -v111
	s_delay_alu instid0(VALU_DEP_2) | instskip(NEXT) | instid1(VALU_DEP_2)
	v_sub_f32_e32 v111, v111, v112
	v_fmac_f32_e32 v113, 0x32a5705f, v110
	v_cvt_i32_f32_e32 v112, v112
	s_delay_alu instid0(VALU_DEP_2) | instskip(NEXT) | instid1(VALU_DEP_1)
	v_add_f32_e32 v111, v111, v113
	v_exp_f32_e32 v111, v111
	s_delay_alu instid0(TRANS32_DEP_1) | instskip(SKIP_1) | instid1(VALU_DEP_1)
	v_ldexp_f32 v111, v111, v112
	s_wait_alu 0xfffd
	v_cndmask_b32_e32 v111, 0, v111, vcc_lo
	v_cmp_nlt_f32_e32 vcc_lo, 0x42b17218, v110
	s_wait_alu 0xfffd
	s_delay_alu instid0(VALU_DEP_2) | instskip(NEXT) | instid1(VALU_DEP_1)
	v_cndmask_b32_e32 v110, 0x7f800000, v111, vcc_lo
	v_add_f32_e32 v110, 1.0, v110
	s_delay_alu instid0(VALU_DEP_1) | instskip(NEXT) | instid1(TRANS32_DEP_1)
	v_rcp_f32_e32 v110, v110
	v_fma_f32 v110, v110, -2.0, 1.0
.LBB25_83:                              ;   in Loop: Header=BB25_17 Depth=1
	s_wait_alu 0xfffe
	s_and_not1_saveexec_b32 s10, s10
	s_cbranch_execz .LBB25_85
; %bb.84:                               ;   in Loop: Header=BB25_17 Depth=1
	v_mul_f32_e32 v110, v85, v85
	s_delay_alu instid0(VALU_DEP_1) | instskip(NEXT) | instid1(VALU_DEP_1)
	v_fmaak_f32 v111, s3, v110, 0x3ca908c9
	v_fmaak_f32 v111, v110, v111, 0xbd5c1c4e
	s_delay_alu instid0(VALU_DEP_1) | instskip(NEXT) | instid1(VALU_DEP_1)
	v_fmaak_f32 v111, v110, v111, 0x3e088382
	v_fmaak_f32 v111, v110, v111, 0xbeaaaa99
	s_delay_alu instid0(VALU_DEP_1) | instskip(NEXT) | instid1(VALU_DEP_1)
	v_mul_f32_e64 v111, |v85|, v111
	v_fma_f32 v110, v110, v111, |v85|
.LBB25_85:                              ;   in Loop: Header=BB25_17 Depth=1
	s_wait_alu 0xfffe
	s_or_b32 exec_lo, exec_lo, s10
	v_bfi_b32 v88, 0x7fffffff, v107, v88
	v_bfi_b32 v90, 0x7fffffff, v108, v90
	;; [unrolled: 1-line block ×4, first 2 shown]
	s_mul_u64 s[26:27], s[4:5], s[14:15]
	s_delay_alu instid0(VALU_DEP_3) | instskip(NEXT) | instid1(VALU_DEP_3)
	v_dual_fmac_f32 v14, s31, v88 :: v_dual_fmac_f32 v11, s31, v90
	v_fmac_f32_e32 v12, s31, v89
	s_delay_alu instid0(VALU_DEP_3) | instskip(SKIP_3) | instid1(VALU_DEP_3)
	v_fmac_f32_e32 v13, s31, v85
	s_wait_dscnt 0x0
	v_dual_max_num_f32 v89, v106, v106 :: v_dual_max_num_f32 v90, v105, v105
	v_dual_add_f32 v85, 0x40051340, v14 :: v_dual_add_f32 v88, 0x40051340, v11
	v_dual_add_f32 v105, 0x40051340, v12 :: v_dual_add_f32 v106, 0x40051340, v13
	v_max_num_f32_e32 v107, v1, v1
	v_max_num_f32_e32 v103, v103, v103
	s_delay_alu instid0(VALU_DEP_4)
	v_max3_num_f32 v85, v80, v85, v88
	v_max_num_f32_e32 v88, v104, v104
	v_max_num_f32_e32 v104, v2, v2
	s_wait_alu 0xfffe
	s_lshl_b64 s[26:27], s[26:27], 2
	v_max_num_f32_e32 v2, v90, v89
	v_max3_num_f32 v105, v85, v105, v106
	s_wait_alu 0xfffe
	s_add_nc_u64 s[26:27], s[8:9], s[26:27]
	v_lshlrev_b32_e32 v85, 2, v31
	s_barrier_signal -1
	ds_bpermute_b32 v106, v0, v105
	v_max_num_f32_e32 v0, v107, v104
	s_barrier_wait -1
	s_wait_dscnt 0x0
	global_inv scope:SCOPE_SE
	v_dual_sub_f32 v108, v87, v0 :: v_dual_max_num_f32 v87, v106, v106
	v_sub_f32_e32 v110, v100, v0
	v_sub_f32_e32 v109, v99, v0
	v_max_num_f32_e32 v1, v103, v88
	s_wait_alu 0xfffe
	v_add_co_u32 v88, vcc_lo, s26, v27
	s_delay_alu instid0(VALU_DEP_3) | instskip(NEXT) | instid1(VALU_DEP_3)
	v_dual_max_num_f32 v115, v105, v87 :: v_dual_mul_f32 v118, 0x3fb8aa3b, v109
	v_dual_sub_f32 v15, v15, v0 :: v_dual_sub_f32 v112, v97, v1
	v_sub_f32_e32 v113, v98, v1
	ds_bpermute_b32 v116, v102, v115
	v_dual_sub_f32 v114, v96, v1 :: v_dual_mul_f32 v117, 0x3fb8aa3b, v15
	v_dual_mul_f32 v122, 0x3fb8aa3b, v112 :: v_dual_mul_f32 v123, 0x3fb8aa3b, v113
	v_fma_f32 v126, 0x3fb8aa3b, v109, -v118
	v_rndne_f32_e32 v127, v118
	s_delay_alu instid0(VALU_DEP_4) | instskip(SKIP_2) | instid1(VALU_DEP_4)
	v_fma_f32 v124, 0x3fb8aa3b, v15, -v117
	v_sub_f32_e32 v111, v101, v0
	v_rndne_f32_e32 v125, v117
	v_dual_mul_f32 v121, 0x3fb8aa3b, v108 :: v_dual_sub_f32 v118, v118, v127
	s_delay_alu instid0(VALU_DEP_4) | instskip(NEXT) | instid1(VALU_DEP_4)
	v_fmac_f32_e32 v124, 0x32a5705f, v15
	v_dual_mul_f32 v119, 0x3fb8aa3b, v110 :: v_dual_mul_f32 v120, 0x3fb8aa3b, v111
	s_wait_alu 0xfffd
	v_add_co_ci_u32_e64 v89, null, s27, v28, vcc_lo
	v_add_co_u32 v90, vcc_lo, s26, v29
	s_delay_alu instid0(VALU_DEP_3) | instskip(SKIP_4) | instid1(VALU_DEP_3)
	v_fma_f32 v128, 0x3fb8aa3b, v110, -v119
	s_wait_dscnt 0x0
	v_dual_max_num_f32 v116, v116, v116 :: v_dual_sub_f32 v117, v117, v125
	v_fmac_f32_e32 v126, 0x32a5705f, v109
	v_rndne_f32_e32 v129, v119
	v_dual_fmac_f32 v128, 0x32a5705f, v110 :: v_dual_max_num_f32 v115, v115, v116
	s_delay_alu instid0(VALU_DEP_3) | instskip(SKIP_1) | instid1(VALU_DEP_4)
	v_dual_add_f32 v117, v117, v124 :: v_dual_add_f32 v118, v118, v126
	v_fma_f32 v130, 0x3fb8aa3b, v111, -v120
	v_sub_f32_e32 v119, v119, v129
	ds_bpermute_b32 v10, v10, v115
	v_exp_f32_e32 v117, v117
	s_wait_alu 0xfffd
	v_add_co_ci_u32_e64 v103, null, s27, v30, vcc_lo
	v_rndne_f32_e32 v131, v120
	v_cvt_i32_f32_e32 v125, v125
	v_dual_fmac_f32 v130, 0x32a5705f, v111 :: v_dual_add_f32 v119, v119, v128
	v_add_co_u32 v96, vcc_lo, v88, v85
	s_wait_alu 0xfffd
	v_add_co_ci_u32_e64 v97, null, 0, v89, vcc_lo
	v_add_co_u32 v104, vcc_lo, v90, v85
	s_wait_alu 0xfffd
	v_add_co_ci_u32_e64 v105, null, 0, v103, vcc_lo
	v_fma_f32 v132, 0x3fb8aa3b, v108, -v121
	v_rndne_f32_e32 v116, v121
	v_sub_f32_e32 v120, v120, v131
	v_ldexp_f32 v117, v117, v125
	s_wait_dscnt 0x0
	v_max_num_f32_e32 v10, v10, v10
	v_cmp_ngt_f32_e32 vcc_lo, 0xc2ce8ed0, v15
	v_fma_f32 v133, 0x3fb8aa3b, v112, -v122
	v_rndne_f32_e32 v134, v122
	v_cvt_i32_f32_e32 v127, v127
	v_max_num_f32_e32 v10, v115, v10
	v_exp_f32_e32 v115, v118
	s_wait_alu 0xfffd
	v_dual_fmac_f32 v132, 0x32a5705f, v108 :: v_dual_cndmask_b32 v117, 0, v117
	v_dual_sub_f32 v121, v121, v116 :: v_dual_add_f32 v120, v120, v130
	v_exp_f32_e32 v118, v119
	v_cvt_i32_f32_e32 v129, v129
	v_dual_fmac_f32 v133, 0x32a5705f, v112 :: v_dual_sub_f32 v122, v122, v134
	s_delay_alu instid0(VALU_DEP_3) | instskip(SKIP_1) | instid1(TRANS32_DEP_3)
	v_add_f32_e32 v121, v121, v132
	v_exp_f32_e32 v119, v120
	v_ldexp_f32 v115, v115, v127
	v_cmp_ngt_f32_e32 vcc_lo, 0xc2ce8ed0, v109
	v_add_f32_e32 v122, v122, v133
	v_exp_f32_e32 v120, v121
	v_cvt_i32_f32_e32 v121, v131
	v_ldexp_f32 v118, v118, v129
	s_wait_alu 0xfffd
	v_cndmask_b32_e32 v115, 0, v115, vcc_lo
	v_cmp_ngt_f32_e32 vcc_lo, 0xc2ce8ed0, v110
	v_cvt_i32_f32_e32 v116, v116
	v_ldexp_f32 v119, v119, v121
	v_rndne_f32_e32 v136, v123
	v_exp_f32_e32 v122, v122
	s_wait_alu 0xfffd
	v_cndmask_b32_e32 v118, 0, v118, vcc_lo
	v_cmp_ngt_f32_e32 vcc_lo, 0xc2ce8ed0, v111
	v_ldexp_f32 v116, v120, v116
	v_cvt_i32_f32_e32 v124, v134
	s_clause 0x3
	global_load_b128 v[87:90], v[96:97], off
	global_load_b128 v[96:99], v[96:97], off offset:512
	global_load_b128 v[100:103], v[104:105], off
	global_load_b128 v[104:107], v[104:105], off offset:512
	v_fma_f32 v135, 0x3fb8aa3b, v113, -v123
	s_wait_alu 0xfffd
	v_cndmask_b32_e32 v119, 0, v119, vcc_lo
	ds_bpermute_b32 v9, v9, v10
	v_cmp_ngt_f32_e32 vcc_lo, 0xc2ce8ed0, v108
	s_or_b32 s26, s4, 16
	s_wait_alu 0xfffe
	s_ashr_i32 s27, s26, 31
	s_wait_alu 0xfffd
	v_cndmask_b32_e32 v116, 0, v116, vcc_lo
	v_cmp_nlt_f32_e32 vcc_lo, 0x42b17218, v15
	s_wait_alu 0xfffe
	s_mul_u64 s[26:27], s[26:27], s[14:15]
	s_wait_alu 0xfffe
	s_lshl_b64 s[26:27], s[26:27], 2
	s_wait_alu 0xfffd
	v_cndmask_b32_e32 v15, 0x7f800000, v117, vcc_lo
	v_cmp_nlt_f32_e32 vcc_lo, 0x42b17218, v109
	v_ldexp_f32 v117, v122, v124
	s_wait_alu 0xfffe
	s_add_nc_u64 s[26:27], s[8:9], s[26:27]
	s_wait_dscnt 0x0
	v_max_num_f32_e32 v9, v9, v9
	s_wait_alu 0xfffd
	v_cndmask_b32_e32 v109, 0x7f800000, v115, vcc_lo
	v_cmp_nlt_f32_e32 vcc_lo, 0x42b17218, v108
	s_delay_alu instid0(VALU_DEP_3) | instskip(SKIP_1) | instid1(VALU_DEP_3)
	v_max_num_f32_e32 v10, v10, v9
	s_wait_alu 0xfffd
	v_dual_add_f32 v9, v15, v109 :: v_dual_cndmask_b32 v108, 0x7f800000, v116
	v_cmp_nlt_f32_e32 vcc_lo, 0x42b17218, v110
	v_sub_f32_e32 v116, v123, v136
	ds_bpermute_b32 v3, v3, v10
	v_cvt_f16_f32_e32 v15, v15
	v_cvt_f16_f32_e32 v109, v109
	s_wait_alu 0xfffd
	v_cndmask_b32_e32 v110, 0x7f800000, v118, vcc_lo
	v_cmp_nlt_f32_e32 vcc_lo, 0x42b17218, v111
	s_delay_alu instid0(VALU_DEP_2) | instskip(SKIP_4) | instid1(VALU_DEP_3)
	v_add_f32_e32 v9, v110, v9
	v_cvt_f16_f32_e32 v115, v108
	s_wait_alu 0xfffd
	v_cndmask_b32_e32 v111, 0x7f800000, v119, vcc_lo
	v_cmp_ngt_f32_e32 vcc_lo, 0xc2ce8ed0, v112
	v_and_b32_e32 v115, 0xffff, v115
	s_wait_dscnt 0x0
	v_max_num_f32_e32 v3, v3, v3
	s_wait_alu 0xfffd
	s_delay_alu instid0(VALU_DEP_1) | instskip(SKIP_2) | instid1(VALU_DEP_2)
	v_dual_max_num_f32 v3, v10, v3 :: v_dual_cndmask_b32 v10, 0, v117
	v_mul_u32_u24_e32 v115, 0x10001, v115
	v_cmp_nlt_f32_e32 vcc_lo, 0x42b17218, v112
	v_pk_mul_f16 v119, v74, v115
	v_mul_f32_e32 v74, 0x3fb8aa3b, v114
	v_pk_mul_f16 v118, v78, v115
	v_pk_mul_f16 v122, v73, v115
	v_sub_f32_e32 v73, v84, v1
	v_sub_f32_e32 v84, v95, v1
	v_add_f32_e32 v9, v111, v9
	v_rndne_f32_e32 v78, v74
	v_fmac_f32_e32 v135, 0x32a5705f, v113
	v_pk_mul_f16 v121, v72, v115
	v_pk_mul_f16 v120, v75, v115
	v_fmac_f32_e32 v9, v86, v108
	v_pk_mul_f16 v86, v77, v115
	v_fma_f32 v77, 0x3fb8aa3b, v114, -v74
	v_sub_f32_e32 v74, v74, v78
	v_add_f32_e32 v72, v116, v135
	v_pk_mul_f16 v108, v76, v115
	v_cvt_i32_f32_e32 v76, v136
	s_wait_alu 0xfffd
	v_cndmask_b32_e32 v10, 0x7f800000, v10, vcc_lo
	v_mul_f32_e32 v116, 0x3fb8aa3b, v84
	v_exp_f32_e32 v72, v72
	v_cmp_ngt_f32_e32 vcc_lo, 0xc2ce8ed0, v113
	v_cvt_i32_f32_e32 v78, v78
	v_sub_f32_e32 v13, v13, v3
	v_cvt_f16_f32_e32 v110, v110
	v_cvt_f16_f32_e32 v111, v111
	v_sub_f32_e32 v12, v12, v3
	s_delay_alu instid0(TRANS32_DEP_1) | instskip(SKIP_3) | instid1(VALU_DEP_3)
	v_ldexp_f32 v72, v72, v76
	v_mul_f32_e32 v75, 0x3fb8aa3b, v73
	v_fma_f32 v76, 0x3fb8aa3b, v84, -v116
	s_wait_alu 0xfffd
	v_dual_fmac_f32 v77, 0x32a5705f, v114 :: v_dual_cndmask_b32 v72, 0, v72
	s_delay_alu instid0(VALU_DEP_3) | instskip(SKIP_2) | instid1(VALU_DEP_4)
	v_rndne_f32_e32 v112, v75
	v_fma_f32 v95, 0x3fb8aa3b, v73, -v75
	v_fmac_f32_e32 v76, 0x32a5705f, v84
	v_add_f32_e32 v74, v74, v77
	v_cmp_nlt_f32_e32 vcc_lo, 0x42b17218, v113
	v_sub_f32_e32 v75, v75, v112
	v_rndne_f32_e32 v77, v116
	s_delay_alu instid0(VALU_DEP_4) | instskip(SKIP_4) | instid1(TRANS32_DEP_1)
	v_exp_f32_e32 v74, v74
	s_wait_alu 0xfffd
	v_cndmask_b32_e32 v72, 0x7f800000, v72, vcc_lo
	v_fmac_f32_e32 v95, 0x32a5705f, v73
	v_cmp_ngt_f32_e32 vcc_lo, 0xc2ce8ed0, v114
	v_ldexp_f32 v74, v74, v78
	s_delay_alu instid0(VALU_DEP_3)
	v_add_f32_e32 v75, v75, v95
	v_dual_sub_f32 v95, v116, v77 :: v_dual_sub_f32 v78, v94, v2
	v_cvt_i32_f32_e32 v77, v77
	s_wait_alu 0xfffd
	v_cndmask_b32_e32 v74, 0, v74, vcc_lo
	v_exp_f32_e32 v75, v75
	v_cmp_ngt_f32_e32 vcc_lo, 0xc2ce8ed0, v73
	v_add_f32_e32 v76, v95, v76
	v_cvt_i32_f32_e32 v95, v112
	v_cvt_f16_f32_e32 v112, v10
	s_delay_alu instid0(TRANS32_DEP_1) | instid1(VALU_DEP_2)
	v_ldexp_f32 v75, v75, v95
	s_wait_alu 0xfffd
	s_delay_alu instid0(VALU_DEP_1)
	v_cndmask_b32_e32 v75, 0, v75, vcc_lo
	v_exp_f32_e32 v76, v76
	v_cmp_nlt_f32_e32 vcc_lo, 0x42b17218, v114
	s_wait_alu 0xfffd
	v_cndmask_b32_e32 v74, 0x7f800000, v74, vcc_lo
	v_cmp_nlt_f32_e32 vcc_lo, 0x42b17218, v73
	s_delay_alu instid0(TRANS32_DEP_1)
	v_ldexp_f32 v76, v76, v77
	s_wait_alu 0xfffd
	v_cndmask_b32_e32 v73, 0x7f800000, v75, vcc_lo
	v_cmp_ngt_f32_e32 vcc_lo, 0xc2ce8ed0, v84
	s_wait_alu 0xfffd
	v_dual_mul_f32 v75, 0x3fb8aa3b, v78 :: v_dual_cndmask_b32 v76, 0, v76
	s_delay_alu instid0(VALU_DEP_1) | instskip(SKIP_2) | instid1(VALU_DEP_3)
	v_rndne_f32_e32 v95, v75
	v_fma_f32 v94, 0x3fb8aa3b, v78, -v75
	v_cmp_nlt_f32_e32 vcc_lo, 0x42b17218, v84
	v_dual_sub_f32 v75, v75, v95 :: v_dual_add_f32 v10, v10, v72
	s_delay_alu instid0(VALU_DEP_3)
	v_fmac_f32_e32 v94, 0x32a5705f, v78
	s_wait_alu 0xfffd
	v_cndmask_b32_e32 v76, 0x7f800000, v76, vcc_lo
	v_cmp_ngt_f32_e32 vcc_lo, 0xc2ce8ed0, v78
	v_cvt_f16_f32_e32 v72, v72
	v_add_f32_e32 v10, v74, v10
	v_cvt_f16_f32_e32 v77, v73
	v_add_f32_e32 v75, v75, v94
	s_delay_alu instid0(VALU_DEP_2) | instskip(SKIP_1) | instid1(VALU_DEP_2)
	v_dual_add_f32 v10, v76, v10 :: v_dual_and_b32 v77, 0xffff, v77
	v_cvt_f16_f32_e32 v76, v76
	v_fmac_f32_e32 v10, v83, v73
	s_delay_alu instid0(VALU_DEP_3) | instskip(SKIP_1) | instid1(VALU_DEP_2)
	v_mul_u32_u24_e32 v84, 0x10001, v77
	v_sub_f32_e32 v77, v93, v2
	v_pk_mul_f16 v83, v71, v84
	v_exp_f32_e32 v71, v75
	v_pk_mul_f16 v113, v67, v84
	v_cvt_i32_f32_e32 v67, v95
	v_pk_mul_f16 v114, v64, v84
	v_pk_mul_f16 v93, v68, v84
	;; [unrolled: 1-line block ×5, first 2 shown]
	s_delay_alu instid0(TRANS32_DEP_1) | instskip(SKIP_1) | instid1(VALU_DEP_1)
	v_ldexp_f32 v64, v71, v67
	s_wait_alu 0xfffd
	v_dual_mul_f32 v73, 0x3fb8aa3b, v77 :: v_dual_cndmask_b32 v64, 0, v64
	s_delay_alu instid0(VALU_DEP_1) | instskip(SKIP_4) | instid1(VALU_DEP_4)
	v_fma_f32 v68, 0x3fb8aa3b, v77, -v73
	v_rndne_f32_e32 v70, v73
	v_cmp_nlt_f32_e32 vcc_lo, 0x42b17218, v78
	v_sub_f32_e32 v65, v92, v2
	v_sub_f32_e32 v78, v91, v2
	v_dual_fmac_f32 v68, 0x32a5705f, v77 :: v_dual_sub_f32 v67, v73, v70
	s_wait_alu 0xfffd
	v_cndmask_b32_e32 v64, 0x7f800000, v64, vcc_lo
	v_mul_f32_e32 v69, 0x3fb8aa3b, v65
	v_cvt_i32_f32_e32 v70, v70
	v_dual_mul_f32 v92, 0x3fb8aa3b, v78 :: v_dual_add_f32 v67, v67, v68
	v_sub_f32_e32 v68, v82, v2
	s_delay_alu instid0(VALU_DEP_4)
	v_fma_f32 v73, 0x3fb8aa3b, v65, -v69
	v_rndne_f32_e32 v75, v69
	v_cmp_ngt_f32_e32 vcc_lo, 0xc2ce8ed0, v77
	v_exp_f32_e32 v67, v67
	v_mul_f32_e32 v71, 0x3fb8aa3b, v68
	v_fmac_f32_e32 v73, 0x32a5705f, v65
	v_sub_f32_e32 v69, v69, v75
	v_cvt_i32_f32_e32 v75, v75
	v_cvt_f16_f32_e32 v74, v74
	v_fma_f32 v82, 0x3fb8aa3b, v68, -v71
	v_rndne_f32_e32 v91, v71
	s_delay_alu instid0(TRANS32_DEP_1) | instskip(NEXT) | instid1(VALU_DEP_2)
	v_ldexp_f32 v67, v67, v70
	v_dual_fmac_f32 v82, 0x32a5705f, v68 :: v_dual_sub_f32 v71, v71, v91
	v_fma_f32 v70, 0x3fb8aa3b, v78, -v92
	v_add_f32_e32 v69, v69, v73
	v_rndne_f32_e32 v73, v92
	s_delay_alu instid0(VALU_DEP_4) | instskip(NEXT) | instid1(VALU_DEP_4)
	v_add_f32_e32 v71, v71, v82
	v_fmac_f32_e32 v70, 0x32a5705f, v78
	s_delay_alu instid0(VALU_DEP_4)
	v_exp_f32_e32 v69, v69
	s_wait_alu 0xfffd
	v_dual_sub_f32 v82, v92, v73 :: v_dual_cndmask_b32 v67, 0, v67
	v_exp_f32_e32 v71, v71
	v_cmp_nlt_f32_e32 vcc_lo, 0x42b17218, v77
	v_cvt_f16_f32_e32 v77, v64
	s_delay_alu instid0(VALU_DEP_3)
	v_add_f32_e32 v70, v82, v70
	v_cvt_i32_f32_e32 v82, v91
	v_cvt_i32_f32_e32 v73, v73
	s_wait_alu 0xfffd
	v_cndmask_b32_e32 v67, 0x7f800000, v67, vcc_lo
	v_ldexp_f32 v69, v69, v75
	v_cmp_ngt_f32_e32 vcc_lo, 0xc2ce8ed0, v65
	v_exp_f32_e32 v70, v70
	v_ldexp_f32 v71, v71, v82
	s_wait_alu 0xfffd
	v_dual_add_f32 v64, v64, v67 :: v_dual_cndmask_b32 v69, 0, v69
	v_cmp_ngt_f32_e32 vcc_lo, 0xc2ce8ed0, v68
	s_wait_alu 0xfffd
	v_cndmask_b32_e32 v71, 0, v71, vcc_lo
	v_cmp_nlt_f32_e32 vcc_lo, 0x42b17218, v65
	s_wait_alu 0xfffd
	v_dual_sub_f32 v14, v14, v3 :: v_dual_cndmask_b32 v65, 0x7f800000, v69
	s_delay_alu instid0(VALU_DEP_1) | instskip(SKIP_2) | instid1(VALU_DEP_4)
	v_mul_f32_e32 v75, 0x3fb8aa3b, v14
	v_ldexp_f32 v69, v70, v73
	v_cmp_nlt_f32_e32 vcc_lo, 0x42b17218, v68
	v_add_f32_e32 v64, v65, v64
	s_delay_alu instid0(VALU_DEP_4) | instskip(SKIP_2) | instid1(VALU_DEP_3)
	v_fma_f32 v70, 0x3fb8aa3b, v14, -v75
	v_cvt_f16_f32_e32 v67, v67
	v_cvt_f16_f32_e32 v65, v65
	v_fmac_f32_e32 v70, 0x32a5705f, v14
	s_wait_alu 0xfffd
	v_cndmask_b32_e32 v68, 0x7f800000, v71, vcc_lo
	v_rndne_f32_e32 v71, v75
	v_cmp_ngt_f32_e32 vcc_lo, 0xc2ce8ed0, v78
	s_delay_alu instid0(VALU_DEP_2) | instskip(SKIP_3) | instid1(VALU_DEP_3)
	v_sub_f32_e32 v75, v75, v71
	s_wait_alu 0xfffd
	v_cndmask_b32_e32 v69, 0, v69, vcc_lo
	v_cmp_nlt_f32_e32 vcc_lo, 0x42b17218, v78
	v_add_f32_e32 v70, v75, v70
	v_sub_f32_e32 v75, v11, v3
	s_wait_alu 0xfffd
	v_cndmask_b32_e32 v69, 0x7f800000, v69, vcc_lo
	v_cmp_ngt_f32_e32 vcc_lo, 0xc2ce8ed0, v14
	s_delay_alu instid0(VALU_DEP_2)
	v_add_f32_e32 v11, v69, v64
	v_exp_f32_e32 v64, v70
	v_mul_f32_e32 v70, 0x3fb8aa3b, v75
	v_cvt_f16_f32_e32 v73, v68
	v_cvt_f16_f32_e32 v69, v69
	v_fmac_f32_e32 v11, v81, v68
	s_delay_alu instid0(VALU_DEP_4) | instskip(NEXT) | instid1(VALU_DEP_1)
	v_fma_f32 v68, 0x3fb8aa3b, v75, -v70
	v_fmac_f32_e32 v68, 0x32a5705f, v75
	v_and_b32_e32 v73, 0xffff, v73
	s_delay_alu instid0(VALU_DEP_1) | instskip(NEXT) | instid1(VALU_DEP_1)
	v_mul_u32_u24_e32 v82, 0x10001, v73
	v_pk_mul_f16 v81, v62, v82
	v_cvt_i32_f32_e32 v62, v71
	v_rndne_f32_e32 v71, v70
	v_pk_mul_f16 v91, v61, v82
	v_sub_f32_e32 v61, v80, v3
	s_delay_alu instid0(VALU_DEP_4) | instskip(NEXT) | instid1(VALU_DEP_4)
	v_ldexp_f32 v62, v64, v62
	v_sub_f32_e32 v64, v70, v71
	v_mul_f32_e32 v70, 0x3fb8aa3b, v13
	s_delay_alu instid0(VALU_DEP_4)
	v_mul_f32_e32 v92, 0x3fb8aa3b, v61
	s_wait_alu 0xfffd
	v_cndmask_b32_e32 v62, 0, v62, vcc_lo
	v_cmp_nlt_f32_e32 vcc_lo, 0x42b17218, v14
	v_fma_f32 v78, 0x3fb8aa3b, v13, -v70
	v_fma_f32 v117, 0x3fb8aa3b, v61, -v92
	v_rndne_f32_e32 v123, v92
	v_rndne_f32_e32 v80, v70
	s_delay_alu instid0(VALU_DEP_4) | instskip(NEXT) | instid1(VALU_DEP_4)
	v_fmac_f32_e32 v78, 0x32a5705f, v13
	v_dual_fmac_f32 v117, 0x32a5705f, v61 :: v_dual_add_f32 v64, v64, v68
	v_mul_f32_e32 v68, 0x3fb8aa3b, v12
	s_delay_alu instid0(VALU_DEP_2) | instskip(NEXT) | instid1(VALU_DEP_1)
	v_exp_f32_e32 v14, v64
	v_rndne_f32_e32 v64, v68
	s_wait_alu 0xfffd
	v_cndmask_b32_e32 v73, 0x7f800000, v62, vcc_lo
	v_fma_f32 v62, 0x3fb8aa3b, v12, -v68
	v_cmp_ngt_f32_e32 vcc_lo, 0xc2ce8ed0, v75
	v_sub_f32_e32 v68, v68, v64
	v_cvt_i32_f32_e32 v64, v64
	s_delay_alu instid0(VALU_DEP_4) | instskip(NEXT) | instid1(VALU_DEP_1)
	v_fmac_f32_e32 v62, 0x32a5705f, v12
	v_add_f32_e32 v62, v68, v62
	v_cvt_i32_f32_e32 v68, v71
	v_sub_f32_e32 v71, v92, v123
	s_delay_alu instid0(VALU_DEP_3) | instskip(NEXT) | instid1(VALU_DEP_2)
	v_exp_f32_e32 v62, v62
	v_ldexp_f32 v14, v14, v68
	s_wait_alu 0xfffd
	s_delay_alu instid0(VALU_DEP_1) | instskip(SKIP_2) | instid1(TRANS32_DEP_1)
	v_cndmask_b32_e32 v14, 0, v14, vcc_lo
	v_cmp_nlt_f32_e32 vcc_lo, 0x42b17218, v75
	v_sub_f32_e32 v70, v70, v80
	v_ldexp_f32 v62, v62, v64
	v_cvt_i32_f32_e32 v64, v123
	s_wait_alu 0xfffd
	v_cndmask_b32_e32 v75, 0x7f800000, v14, vcc_lo
	v_add_f32_e32 v70, v70, v78
	v_cmp_ngt_f32_e32 vcc_lo, 0xc2ce8ed0, v12
	v_cvt_f16_f32_e32 v78, v73
	s_delay_alu instid0(VALU_DEP_3)
	v_exp_f32_e32 v68, v70
	s_wait_alu 0xfffd
	v_cndmask_b32_e32 v62, 0, v62, vcc_lo
	v_add_f32_e32 v70, v71, v117
	v_cvt_i32_f32_e32 v71, v80
	v_cmp_ngt_f32_e32 vcc_lo, 0xc2ce8ed0, v13
	s_delay_alu instid0(TRANS32_DEP_1) | instid1(VALU_DEP_2)
	v_ldexp_f32 v14, v68, v71
	v_add_nc_u32_e32 v68, v41, v32
	s_wait_alu 0xfffd
	s_delay_alu instid0(VALU_DEP_2)
	v_cndmask_b32_e32 v14, 0, v14, vcc_lo
	v_cmp_nlt_f32_e32 vcc_lo, 0x42b17218, v12
	s_wait_alu 0xfffd
	v_cndmask_b32_e32 v71, 0x7f800000, v62, vcc_lo
	v_exp_f32_e32 v70, v70
	v_cmp_nlt_f32_e32 vcc_lo, 0x42b17218, v13
	v_pack_b32_f16 v13, v77, v78
	s_delay_alu instid0(VALU_DEP_3)
	v_cvt_f16_f32_e32 v62, v71
	s_wait_alu 0xfffd
	v_cndmask_b32_e32 v80, 0x7f800000, v14, vcc_lo
	v_cmp_ngt_f32_e32 vcc_lo, 0xc2ce8ed0, v61
	v_cvt_f16_f32_e32 v14, v75
	v_pack_b32_f16 v62, v65, v62
	s_delay_alu instid0(TRANS32_DEP_1) | instskip(SKIP_1) | instid1(VALU_DEP_1)
	v_ldexp_f32 v64, v70, v64
	s_wait_alu 0xfffd
	v_cndmask_b32_e32 v12, 0, v64, vcc_lo
	v_cmp_nlt_f32_e32 vcc_lo, 0x42b17218, v61
	v_cvt_f16_f32_e32 v64, v80
	v_pack_b32_f16 v61, v110, v74
	s_wait_alu 0xfffd
	v_cndmask_b32_e32 v92, 0x7f800000, v12, vcc_lo
	v_pack_b32_f16 v12, v15, v112
	v_pack_b32_f16 v15, v67, v14
	;; [unrolled: 1-line block ×5, first 2 shown]
	ds_store_2addr_b64 v68, v[12:13], v[14:15] offset1:32
	ds_store_2addr_b64 v68, v[61:62], v[64:65] offset0:64 offset1:96
	s_wait_loadcnt 0x3
	ds_store_b128 v42, v[87:90]
	s_wait_loadcnt 0x2
	ds_store_b128 v43, v[96:99]
	;; [unrolled: 2-line block ×4, first 2 shown]
	s_wait_dscnt 0x0
	s_barrier_signal -1
	s_barrier_wait -1
	global_inv scope:SCOPE_SE
	ds_load_b128 v[67:70], v41
	v_pk_mul_f16 v109, v60, v82
	v_add_f32_e32 v60, v73, v75
	v_cvt_f16_f32_e32 v72, v92
	v_pk_mul_f16 v14, v58, v82
	v_add_nc_u32_e32 v58, 0x9000, v32
	v_pk_mul_f16 v15, v59, v82
	v_add_f32_e32 v12, v71, v60
	v_and_b32_e32 v13, 0xffff, v72
	v_pk_mul_f16 v64, v55, v82
	ds_load_2addr_b64 v[59:62], v58 offset1:32
	v_pk_mul_f16 v65, v56, v82
	v_add_f32_e32 v12, v80, v12
	v_mul_u32_u24_e32 v13, 0x10001, v13
	s_delay_alu instid0(VALU_DEP_2) | instskip(NEXT) | instid1(VALU_DEP_2)
	v_fmac_f32_e32 v12, v79, v92
	v_pk_mul_f16 v79, v53, v13
	v_pk_mul_f16 v80, v54, v13
	;; [unrolled: 1-line block ×6, first 2 shown]
	ds_load_b128 v[49:52], v41 offset:16
	s_wait_dscnt 0x2
	v_and_b32_e32 v53, 0xffff, v67
	v_lshrrev_b32_e32 v54, 16, v67
	v_and_b32_e32 v55, 0xffff, v68
	v_pk_mul_f16 v48, v48, v13
	v_pk_mul_f16 v13, v47, v13
	v_lshrrev_b32_e32 v47, 16, v68
	v_mul_u32_u24_e32 v67, 0x10001, v53
	v_mul_u32_u24_e32 v68, 0x10001, v54
	;; [unrolled: 1-line block ×3, first 2 shown]
	ds_load_2addr_b64 v[53:56], v58 offset0:64 offset1:96
	v_mul_u32_u24_e32 v47, 0x10001, v47
	s_wait_dscnt 0x2
	v_pk_mul_f16 v96, v59, v67
	v_pk_mul_f16 v97, v59, v68
	v_pk_mul_f16 v98, v59, v92
	ds_load_b128 v[71:74], v41 offset:32
	ds_load_b128 v[75:78], v41 offset:48
	v_pk_fma_f16 v79, v59, v47, v79
	v_pk_fma_f16 v96, v66, v115, v96
	;; [unrolled: 1-line block ×16, first 2 shown]
	s_wait_dscnt 0x2
	v_pk_fma_f16 v14, v53, v92, v14
	ds_load_2addr_b64 v[59:62], v58 offset0:128 offset1:160
	v_pk_fma_f16 v15, v54, v92, v15
	v_pk_fma_f16 v103, v55, v92, v64
	;; [unrolled: 1-line block ×3, first 2 shown]
	ds_load_2addr_b64 v[63:66], v58 offset0:192 offset1:224
	v_pk_fma_f16 v99, v53, v67, v119
	v_pk_fma_f16 v100, v53, v68, v113
	;; [unrolled: 1-line block ×9, first 2 shown]
	v_and_b32_e32 v48, 0xffff, v69
	v_lshrrev_b32_e32 v54, 16, v69
	v_and_b32_e32 v55, 0xffff, v70
	v_lshrrev_b32_e32 v69, 16, v70
	v_pk_fma_f16 v67, v56, v67, v122
	v_mul_u32_u24_e32 v70, 0x10001, v48
	v_mul_u32_u24_e32 v105, 0x10001, v54
	;; [unrolled: 1-line block ×4, first 2 shown]
	v_add_nc_u32_e32 v48, 0x9800, v32
	v_pk_fma_f16 v68, v56, v68, v116
	v_pk_fma_f16 v13, v56, v47, v13
	s_wait_dscnt 0x1
	v_pk_fma_f16 v47, v59, v70, v96
	v_pk_fma_f16 v96, v62, v70, v97
	;; [unrolled: 1-line block ×3, first 2 shown]
	s_wait_dscnt 0x0
	v_pk_fma_f16 v98, v63, v70, v99
	v_pk_fma_f16 v99, v63, v105, v100
	;; [unrolled: 1-line block ×4, first 2 shown]
	ds_load_2addr_b64 v[53:56], v48 offset1:32
	v_pk_fma_f16 v84, v59, v105, v84
	v_pk_fma_f16 v57, v59, v106, v57
	;; [unrolled: 1-line block ×21, first 2 shown]
	v_and_b32_e32 v92, 0xffff, v49
	v_lshrrev_b32_e32 v49, 16, v49
	v_and_b32_e32 v102, 0xffff, v50
	v_lshrrev_b32_e32 v50, 16, v50
	ds_load_2addr_b64 v[59:62], v48 offset0:64 offset1:96
	v_mul_u32_u24_e32 v92, 0x10001, v92
	v_mul_u32_u24_e32 v49, 0x10001, v49
	;; [unrolled: 1-line block ×4, first 2 shown]
	v_pk_fma_f16 v101, v65, v106, v103
	v_pk_fma_f16 v65, v65, v69, v104
	;; [unrolled: 1-line block ×3, first 2 shown]
	s_wait_dscnt 0x1
	v_pk_fma_f16 v47, v53, v92, v47
	v_pk_fma_f16 v69, v53, v49, v84
	;; [unrolled: 1-line block ×16, first 2 shown]
	ds_load_2addr_b64 v[53:56], v48 offset0:128 offset1:160
	v_pk_fma_f16 v68, v66, v105, v68
	s_wait_dscnt 0x1
	v_pk_fma_f16 v97, v59, v92, v98
	v_pk_fma_f16 v98, v59, v49, v99
	;; [unrolled: 1-line block ×14, first 2 shown]
	v_and_b32_e32 v49, 0xffff, v51
	v_lshrrev_b32_e32 v51, 16, v51
	v_and_b32_e32 v92, 0xffff, v52
	v_lshrrev_b32_e32 v52, 16, v52
	ds_load_2addr_b64 v[63:66], v48 offset0:192 offset1:224
	v_pk_fma_f16 v70, v62, v102, v70
	v_mul_u32_u24_e32 v101, 0x10001, v49
	v_mul_u32_u24_e32 v102, 0x10001, v51
	;; [unrolled: 1-line block ×4, first 2 shown]
	v_add_nc_u32_e32 v49, 0xa000, v32
	v_pk_fma_f16 v13, v62, v50, v13
	s_wait_dscnt 0x1
	v_pk_fma_f16 v47, v53, v101, v47
	v_pk_fma_f16 v62, v53, v102, v69
	;; [unrolled: 1-line block ×4, first 2 shown]
	ds_load_2addr_b64 v[50:53], v49 offset1:32
	v_pk_fma_f16 v82, v54, v101, v82
	v_pk_fma_f16 v83, v54, v102, v83
	;; [unrolled: 1-line block ×12, first 2 shown]
	ds_load_2addr_b64 v[54:57], v49 offset0:64 offset1:96
	s_wait_dscnt 0x2
	v_pk_fma_f16 v97, v63, v101, v97
	v_pk_fma_f16 v98, v63, v102, v98
	v_pk_fma_f16 v14, v63, v92, v14
	v_pk_fma_f16 v59, v63, v103, v59
	v_pk_fma_f16 v63, v64, v101, v89
	v_pk_fma_f16 v89, v64, v102, v95
	v_pk_fma_f16 v15, v64, v92, v15
	v_pk_fma_f16 v60, v64, v103, v60
	v_pk_fma_f16 v64, v65, v101, v90
	v_pk_fma_f16 v90, v65, v102, v99
	v_pk_fma_f16 v95, v65, v92, v100
	v_pk_fma_f16 v61, v65, v103, v61
	v_pk_fma_f16 v65, v66, v101, v67
	v_pk_fma_f16 v67, v66, v102, v68
	v_pk_fma_f16 v68, v66, v92, v70
	v_and_b32_e32 v70, 0xffff, v71
	v_lshrrev_b32_e32 v71, 16, v71
	v_and_b32_e32 v92, 0xffff, v72
	v_lshrrev_b32_e32 v72, 16, v72
	v_pk_fma_f16 v13, v66, v103, v13
	v_mul_u32_u24_e32 v70, 0x10001, v70
	v_mul_u32_u24_e32 v71, 0x10001, v71
	;; [unrolled: 1-line block ×4, first 2 shown]
	s_wait_dscnt 0x1
	v_pk_fma_f16 v47, v50, v70, v47
	v_pk_fma_f16 v66, v50, v71, v62
	;; [unrolled: 1-line block ×16, first 2 shown]
	ds_load_2addr_b64 v[50:53], v49 offset0:128 offset1:160
	s_wait_dscnt 0x1
	v_pk_fma_f16 v97, v54, v70, v97
	v_pk_fma_f16 v98, v54, v71, v98
	;; [unrolled: 1-line block ×12, first 2 shown]
	ds_load_2addr_b64 v[59:62], v49 offset0:192 offset1:224
	v_pk_fma_f16 v65, v57, v70, v65
	v_pk_fma_f16 v67, v57, v71, v67
	v_and_b32_e32 v70, 0xffff, v73
	v_lshrrev_b32_e32 v71, 16, v73
	v_and_b32_e32 v73, 0xffff, v74
	v_lshrrev_b32_e32 v74, 16, v74
	v_pk_fma_f16 v68, v57, v92, v68
	v_mul_u32_u24_e32 v70, 0x10001, v70
	v_mul_u32_u24_e32 v71, 0x10001, v71
	;; [unrolled: 1-line block ×4, first 2 shown]
	v_pk_fma_f16 v13, v57, v72, v13
	s_wait_dscnt 0x1
	v_pk_fma_f16 v47, v50, v70, v47
	v_pk_fma_f16 v57, v50, v71, v66
	;; [unrolled: 1-line block ×4, first 2 shown]
	v_add_nc_u32_e32 v50, 0xa800, v32
	v_pk_fma_f16 v79, v51, v70, v82
	v_pk_fma_f16 v82, v51, v71, v83
	;; [unrolled: 1-line block ×12, first 2 shown]
	s_wait_dscnt 0x0
	v_pk_fma_f16 v94, v59, v70, v97
	v_pk_fma_f16 v96, v59, v71, v98
	;; [unrolled: 1-line block ×4, first 2 shown]
	ds_load_2addr_b64 v[51:54], v50 offset1:32
	v_pk_fma_f16 v97, v60, v70, v63
	v_pk_fma_f16 v89, v60, v71, v89
	;; [unrolled: 1-line block ×9, first 2 shown]
	ds_load_2addr_b64 v[63:66], v50 offset0:64 offset1:96
	v_pk_fma_f16 v67, v62, v71, v67
	v_pk_fma_f16 v68, v62, v73, v68
	v_and_b32_e32 v70, 0xffff, v75
	v_lshrrev_b32_e32 v71, 16, v75
	v_and_b32_e32 v73, 0xffff, v76
	v_lshrrev_b32_e32 v75, 16, v76
	v_pk_fma_f16 v13, v62, v74, v13
	v_mul_u32_u24_e32 v70, 0x10001, v70
	v_mul_u32_u24_e32 v71, 0x10001, v71
	;; [unrolled: 1-line block ×4, first 2 shown]
	s_wait_dscnt 0x1
	v_pk_fma_f16 v47, v51, v70, v47
	v_pk_fma_f16 v57, v51, v71, v57
	;; [unrolled: 1-line block ×16, first 2 shown]
	ds_load_2addr_b64 v[51:54], v50 offset0:128 offset1:160
	s_wait_dscnt 0x1
	v_pk_fma_f16 v158, v63, v75, v59
	v_pk_fma_f16 v163, v65, v70, v60
	;; [unrolled: 1-line block ×3, first 2 shown]
	ds_load_2addr_b64 v[59:62], v50 offset0:192 offset1:224
	v_pk_fma_f16 v166, v65, v75, v56
	v_and_b32_e32 v56, 0xffff, v78
	v_pk_fma_f16 v92, v63, v70, v94
	v_pk_fma_f16 v93, v63, v71, v96
	;; [unrolled: 1-line block ×3, first 2 shown]
	v_lshrrev_b32_e32 v63, 16, v78
	v_pk_fma_f16 v162, v64, v75, v55
	v_lshrrev_b32_e32 v55, 16, v77
	v_pk_fma_f16 v161, v64, v73, v15
	v_and_b32_e32 v15, 0xffff, v77
	v_mul_u32_u24_e32 v172, 0x10001, v56
	v_mul_u32_u24_e32 v173, 0x10001, v63
	;; [unrolled: 1-line block ×3, first 2 shown]
	s_wait_alu 0xfffe
	v_add_co_u32 v55, vcc_lo, s26, v27
	v_mul_u32_u24_e32 v170, 0x10001, v15
	s_wait_dscnt 0x1
	v_pk_fma_f16 v184, v53, v172, v83
	s_wait_alu 0xfffd
	v_add_co_ci_u32_e64 v56, null, s27, v28, vcc_lo
	v_add_co_u32 v83, vcc_lo, s26, v29
	v_pk_fma_f16 v185, v53, v173, v84
	s_wait_alu 0xfffd
	v_add_co_ci_u32_e64 v84, null, s27, v30, vcc_lo
	v_add_co_u32 v55, vcc_lo, v55, v85
	v_pk_fma_f16 v174, v66, v75, v13
	v_pk_fma_f16 v175, v51, v170, v47
	v_add_nc_u32_e32 v47, 0xb000, v32
	s_wait_dscnt 0x0
	v_pk_fma_f16 v192, v59, v172, v14
	v_add_nc_u32_e32 v14, 0xc000, v32
	v_add_nc_u32_e32 v13, 0xc800, v32
	s_wait_alu 0xfffd
	v_add_co_ci_u32_e64 v56, null, 0, v56, vcc_lo
	v_add_co_u32 v83, vcc_lo, v83, v85
	v_add_nc_u32_e32 v15, 0xb800, v32
	s_wait_alu 0xfffd
	v_add_co_ci_u32_e64 v84, null, 0, v84, vcc_lo
	v_pk_fma_f16 v159, v64, v70, v97
	v_pk_fma_f16 v160, v64, v71, v89
	;; [unrolled: 1-line block ×21, first 2 shown]
	ds_load_2addr_b64 v[51:54], v47 offset1:32
	ds_load_2addr_b64 v[63:66], v47 offset0:64 offset1:96
	ds_load_2addr_b64 v[67:70], v47 offset0:128 offset1:160
	;; [unrolled: 1-line block ×3, first 2 shown]
	ds_load_2addr_b64 v[75:78], v15 offset1:32
	ds_load_2addr_b64 v[79:82], v15 offset0:64 offset1:96
	ds_load_b128 v[86:89], v41 offset:64
	ds_load_b128 v[90:93], v41 offset:80
	ds_load_2addr_b64 v[94:97], v15 offset0:128 offset1:160
	ds_load_2addr_b64 v[98:101], v15 offset0:192 offset1:224
	ds_load_2addr_b64 v[102:105], v14 offset1:32
	ds_load_2addr_b64 v[106:109], v14 offset0:64 offset1:96
	ds_load_2addr_b64 v[110:113], v14 offset0:128 offset1:160
	;; [unrolled: 1-line block ×3, first 2 shown]
	ds_load_2addr_b64 v[118:121], v13 offset1:32
	ds_load_2addr_b64 v[122:125], v13 offset0:64 offset1:96
	ds_load_b128 v[126:129], v41 offset:96
	ds_load_b128 v[130:133], v41 offset:112
	ds_load_2addr_b64 v[134:137], v13 offset0:128 offset1:160
	ds_load_2addr_b64 v[138:141], v13 offset0:192 offset1:224
	s_wait_loadcnt_dscnt 0x0
	s_barrier_signal -1
	s_barrier_wait -1
	global_inv scope:SCOPE_SE
	s_clause 0x3
	global_load_b128 v[142:145], v[55:56], off
	global_load_b128 v[146:149], v[55:56], off offset:512
	global_load_b128 v[150:153], v[83:84], off
	global_load_b128 v[154:157], v[83:84], off offset:512
	v_pk_fma_f16 v55, v59, v173, v158
	v_pk_fma_f16 v56, v60, v170, v159
	;; [unrolled: 1-line block ×6, first 2 shown]
	v_and_b32_e32 v162, 0xffff, v86
	v_lshrrev_b32_e32 v86, 16, v86
	v_and_b32_e32 v163, 0xffff, v87
	v_lshrrev_b32_e32 v87, 16, v87
	v_pk_fma_f16 v158, v61, v171, v164
	v_pk_fma_f16 v159, v61, v172, v165
	v_mul_u32_u24_e32 v162, 0x10001, v162
	v_mul_u32_u24_e32 v86, 0x10001, v86
	;; [unrolled: 1-line block ×4, first 2 shown]
	v_pk_fma_f16 v61, v61, v173, v166
	v_pk_fma_f16 v160, v62, v170, v167
	;; [unrolled: 1-line block ×19, first 2 shown]
	v_and_b32_e32 v158, 0xffff, v88
	v_lshrrev_b32_e32 v88, 16, v88
	v_and_b32_e32 v159, 0xffff, v89
	v_lshrrev_b32_e32 v89, 16, v89
	v_pk_fma_f16 v164, v62, v172, v169
	v_pk_fma_f16 v62, v62, v173, v174
	;; [unrolled: 1-line block ×15, first 2 shown]
	v_mul_u32_u24_e32 v158, 0x10001, v158
	v_mul_u32_u24_e32 v88, 0x10001, v88
	;; [unrolled: 1-line block ×4, first 2 shown]
	v_pk_fma_f16 v65, v66, v162, v160
	v_pk_fma_f16 v160, v66, v163, v164
	;; [unrolled: 1-line block ×32, first 2 shown]
	v_and_b32_e32 v83, 0xffff, v90
	v_lshrrev_b32_e32 v84, 16, v90
	v_and_b32_e32 v86, 0xffff, v91
	v_lshrrev_b32_e32 v88, 16, v91
	v_pk_fma_f16 v65, v74, v158, v65
	v_mul_u32_u24_e32 v83, 0x10001, v83
	v_mul_u32_u24_e32 v84, 0x10001, v84
	;; [unrolled: 1-line block ×4, first 2 shown]
	v_pk_fma_f16 v90, v74, v159, v160
	v_pk_fma_f16 v56, v80, v83, v56
	;; [unrolled: 1-line block ×5, first 2 shown]
	v_lshrrev_b32_e32 v80, 16, v92
	v_pk_fma_f16 v62, v74, v89, v62
	v_pk_fma_f16 v66, v75, v83, v66
	;; [unrolled: 1-line block ×20, first 2 shown]
	v_mul_u32_u24_e32 v80, 0x10001, v80
	v_pk_fma_f16 v64, v81, v83, v64
	v_pk_fma_f16 v72, v81, v86, v72
	v_pk_fma_f16 v61, v81, v88, v61
	v_and_b32_e32 v81, 0xffff, v93
	v_pk_fma_f16 v57, v94, v80, v57
	v_pk_fma_f16 v75, v95, v80, v75
	;; [unrolled: 1-line block ×8, first 2 shown]
	v_lshrrev_b32_e32 v80, 16, v126
	v_pk_fma_f16 v70, v79, v83, v70
	v_pk_fma_f16 v158, v79, v86, v168
	;; [unrolled: 1-line block ×3, first 2 shown]
	v_and_b32_e32 v79, 0xffff, v92
	v_mul_u32_u24_e32 v81, 0x10001, v81
	v_mul_u32_u24_e32 v80, 0x10001, v80
	v_pk_fma_f16 v65, v82, v83, v65
	v_lshrrev_b32_e32 v83, 16, v93
	v_pk_fma_f16 v84, v82, v86, v90
	v_mul_u32_u24_e32 v79, 0x10001, v79
	v_pk_fma_f16 v86, v96, v81, v89
	v_and_b32_e32 v89, 0xffff, v127
	v_pk_fma_f16 v57, v102, v80, v57
	v_pk_fma_f16 v75, v103, v80, v75
	;; [unrolled: 1-line block ×8, first 2 shown]
	v_lshrrev_b32_e32 v80, 16, v128
	v_mul_u32_u24_e32 v83, 0x10001, v83
	v_pk_fma_f16 v62, v82, v88, v62
	v_pk_fma_f16 v66, v94, v79, v66
	;; [unrolled: 1-line block ×15, first 2 shown]
	v_and_b32_e32 v79, 0xffff, v126
	v_lshrrev_b32_e32 v90, 16, v127
	v_pk_fma_f16 v81, v101, v81, v84
	v_mul_u32_u24_e32 v84, 0x10001, v89
	v_mul_u32_u24_e32 v80, 0x10001, v80
	v_pk_fma_f16 v51, v94, v83, v51
	v_pk_fma_f16 v52, v95, v83, v52
	;; [unrolled: 1-line block ×7, first 2 shown]
	v_mul_u32_u24_e32 v79, 0x10001, v79
	v_mul_u32_u24_e32 v89, 0x10001, v90
	v_pk_fma_f16 v62, v101, v83, v62
	v_pk_fma_f16 v83, v104, v84, v86
	;; [unrolled: 1-line block ×4, first 2 shown]
	v_and_b32_e32 v88, 0xffff, v129
	v_lshrrev_b32_e32 v90, 16, v129
	v_pk_fma_f16 v57, v110, v80, v57
	v_pk_fma_f16 v75, v111, v80, v75
	;; [unrolled: 1-line block ×8, first 2 shown]
	v_lshrrev_b32_e32 v80, 16, v130
	v_pk_fma_f16 v66, v102, v79, v66
	v_pk_fma_f16 v74, v102, v84, v74
	;; [unrolled: 1-line block ×19, first 2 shown]
	v_and_b32_e32 v79, 0xffff, v128
	v_pk_fma_f16 v81, v109, v84, v81
	v_mul_u32_u24_e32 v84, 0x10001, v88
	v_mul_u32_u24_e32 v88, 0x10001, v90
	v_pk_fma_f16 v62, v109, v89, v62
	v_and_b32_e32 v89, 0xffff, v131
	v_lshrrev_b32_e32 v90, 16, v131
	v_mul_u32_u24_e32 v80, 0x10001, v80
	v_mul_u32_u24_e32 v79, 0x10001, v79
	v_pk_fma_f16 v74, v110, v84, v74
	v_pk_fma_f16 v51, v110, v88, v51
	v_pk_fma_f16 v82, v111, v84, v82
	v_pk_fma_f16 v52, v111, v88, v52
	v_pk_fma_f16 v83, v112, v84, v83
	v_pk_fma_f16 v53, v112, v88, v53
	v_pk_fma_f16 v86, v113, v84, v86
	v_pk_fma_f16 v54, v113, v88, v54
	v_pk_fma_f16 v87, v114, v84, v87
	v_pk_fma_f16 v63, v115, v84, v63
	v_pk_fma_f16 v72, v116, v84, v72
	v_pk_fma_f16 v81, v117, v84, v81
	v_mul_u32_u24_e32 v84, 0x10001, v89
	v_mul_u32_u24_e32 v89, 0x10001, v90
	v_pk_fma_f16 v57, v118, v80, v57
	v_pk_fma_f16 v75, v119, v80, v75
	;; [unrolled: 1-line block ×8, first 2 shown]
	v_lshrrev_b32_e32 v80, 16, v133
	v_pk_fma_f16 v66, v110, v79, v66
	v_pk_fma_f16 v67, v111, v79, v67
	;; [unrolled: 1-line block ×11, first 2 shown]
	v_and_b32_e32 v79, 0xffff, v130
	v_pk_fma_f16 v62, v117, v88, v62
	v_pk_fma_f16 v51, v118, v89, v51
	;; [unrolled: 1-line block ×5, first 2 shown]
	v_and_b32_e32 v54, 0xffff, v132
	v_mul_u32_u24_e32 v80, 0x10001, v80
	v_mul_u32_u24_e32 v79, 0x10001, v79
	v_pk_fma_f16 v74, v118, v84, v74
	v_pk_fma_f16 v82, v119, v84, v82
	;; [unrolled: 1-line block ×8, first 2 shown]
	v_lshrrev_b32_e32 v61, 16, v132
	v_pk_fma_f16 v81, v125, v84, v81
	v_mul_u32_u24_e32 v84, 0x10001, v54
	v_pk_fma_f16 v94, v134, v80, v51
	v_pk_fma_f16 v97, v135, v80, v52
	;; [unrolled: 1-line block ×3, first 2 shown]
	s_wait_loadcnt 0x3
	ds_store_b128 v42, v[142:145]
	s_wait_loadcnt 0x2
	ds_store_b128 v43, v[146:149]
	s_wait_loadcnt 0x1
	ds_store_b128 v44, v[150:153]
	s_wait_loadcnt 0x0
	ds_store_b128 v45, v[154:157]
	s_wait_dscnt 0x0
	s_barrier_signal -1
	s_barrier_wait -1
	global_inv scope:SCOPE_SE
	ds_load_b128 v[51:54], v41 offset:128
	v_pk_fma_f16 v67, v119, v79, v67
	v_pk_fma_f16 v68, v120, v79, v68
	;; [unrolled: 1-line block ×5, first 2 shown]
	v_mul_u32_u24_e32 v91, 0x10001, v61
	v_pk_fma_f16 v66, v118, v79, v66
	v_pk_fma_f16 v55, v122, v89, v55
	;; [unrolled: 1-line block ×5, first 2 shown]
	v_and_b32_e32 v79, 0xffff, v133
	v_pk_fma_f16 v89, v125, v89, v62
	v_pk_fma_f16 v95, v135, v84, v67
	;; [unrolled: 1-line block ×7, first 2 shown]
	ds_load_2addr_b64 v[59:62], v58 offset1:32
	ds_load_2addr_b64 v[67:70], v58 offset0:64 offset1:96
	v_mul_u32_u24_e32 v79, 0x10001, v79
	v_pk_fma_f16 v92, v134, v84, v66
	v_pk_fma_f16 v56, v139, v84, v56
	;; [unrolled: 1-line block ×7, first 2 shown]
	ds_load_b128 v[63:66], v41 offset:144
	s_wait_dscnt 0x3
	v_and_b32_e32 v71, 0xffff, v51
	v_lshrrev_b32_e32 v51, 16, v51
	v_and_b32_e32 v72, 0xffff, v52
	v_lshrrev_b32_e32 v52, 16, v52
	v_pk_fma_f16 v57, v134, v91, v57
	v_pk_fma_f16 v93, v134, v79, v74
	v_pk_fma_f16 v96, v135, v91, v75
	v_pk_fma_f16 v82, v135, v79, v82
	v_pk_fma_f16 v99, v136, v91, v76
	v_pk_fma_f16 v83, v136, v79, v83
	v_pk_fma_f16 v102, v137, v91, v77
	v_pk_fma_f16 v86, v137, v79, v86
	v_pk_fma_f16 v88, v137, v80, v88
	v_pk_fma_f16 v104, v138, v91, v78
	v_pk_fma_f16 v87, v138, v79, v87
	v_pk_fma_f16 v55, v138, v80, v55
	v_pk_fma_f16 v90, v140, v80, v90
	v_pk_fma_f16 v91, v141, v91, v73
	v_pk_fma_f16 v79, v141, v79, v81
	v_pk_fma_f16 v80, v141, v80, v89
	v_mul_u32_u24_e32 v81, 0x10001, v71
	v_mul_u32_u24_e32 v51, 0x10001, v51
	;; [unrolled: 1-line block ×4, first 2 shown]
	ds_load_b128 v[71:74], v41 offset:160
	ds_load_b128 v[75:78], v41 offset:176
	s_wait_dscnt 0x4
	v_pk_fma_f16 v92, v59, v81, v92
	v_pk_fma_f16 v57, v59, v51, v57
	;; [unrolled: 1-line block ×16, first 2 shown]
	s_wait_dscnt 0x3
	v_pk_fma_f16 v103, v67, v81, v103
	v_pk_fma_f16 v104, v67, v51, v104
	;; [unrolled: 1-line block ×6, first 2 shown]
	ds_load_2addr_b64 v[59:62], v58 offset0:128 offset1:160
	v_pk_fma_f16 v105, v68, v89, v106
	v_pk_fma_f16 v68, v68, v111, v107
	;; [unrolled: 1-line block ×9, first 2 shown]
	v_and_b32_e32 v89, 0xffff, v53
	v_lshrrev_b32_e32 v90, 16, v53
	v_and_b32_e32 v91, 0xffff, v54
	v_lshrrev_b32_e32 v109, 16, v54
	ds_load_2addr_b64 v[51:54], v58 offset0:192 offset1:224
	v_mul_u32_u24_e32 v89, 0x10001, v89
	v_mul_u32_u24_e32 v90, 0x10001, v90
	;; [unrolled: 1-line block ×4, first 2 shown]
	v_pk_fma_f16 v80, v70, v111, v80
	s_wait_dscnt 0x1
	v_pk_fma_f16 v92, v59, v89, v92
	v_pk_fma_f16 v57, v59, v90, v57
	;; [unrolled: 1-line block ×16, first 2 shown]
	s_wait_dscnt 0x0
	v_pk_fma_f16 v103, v51, v89, v103
	v_pk_fma_f16 v104, v51, v90, v104
	;; [unrolled: 1-line block ×6, first 2 shown]
	ds_load_2addr_b64 v[59:62], v48 offset1:32
	v_pk_fma_f16 v110, v52, v109, v68
	v_pk_fma_f16 v111, v53, v109, v69
	ds_load_2addr_b64 v[67:70], v48 offset0:64 offset1:96
	v_pk_fma_f16 v105, v52, v91, v105
	v_pk_fma_f16 v106, v53, v89, v106
	;; [unrolled: 1-line block ×4, first 2 shown]
	v_and_b32_e32 v52, 0xffff, v63
	v_lshrrev_b32_e32 v53, 16, v63
	v_and_b32_e32 v63, 0xffff, v64
	v_lshrrev_b32_e32 v64, 16, v64
	v_pk_fma_f16 v81, v54, v89, v81
	v_pk_fma_f16 v84, v54, v90, v84
	v_mul_u32_u24_e32 v89, 0x10001, v52
	v_mul_u32_u24_e32 v90, 0x10001, v53
	;; [unrolled: 1-line block ×4, first 2 shown]
	v_pk_fma_f16 v79, v54, v91, v79
	v_pk_fma_f16 v80, v54, v109, v80
	s_wait_dscnt 0x1
	v_pk_fma_f16 v91, v59, v89, v92
	v_pk_fma_f16 v92, v59, v63, v93
	;; [unrolled: 1-line block ×11, first 2 shown]
	s_wait_dscnt 0x0
	v_pk_fma_f16 v102, v67, v89, v103
	v_pk_fma_f16 v103, v67, v90, v104
	;; [unrolled: 1-line block ×4, first 2 shown]
	ds_load_2addr_b64 v[51:54], v48 offset0:128 offset1:160
	v_pk_fma_f16 v57, v59, v90, v57
	v_pk_fma_f16 v82, v60, v63, v82
	;; [unrolled: 1-line block ×12, first 2 shown]
	v_and_b32_e32 v79, 0xffff, v65
	v_lshrrev_b32_e32 v65, 16, v65
	v_and_b32_e32 v89, 0xffff, v66
	v_lshrrev_b32_e32 v66, 16, v66
	ds_load_2addr_b64 v[59:62], v48 offset0:192 offset1:224
	v_pk_fma_f16 v56, v68, v90, v56
	v_pk_fma_f16 v84, v70, v90, v84
	v_mul_u32_u24_e32 v79, 0x10001, v79
	v_mul_u32_u24_e32 v65, 0x10001, v65
	;; [unrolled: 1-line block ×4, first 2 shown]
	v_pk_fma_f16 v70, v70, v64, v80
	s_wait_dscnt 0x1
	v_pk_fma_f16 v80, v51, v79, v91
	v_pk_fma_f16 v57, v51, v65, v57
	;; [unrolled: 1-line block ×16, first 2 shown]
	ds_load_2addr_b64 v[51:54], v49 offset1:32
	v_pk_fma_f16 v68, v68, v64, v110
	v_pk_fma_f16 v69, v69, v64, v111
	s_wait_dscnt 0x1
	v_pk_fma_f16 v101, v59, v79, v102
	v_pk_fma_f16 v102, v59, v65, v103
	;; [unrolled: 1-line block ×15, first 2 shown]
	v_and_b32_e32 v84, 0xffff, v71
	v_lshrrev_b32_e32 v71, 16, v71
	v_and_b32_e32 v89, 0xffff, v72
	v_lshrrev_b32_e32 v72, 16, v72
	ds_load_2addr_b64 v[63:66], v49 offset0:64 offset1:96
	v_mul_u32_u24_e32 v84, 0x10001, v84
	v_mul_u32_u24_e32 v71, 0x10001, v71
	;; [unrolled: 1-line block ×4, first 2 shown]
	v_pk_fma_f16 v70, v62, v90, v70
	s_wait_dscnt 0x1
	v_pk_fma_f16 v80, v51, v84, v80
	v_pk_fma_f16 v57, v51, v71, v57
	;; [unrolled: 1-line block ×16, first 2 shown]
	ds_load_2addr_b64 v[51:54], v49 offset0:128 offset1:160
	s_wait_dscnt 0x1
	v_pk_fma_f16 v100, v63, v84, v101
	v_pk_fma_f16 v101, v63, v71, v102
	;; [unrolled: 1-line block ×15, first 2 shown]
	v_and_b32_e32 v81, 0xffff, v73
	v_lshrrev_b32_e32 v73, 16, v73
	v_and_b32_e32 v84, 0xffff, v74
	v_lshrrev_b32_e32 v74, 16, v74
	ds_load_2addr_b64 v[59:62], v49 offset0:192 offset1:224
	v_mul_u32_u24_e32 v81, 0x10001, v81
	v_mul_u32_u24_e32 v73, 0x10001, v73
	;; [unrolled: 1-line block ×4, first 2 shown]
	v_pk_fma_f16 v70, v66, v72, v70
	s_wait_dscnt 0x1
	v_pk_fma_f16 v72, v51, v81, v80
	v_pk_fma_f16 v57, v51, v73, v57
	;; [unrolled: 1-line block ×16, first 2 shown]
	ds_load_2addr_b64 v[51:54], v50 offset1:32
	s_wait_dscnt 0x1
	v_pk_fma_f16 v98, v59, v81, v100
	v_pk_fma_f16 v99, v59, v73, v101
	;; [unrolled: 1-line block ×15, first 2 shown]
	v_and_b32_e32 v79, 0xffff, v75
	v_lshrrev_b32_e32 v75, 16, v75
	v_and_b32_e32 v81, 0xffff, v76
	v_lshrrev_b32_e32 v76, 16, v76
	ds_load_2addr_b64 v[63:66], v50 offset0:64 offset1:96
	v_mul_u32_u24_e32 v79, 0x10001, v79
	v_mul_u32_u24_e32 v75, 0x10001, v75
	;; [unrolled: 1-line block ×4, first 2 shown]
	v_pk_fma_f16 v70, v62, v74, v70
	s_wait_dscnt 0x1
	v_pk_fma_f16 v72, v51, v79, v72
	v_pk_fma_f16 v57, v51, v75, v57
	;; [unrolled: 1-line block ×16, first 2 shown]
	ds_load_2addr_b64 v[51:54], v50 offset0:128 offset1:160
	s_or_b32 s26, s4, 32
	s_wait_dscnt 0x1
	v_pk_fma_f16 v96, v63, v79, v98
	v_pk_fma_f16 v97, v63, v75, v99
	;; [unrolled: 1-line block ×6, first 2 shown]
	v_and_b32_e32 v63, 0xffff, v78
	ds_load_2addr_b64 v[59:62], v50 offset0:192 offset1:224
	s_wait_alu 0xfffe
	s_ashr_i32 s27, s26, 31
	v_pk_fma_f16 v159, v64, v79, v55
	v_and_b32_e32 v55, 0xffff, v77
	s_wait_alu 0xfffe
	s_mul_u64 s[26:27], s[26:27], s[14:15]
	v_pk_fma_f16 v160, v64, v75, v56
	s_wait_alu 0xfffe
	s_lshl_b64 s[26:27], s[26:27], 2
	v_lshrrev_b32_e32 v56, 16, v77
	v_mul_u32_u24_e32 v172, 0x10001, v63
	s_wait_alu 0xfffe
	s_add_nc_u64 s[26:27], s[8:9], s[26:27]
	v_mul_u32_u24_e32 v170, 0x10001, v55
	s_wait_alu 0xfffe
	v_add_co_u32 v55, vcc_lo, s26, v27
	v_pk_fma_f16 v161, v64, v81, v67
	v_lshrrev_b32_e32 v64, 16, v78
	v_mul_u32_u24_e32 v171, 0x10001, v56
	s_wait_dscnt 0x1
	v_pk_fma_f16 v184, v53, v172, v83
	s_wait_alu 0xfffd
	v_add_co_ci_u32_e64 v56, null, s27, v28, vcc_lo
	v_add_co_u32 v83, vcc_lo, s26, v29
	v_pk_fma_f16 v178, v52, v170, v84
	s_wait_alu 0xfffd
	v_add_co_ci_u32_e64 v84, null, s27, v30, vcc_lo
	v_add_co_u32 v55, vcc_lo, v55, v85
	v_mul_u32_u24_e32 v173, 0x10001, v64
	s_wait_alu 0xfffd
	v_add_co_ci_u32_e64 v56, null, 0, v56, vcc_lo
	v_add_co_u32 v83, vcc_lo, v83, v85
	s_wait_alu 0xfffd
	v_add_co_ci_u32_e64 v84, null, 0, v84, vcc_lo
	v_pk_fma_f16 v163, v65, v79, v68
	v_pk_fma_f16 v164, v65, v75, v100
	;; [unrolled: 1-line block ×21, first 2 shown]
	s_wait_dscnt 0x0
	v_pk_fma_f16 v190, v59, v170, v96
	v_pk_fma_f16 v191, v59, v171, v97
	;; [unrolled: 1-line block ×3, first 2 shown]
	ds_load_2addr_b64 v[51:54], v47 offset1:32
	ds_load_2addr_b64 v[63:66], v47 offset0:64 offset1:96
	ds_load_2addr_b64 v[67:70], v47 offset0:128 offset1:160
	;; [unrolled: 1-line block ×3, first 2 shown]
	ds_load_2addr_b64 v[75:78], v15 offset1:32
	ds_load_2addr_b64 v[79:82], v15 offset0:64 offset1:96
	ds_load_b128 v[86:89], v41 offset:192
	ds_load_b128 v[90:93], v41 offset:208
	ds_load_2addr_b64 v[94:97], v15 offset0:128 offset1:160
	ds_load_2addr_b64 v[98:101], v15 offset0:192 offset1:224
	ds_load_2addr_b64 v[102:105], v14 offset1:32
	ds_load_2addr_b64 v[106:109], v14 offset0:64 offset1:96
	ds_load_2addr_b64 v[110:113], v14 offset0:128 offset1:160
	;; [unrolled: 1-line block ×3, first 2 shown]
	ds_load_2addr_b64 v[118:121], v13 offset1:32
	ds_load_2addr_b64 v[122:125], v13 offset0:64 offset1:96
	ds_load_b128 v[126:129], v41 offset:224
	ds_load_b128 v[130:133], v41 offset:240
	ds_load_2addr_b64 v[134:137], v13 offset0:128 offset1:160
	ds_load_2addr_b64 v[138:141], v13 offset0:192 offset1:224
	s_wait_loadcnt_dscnt 0x0
	s_barrier_signal -1
	s_barrier_wait -1
	global_inv scope:SCOPE_SE
	s_clause 0x3
	global_load_b128 v[142:145], v[55:56], off
	global_load_b128 v[146:149], v[55:56], off offset:512
	global_load_b128 v[150:153], v[83:84], off
	global_load_b128 v[154:157], v[83:84], off offset:512
	v_pk_fma_f16 v55, v59, v173, v158
	v_pk_fma_f16 v56, v60, v170, v159
	;; [unrolled: 1-line block ×6, first 2 shown]
	v_and_b32_e32 v162, 0xffff, v86
	v_lshrrev_b32_e32 v86, 16, v86
	v_and_b32_e32 v163, 0xffff, v87
	v_lshrrev_b32_e32 v87, 16, v87
	v_pk_fma_f16 v158, v61, v171, v164
	v_pk_fma_f16 v159, v61, v172, v165
	v_mul_u32_u24_e32 v162, 0x10001, v162
	v_mul_u32_u24_e32 v86, 0x10001, v86
	;; [unrolled: 1-line block ×4, first 2 shown]
	v_pk_fma_f16 v61, v61, v173, v166
	v_pk_fma_f16 v160, v62, v170, v167
	;; [unrolled: 1-line block ×19, first 2 shown]
	v_and_b32_e32 v158, 0xffff, v88
	v_lshrrev_b32_e32 v88, 16, v88
	v_and_b32_e32 v159, 0xffff, v89
	v_lshrrev_b32_e32 v89, 16, v89
	v_pk_fma_f16 v164, v62, v172, v169
	v_pk_fma_f16 v62, v62, v173, v174
	;; [unrolled: 1-line block ×15, first 2 shown]
	v_mul_u32_u24_e32 v158, 0x10001, v158
	v_mul_u32_u24_e32 v88, 0x10001, v88
	;; [unrolled: 1-line block ×4, first 2 shown]
	v_pk_fma_f16 v65, v66, v162, v160
	v_pk_fma_f16 v160, v66, v163, v164
	;; [unrolled: 1-line block ×32, first 2 shown]
	v_and_b32_e32 v83, 0xffff, v90
	v_lshrrev_b32_e32 v84, 16, v90
	v_and_b32_e32 v86, 0xffff, v91
	v_lshrrev_b32_e32 v88, 16, v91
	v_pk_fma_f16 v65, v74, v158, v65
	v_mul_u32_u24_e32 v83, 0x10001, v83
	v_mul_u32_u24_e32 v84, 0x10001, v84
	;; [unrolled: 1-line block ×4, first 2 shown]
	v_pk_fma_f16 v90, v74, v159, v160
	v_pk_fma_f16 v56, v80, v83, v56
	;; [unrolled: 1-line block ×5, first 2 shown]
	v_lshrrev_b32_e32 v80, 16, v92
	v_pk_fma_f16 v62, v74, v89, v62
	v_pk_fma_f16 v66, v75, v83, v66
	;; [unrolled: 1-line block ×20, first 2 shown]
	v_mul_u32_u24_e32 v80, 0x10001, v80
	v_pk_fma_f16 v64, v81, v83, v64
	v_pk_fma_f16 v72, v81, v86, v72
	;; [unrolled: 1-line block ×3, first 2 shown]
	v_and_b32_e32 v81, 0xffff, v93
	v_pk_fma_f16 v57, v94, v80, v57
	v_pk_fma_f16 v75, v95, v80, v75
	;; [unrolled: 1-line block ×8, first 2 shown]
	v_lshrrev_b32_e32 v80, 16, v126
	v_pk_fma_f16 v70, v79, v83, v70
	v_pk_fma_f16 v158, v79, v86, v168
	;; [unrolled: 1-line block ×3, first 2 shown]
	v_and_b32_e32 v79, 0xffff, v92
	v_mul_u32_u24_e32 v81, 0x10001, v81
	v_mul_u32_u24_e32 v80, 0x10001, v80
	v_pk_fma_f16 v65, v82, v83, v65
	v_lshrrev_b32_e32 v83, 16, v93
	v_pk_fma_f16 v84, v82, v86, v90
	v_mul_u32_u24_e32 v79, 0x10001, v79
	v_pk_fma_f16 v86, v96, v81, v89
	v_and_b32_e32 v89, 0xffff, v127
	v_pk_fma_f16 v57, v102, v80, v57
	v_pk_fma_f16 v75, v103, v80, v75
	v_pk_fma_f16 v76, v104, v80, v76
	v_pk_fma_f16 v77, v105, v80, v77
	v_pk_fma_f16 v78, v106, v80, v78
	v_pk_fma_f16 v59, v107, v80, v59
	v_pk_fma_f16 v71, v108, v80, v71
	v_pk_fma_f16 v73, v109, v80, v73
	v_lshrrev_b32_e32 v80, 16, v128
	v_mul_u32_u24_e32 v83, 0x10001, v83
	v_pk_fma_f16 v62, v82, v88, v62
	v_pk_fma_f16 v66, v94, v79, v66
	;; [unrolled: 1-line block ×15, first 2 shown]
	v_and_b32_e32 v79, 0xffff, v126
	v_lshrrev_b32_e32 v90, 16, v127
	v_pk_fma_f16 v81, v101, v81, v84
	v_mul_u32_u24_e32 v84, 0x10001, v89
	v_mul_u32_u24_e32 v80, 0x10001, v80
	v_pk_fma_f16 v51, v94, v83, v51
	v_pk_fma_f16 v52, v95, v83, v52
	;; [unrolled: 1-line block ×7, first 2 shown]
	v_mul_u32_u24_e32 v79, 0x10001, v79
	v_mul_u32_u24_e32 v89, 0x10001, v90
	v_pk_fma_f16 v62, v101, v83, v62
	v_pk_fma_f16 v83, v104, v84, v86
	;; [unrolled: 1-line block ×4, first 2 shown]
	v_and_b32_e32 v88, 0xffff, v129
	v_lshrrev_b32_e32 v90, 16, v129
	v_pk_fma_f16 v57, v110, v80, v57
	v_pk_fma_f16 v75, v111, v80, v75
	;; [unrolled: 1-line block ×8, first 2 shown]
	v_lshrrev_b32_e32 v80, 16, v130
	v_pk_fma_f16 v66, v102, v79, v66
	v_pk_fma_f16 v74, v102, v84, v74
	v_pk_fma_f16 v51, v102, v89, v51
	v_pk_fma_f16 v67, v103, v79, v67
	v_pk_fma_f16 v82, v103, v84, v82
	v_pk_fma_f16 v52, v103, v89, v52
	v_pk_fma_f16 v68, v104, v79, v68
	v_pk_fma_f16 v53, v104, v89, v53
	v_pk_fma_f16 v69, v105, v79, v69
	v_pk_fma_f16 v54, v105, v89, v54
	v_pk_fma_f16 v70, v106, v79, v70
	v_pk_fma_f16 v55, v106, v89, v55
	v_pk_fma_f16 v56, v107, v79, v56
	v_pk_fma_f16 v63, v107, v84, v63
	v_pk_fma_f16 v60, v107, v89, v60
	v_pk_fma_f16 v64, v108, v79, v64
	v_pk_fma_f16 v72, v108, v84, v72
	v_pk_fma_f16 v61, v108, v89, v61
	v_pk_fma_f16 v65, v109, v79, v65
	v_and_b32_e32 v79, 0xffff, v128
	v_pk_fma_f16 v81, v109, v84, v81
	v_mul_u32_u24_e32 v84, 0x10001, v88
	v_mul_u32_u24_e32 v88, 0x10001, v90
	v_pk_fma_f16 v62, v109, v89, v62
	v_and_b32_e32 v89, 0xffff, v131
	v_lshrrev_b32_e32 v90, 16, v131
	v_mul_u32_u24_e32 v80, 0x10001, v80
	v_mul_u32_u24_e32 v79, 0x10001, v79
	v_pk_fma_f16 v74, v110, v84, v74
	v_pk_fma_f16 v51, v110, v88, v51
	;; [unrolled: 1-line block ×12, first 2 shown]
	v_mul_u32_u24_e32 v84, 0x10001, v89
	v_mul_u32_u24_e32 v89, 0x10001, v90
	v_pk_fma_f16 v57, v118, v80, v57
	v_pk_fma_f16 v75, v119, v80, v75
	;; [unrolled: 1-line block ×8, first 2 shown]
	v_lshrrev_b32_e32 v80, 16, v133
	v_pk_fma_f16 v66, v110, v79, v66
	v_pk_fma_f16 v67, v111, v79, v67
	;; [unrolled: 1-line block ×11, first 2 shown]
	v_and_b32_e32 v79, 0xffff, v130
	v_pk_fma_f16 v62, v117, v88, v62
	v_pk_fma_f16 v51, v118, v89, v51
	;; [unrolled: 1-line block ×5, first 2 shown]
	v_and_b32_e32 v54, 0xffff, v132
	v_mul_u32_u24_e32 v80, 0x10001, v80
	v_mul_u32_u24_e32 v79, 0x10001, v79
	v_pk_fma_f16 v74, v118, v84, v74
	v_pk_fma_f16 v82, v119, v84, v82
	;; [unrolled: 1-line block ×8, first 2 shown]
	v_lshrrev_b32_e32 v61, 16, v132
	v_pk_fma_f16 v81, v125, v84, v81
	v_mul_u32_u24_e32 v84, 0x10001, v54
	v_pk_fma_f16 v94, v134, v80, v51
	v_pk_fma_f16 v97, v135, v80, v52
	;; [unrolled: 1-line block ×3, first 2 shown]
	s_wait_loadcnt 0x3
	ds_store_b128 v42, v[142:145]
	s_wait_loadcnt 0x2
	ds_store_b128 v43, v[146:149]
	;; [unrolled: 2-line block ×4, first 2 shown]
	s_wait_dscnt 0x0
	s_barrier_signal -1
	s_barrier_wait -1
	global_inv scope:SCOPE_SE
	ds_load_b128 v[51:54], v41 offset:256
	v_pk_fma_f16 v67, v119, v79, v67
	v_pk_fma_f16 v68, v120, v79, v68
	;; [unrolled: 1-line block ×5, first 2 shown]
	v_mul_u32_u24_e32 v91, 0x10001, v61
	v_pk_fma_f16 v66, v118, v79, v66
	v_pk_fma_f16 v55, v122, v89, v55
	;; [unrolled: 1-line block ×5, first 2 shown]
	v_and_b32_e32 v79, 0xffff, v133
	v_pk_fma_f16 v89, v125, v89, v62
	v_pk_fma_f16 v95, v135, v84, v67
	;; [unrolled: 1-line block ×7, first 2 shown]
	ds_load_2addr_b64 v[59:62], v58 offset1:32
	ds_load_2addr_b64 v[67:70], v58 offset0:64 offset1:96
	v_mul_u32_u24_e32 v79, 0x10001, v79
	v_pk_fma_f16 v92, v134, v84, v66
	v_pk_fma_f16 v56, v139, v84, v56
	;; [unrolled: 1-line block ×7, first 2 shown]
	ds_load_b128 v[63:66], v41 offset:272
	s_wait_dscnt 0x3
	v_and_b32_e32 v71, 0xffff, v51
	v_lshrrev_b32_e32 v51, 16, v51
	v_and_b32_e32 v72, 0xffff, v52
	v_lshrrev_b32_e32 v52, 16, v52
	v_pk_fma_f16 v57, v134, v91, v57
	v_pk_fma_f16 v93, v134, v79, v74
	;; [unrolled: 1-line block ×16, first 2 shown]
	v_mul_u32_u24_e32 v81, 0x10001, v71
	v_mul_u32_u24_e32 v51, 0x10001, v51
	;; [unrolled: 1-line block ×4, first 2 shown]
	ds_load_b128 v[71:74], v41 offset:288
	ds_load_b128 v[75:78], v41 offset:304
	s_wait_dscnt 0x4
	v_pk_fma_f16 v92, v59, v81, v92
	v_pk_fma_f16 v57, v59, v51, v57
	;; [unrolled: 1-line block ×16, first 2 shown]
	s_wait_dscnt 0x3
	v_pk_fma_f16 v103, v67, v81, v103
	v_pk_fma_f16 v104, v67, v51, v104
	;; [unrolled: 1-line block ×6, first 2 shown]
	ds_load_2addr_b64 v[59:62], v58 offset0:128 offset1:160
	v_pk_fma_f16 v105, v68, v89, v106
	v_pk_fma_f16 v68, v68, v111, v107
	;; [unrolled: 1-line block ×9, first 2 shown]
	v_and_b32_e32 v89, 0xffff, v53
	v_lshrrev_b32_e32 v90, 16, v53
	v_and_b32_e32 v91, 0xffff, v54
	v_lshrrev_b32_e32 v109, 16, v54
	ds_load_2addr_b64 v[51:54], v58 offset0:192 offset1:224
	v_mul_u32_u24_e32 v89, 0x10001, v89
	v_mul_u32_u24_e32 v90, 0x10001, v90
	;; [unrolled: 1-line block ×4, first 2 shown]
	v_pk_fma_f16 v80, v70, v111, v80
	s_wait_dscnt 0x1
	v_pk_fma_f16 v92, v59, v89, v92
	v_pk_fma_f16 v57, v59, v90, v57
	;; [unrolled: 1-line block ×16, first 2 shown]
	s_wait_dscnt 0x0
	v_pk_fma_f16 v103, v51, v89, v103
	v_pk_fma_f16 v104, v51, v90, v104
	;; [unrolled: 1-line block ×6, first 2 shown]
	ds_load_2addr_b64 v[59:62], v48 offset1:32
	v_pk_fma_f16 v110, v52, v109, v68
	v_pk_fma_f16 v111, v53, v109, v69
	ds_load_2addr_b64 v[67:70], v48 offset0:64 offset1:96
	v_pk_fma_f16 v105, v52, v91, v105
	v_pk_fma_f16 v106, v53, v89, v106
	v_pk_fma_f16 v107, v53, v90, v107
	v_pk_fma_f16 v108, v53, v91, v108
	v_and_b32_e32 v52, 0xffff, v63
	v_lshrrev_b32_e32 v53, 16, v63
	v_and_b32_e32 v63, 0xffff, v64
	v_lshrrev_b32_e32 v64, 16, v64
	v_pk_fma_f16 v81, v54, v89, v81
	v_pk_fma_f16 v84, v54, v90, v84
	v_mul_u32_u24_e32 v89, 0x10001, v52
	v_mul_u32_u24_e32 v90, 0x10001, v53
	;; [unrolled: 1-line block ×4, first 2 shown]
	v_pk_fma_f16 v79, v54, v91, v79
	v_pk_fma_f16 v80, v54, v109, v80
	s_wait_dscnt 0x1
	v_pk_fma_f16 v91, v59, v89, v92
	v_pk_fma_f16 v92, v59, v63, v93
	v_pk_fma_f16 v93, v59, v64, v94
	v_pk_fma_f16 v94, v60, v89, v95
	v_pk_fma_f16 v95, v60, v90, v96
	v_pk_fma_f16 v96, v60, v64, v97
	v_pk_fma_f16 v97, v61, v89, v98
	v_pk_fma_f16 v98, v61, v90, v99
	v_pk_fma_f16 v99, v61, v64, v100
	v_pk_fma_f16 v100, v62, v89, v101
	v_pk_fma_f16 v101, v62, v90, v102
	s_wait_dscnt 0x0
	v_pk_fma_f16 v102, v67, v89, v103
	v_pk_fma_f16 v103, v67, v90, v104
	;; [unrolled: 1-line block ×4, first 2 shown]
	ds_load_2addr_b64 v[51:54], v48 offset0:128 offset1:160
	v_pk_fma_f16 v57, v59, v90, v57
	v_pk_fma_f16 v82, v60, v63, v82
	;; [unrolled: 1-line block ×12, first 2 shown]
	v_and_b32_e32 v79, 0xffff, v65
	v_lshrrev_b32_e32 v65, 16, v65
	v_and_b32_e32 v89, 0xffff, v66
	v_lshrrev_b32_e32 v66, 16, v66
	ds_load_2addr_b64 v[59:62], v48 offset0:192 offset1:224
	v_pk_fma_f16 v56, v68, v90, v56
	v_pk_fma_f16 v84, v70, v90, v84
	v_mul_u32_u24_e32 v79, 0x10001, v79
	v_mul_u32_u24_e32 v65, 0x10001, v65
	;; [unrolled: 1-line block ×4, first 2 shown]
	v_pk_fma_f16 v70, v70, v64, v80
	s_wait_dscnt 0x1
	v_pk_fma_f16 v80, v51, v79, v91
	v_pk_fma_f16 v57, v51, v65, v57
	;; [unrolled: 1-line block ×16, first 2 shown]
	ds_load_2addr_b64 v[51:54], v49 offset1:32
	v_pk_fma_f16 v68, v68, v64, v110
	v_pk_fma_f16 v69, v69, v64, v111
	s_wait_dscnt 0x1
	v_pk_fma_f16 v101, v59, v79, v102
	v_pk_fma_f16 v102, v59, v65, v103
	;; [unrolled: 1-line block ×15, first 2 shown]
	v_and_b32_e32 v84, 0xffff, v71
	v_lshrrev_b32_e32 v71, 16, v71
	v_and_b32_e32 v89, 0xffff, v72
	v_lshrrev_b32_e32 v72, 16, v72
	ds_load_2addr_b64 v[63:66], v49 offset0:64 offset1:96
	v_mul_u32_u24_e32 v84, 0x10001, v84
	v_mul_u32_u24_e32 v71, 0x10001, v71
	;; [unrolled: 1-line block ×4, first 2 shown]
	v_pk_fma_f16 v70, v62, v90, v70
	s_wait_dscnt 0x1
	v_pk_fma_f16 v80, v51, v84, v80
	v_pk_fma_f16 v57, v51, v71, v57
	;; [unrolled: 1-line block ×16, first 2 shown]
	ds_load_2addr_b64 v[51:54], v49 offset0:128 offset1:160
	s_wait_dscnt 0x1
	v_pk_fma_f16 v100, v63, v84, v101
	v_pk_fma_f16 v101, v63, v71, v102
	;; [unrolled: 1-line block ×15, first 2 shown]
	v_and_b32_e32 v81, 0xffff, v73
	v_lshrrev_b32_e32 v73, 16, v73
	v_and_b32_e32 v84, 0xffff, v74
	v_lshrrev_b32_e32 v74, 16, v74
	ds_load_2addr_b64 v[59:62], v49 offset0:192 offset1:224
	v_mul_u32_u24_e32 v81, 0x10001, v81
	v_mul_u32_u24_e32 v73, 0x10001, v73
	;; [unrolled: 1-line block ×4, first 2 shown]
	v_pk_fma_f16 v70, v66, v72, v70
	s_wait_dscnt 0x1
	v_pk_fma_f16 v72, v51, v81, v80
	v_pk_fma_f16 v57, v51, v73, v57
	;; [unrolled: 1-line block ×16, first 2 shown]
	ds_load_2addr_b64 v[51:54], v50 offset1:32
	s_wait_dscnt 0x1
	v_pk_fma_f16 v98, v59, v81, v100
	v_pk_fma_f16 v99, v59, v73, v101
	;; [unrolled: 1-line block ×15, first 2 shown]
	v_and_b32_e32 v79, 0xffff, v75
	v_lshrrev_b32_e32 v75, 16, v75
	v_and_b32_e32 v81, 0xffff, v76
	v_lshrrev_b32_e32 v76, 16, v76
	ds_load_2addr_b64 v[63:66], v50 offset0:64 offset1:96
	v_mul_u32_u24_e32 v79, 0x10001, v79
	v_mul_u32_u24_e32 v75, 0x10001, v75
	;; [unrolled: 1-line block ×4, first 2 shown]
	v_pk_fma_f16 v70, v62, v74, v70
	s_wait_dscnt 0x1
	v_pk_fma_f16 v72, v51, v79, v72
	v_pk_fma_f16 v57, v51, v75, v57
	;; [unrolled: 1-line block ×16, first 2 shown]
	ds_load_2addr_b64 v[51:54], v50 offset0:128 offset1:160
	s_or_b32 s26, s4, 48
	s_wait_dscnt 0x1
	v_pk_fma_f16 v96, v63, v79, v98
	v_pk_fma_f16 v97, v63, v75, v99
	;; [unrolled: 1-line block ×6, first 2 shown]
	v_and_b32_e32 v63, 0xffff, v78
	ds_load_2addr_b64 v[59:62], v50 offset0:192 offset1:224
	s_wait_alu 0xfffe
	s_ashr_i32 s27, s26, 31
	v_pk_fma_f16 v159, v64, v79, v55
	v_and_b32_e32 v55, 0xffff, v77
	s_wait_alu 0xfffe
	s_mul_u64 s[26:27], s[26:27], s[14:15]
	v_pk_fma_f16 v160, v64, v75, v56
	s_wait_alu 0xfffe
	s_lshl_b64 s[26:27], s[26:27], 2
	v_lshrrev_b32_e32 v56, 16, v77
	v_mul_u32_u24_e32 v172, 0x10001, v63
	s_wait_alu 0xfffe
	s_add_nc_u64 s[26:27], s[8:9], s[26:27]
	v_mul_u32_u24_e32 v170, 0x10001, v55
	s_wait_alu 0xfffe
	v_add_co_u32 v55, vcc_lo, s26, v27
	v_pk_fma_f16 v161, v64, v81, v67
	v_lshrrev_b32_e32 v64, 16, v78
	v_mul_u32_u24_e32 v171, 0x10001, v56
	s_wait_dscnt 0x1
	v_pk_fma_f16 v184, v53, v172, v83
	s_wait_alu 0xfffd
	v_add_co_ci_u32_e64 v56, null, s27, v28, vcc_lo
	v_add_co_u32 v83, vcc_lo, s26, v29
	v_pk_fma_f16 v178, v52, v170, v84
	s_wait_alu 0xfffd
	v_add_co_ci_u32_e64 v84, null, s27, v30, vcc_lo
	v_add_co_u32 v55, vcc_lo, v55, v85
	v_mul_u32_u24_e32 v173, 0x10001, v64
	s_wait_alu 0xfffd
	v_add_co_ci_u32_e64 v56, null, 0, v56, vcc_lo
	v_add_co_u32 v83, vcc_lo, v83, v85
	s_wait_alu 0xfffd
	v_add_co_ci_u32_e64 v84, null, 0, v84, vcc_lo
	v_pk_fma_f16 v163, v65, v79, v68
	v_pk_fma_f16 v164, v65, v75, v100
	;; [unrolled: 1-line block ×21, first 2 shown]
	s_wait_dscnt 0x0
	v_pk_fma_f16 v190, v59, v170, v96
	v_pk_fma_f16 v191, v59, v171, v97
	;; [unrolled: 1-line block ×3, first 2 shown]
	ds_load_2addr_b64 v[51:54], v47 offset1:32
	ds_load_2addr_b64 v[63:66], v47 offset0:64 offset1:96
	ds_load_2addr_b64 v[67:70], v47 offset0:128 offset1:160
	;; [unrolled: 1-line block ×3, first 2 shown]
	ds_load_2addr_b64 v[75:78], v15 offset1:32
	ds_load_2addr_b64 v[79:82], v15 offset0:64 offset1:96
	ds_load_b128 v[86:89], v41 offset:320
	ds_load_b128 v[90:93], v41 offset:336
	ds_load_2addr_b64 v[94:97], v15 offset0:128 offset1:160
	ds_load_2addr_b64 v[98:101], v15 offset0:192 offset1:224
	ds_load_2addr_b64 v[102:105], v14 offset1:32
	ds_load_2addr_b64 v[106:109], v14 offset0:64 offset1:96
	ds_load_2addr_b64 v[110:113], v14 offset0:128 offset1:160
	;; [unrolled: 1-line block ×3, first 2 shown]
	ds_load_2addr_b64 v[118:121], v13 offset1:32
	ds_load_2addr_b64 v[122:125], v13 offset0:64 offset1:96
	ds_load_b128 v[126:129], v41 offset:352
	ds_load_b128 v[130:133], v41 offset:368
	ds_load_2addr_b64 v[134:137], v13 offset0:128 offset1:160
	ds_load_2addr_b64 v[138:141], v13 offset0:192 offset1:224
	s_wait_loadcnt_dscnt 0x0
	s_barrier_signal -1
	s_barrier_wait -1
	global_inv scope:SCOPE_SE
	s_clause 0x3
	global_load_b128 v[142:145], v[55:56], off
	global_load_b128 v[146:149], v[55:56], off offset:512
	global_load_b128 v[150:153], v[83:84], off
	global_load_b128 v[154:157], v[83:84], off offset:512
	v_pk_fma_f16 v55, v59, v173, v158
	v_pk_fma_f16 v56, v60, v170, v159
	;; [unrolled: 1-line block ×6, first 2 shown]
	v_and_b32_e32 v162, 0xffff, v86
	v_lshrrev_b32_e32 v86, 16, v86
	v_and_b32_e32 v163, 0xffff, v87
	v_lshrrev_b32_e32 v87, 16, v87
	v_pk_fma_f16 v158, v61, v171, v164
	v_pk_fma_f16 v159, v61, v172, v165
	v_mul_u32_u24_e32 v162, 0x10001, v162
	v_mul_u32_u24_e32 v86, 0x10001, v86
	;; [unrolled: 1-line block ×4, first 2 shown]
	v_pk_fma_f16 v61, v61, v173, v166
	v_pk_fma_f16 v160, v62, v170, v167
	;; [unrolled: 1-line block ×19, first 2 shown]
	v_and_b32_e32 v158, 0xffff, v88
	v_lshrrev_b32_e32 v88, 16, v88
	v_and_b32_e32 v159, 0xffff, v89
	v_lshrrev_b32_e32 v89, 16, v89
	v_pk_fma_f16 v164, v62, v172, v169
	v_pk_fma_f16 v62, v62, v173, v174
	;; [unrolled: 1-line block ×15, first 2 shown]
	v_mul_u32_u24_e32 v158, 0x10001, v158
	v_mul_u32_u24_e32 v88, 0x10001, v88
	;; [unrolled: 1-line block ×4, first 2 shown]
	v_pk_fma_f16 v65, v66, v162, v160
	v_pk_fma_f16 v160, v66, v163, v164
	;; [unrolled: 1-line block ×32, first 2 shown]
	v_and_b32_e32 v83, 0xffff, v90
	v_lshrrev_b32_e32 v84, 16, v90
	v_and_b32_e32 v86, 0xffff, v91
	v_lshrrev_b32_e32 v88, 16, v91
	v_pk_fma_f16 v65, v74, v158, v65
	v_mul_u32_u24_e32 v83, 0x10001, v83
	v_mul_u32_u24_e32 v84, 0x10001, v84
	;; [unrolled: 1-line block ×4, first 2 shown]
	v_pk_fma_f16 v90, v74, v159, v160
	v_pk_fma_f16 v56, v80, v83, v56
	;; [unrolled: 1-line block ×5, first 2 shown]
	v_lshrrev_b32_e32 v80, 16, v92
	v_pk_fma_f16 v62, v74, v89, v62
	v_pk_fma_f16 v66, v75, v83, v66
	;; [unrolled: 1-line block ×20, first 2 shown]
	v_mul_u32_u24_e32 v80, 0x10001, v80
	v_pk_fma_f16 v64, v81, v83, v64
	v_pk_fma_f16 v72, v81, v86, v72
	;; [unrolled: 1-line block ×3, first 2 shown]
	v_and_b32_e32 v81, 0xffff, v93
	v_pk_fma_f16 v57, v94, v80, v57
	v_pk_fma_f16 v75, v95, v80, v75
	;; [unrolled: 1-line block ×8, first 2 shown]
	v_lshrrev_b32_e32 v80, 16, v126
	v_pk_fma_f16 v70, v79, v83, v70
	v_pk_fma_f16 v158, v79, v86, v168
	;; [unrolled: 1-line block ×3, first 2 shown]
	v_and_b32_e32 v79, 0xffff, v92
	v_mul_u32_u24_e32 v81, 0x10001, v81
	v_mul_u32_u24_e32 v80, 0x10001, v80
	v_pk_fma_f16 v65, v82, v83, v65
	v_lshrrev_b32_e32 v83, 16, v93
	v_pk_fma_f16 v84, v82, v86, v90
	v_mul_u32_u24_e32 v79, 0x10001, v79
	v_pk_fma_f16 v86, v96, v81, v89
	v_and_b32_e32 v89, 0xffff, v127
	v_pk_fma_f16 v57, v102, v80, v57
	v_pk_fma_f16 v75, v103, v80, v75
	;; [unrolled: 1-line block ×8, first 2 shown]
	v_lshrrev_b32_e32 v80, 16, v128
	v_mul_u32_u24_e32 v83, 0x10001, v83
	v_pk_fma_f16 v62, v82, v88, v62
	v_pk_fma_f16 v66, v94, v79, v66
	;; [unrolled: 1-line block ×15, first 2 shown]
	v_and_b32_e32 v79, 0xffff, v126
	v_lshrrev_b32_e32 v90, 16, v127
	v_pk_fma_f16 v81, v101, v81, v84
	v_mul_u32_u24_e32 v84, 0x10001, v89
	v_mul_u32_u24_e32 v80, 0x10001, v80
	v_pk_fma_f16 v51, v94, v83, v51
	v_pk_fma_f16 v52, v95, v83, v52
	;; [unrolled: 1-line block ×7, first 2 shown]
	v_mul_u32_u24_e32 v79, 0x10001, v79
	v_mul_u32_u24_e32 v89, 0x10001, v90
	v_pk_fma_f16 v62, v101, v83, v62
	v_pk_fma_f16 v83, v104, v84, v86
	;; [unrolled: 1-line block ×4, first 2 shown]
	v_and_b32_e32 v88, 0xffff, v129
	v_lshrrev_b32_e32 v90, 16, v129
	v_pk_fma_f16 v57, v110, v80, v57
	v_pk_fma_f16 v75, v111, v80, v75
	v_pk_fma_f16 v76, v112, v80, v76
	v_pk_fma_f16 v77, v113, v80, v77
	v_pk_fma_f16 v78, v114, v80, v78
	v_pk_fma_f16 v59, v115, v80, v59
	v_pk_fma_f16 v71, v116, v80, v71
	v_pk_fma_f16 v73, v117, v80, v73
	v_lshrrev_b32_e32 v80, 16, v130
	v_pk_fma_f16 v66, v102, v79, v66
	v_pk_fma_f16 v74, v102, v84, v74
	;; [unrolled: 1-line block ×19, first 2 shown]
	v_and_b32_e32 v79, 0xffff, v128
	v_pk_fma_f16 v81, v109, v84, v81
	v_mul_u32_u24_e32 v84, 0x10001, v88
	v_mul_u32_u24_e32 v88, 0x10001, v90
	v_pk_fma_f16 v62, v109, v89, v62
	v_and_b32_e32 v89, 0xffff, v131
	v_lshrrev_b32_e32 v90, 16, v131
	v_mul_u32_u24_e32 v80, 0x10001, v80
	v_mul_u32_u24_e32 v79, 0x10001, v79
	v_pk_fma_f16 v74, v110, v84, v74
	v_pk_fma_f16 v51, v110, v88, v51
	;; [unrolled: 1-line block ×12, first 2 shown]
	v_mul_u32_u24_e32 v84, 0x10001, v89
	v_mul_u32_u24_e32 v89, 0x10001, v90
	v_pk_fma_f16 v57, v118, v80, v57
	v_pk_fma_f16 v75, v119, v80, v75
	;; [unrolled: 1-line block ×8, first 2 shown]
	v_lshrrev_b32_e32 v80, 16, v133
	v_pk_fma_f16 v66, v110, v79, v66
	v_pk_fma_f16 v67, v111, v79, v67
	;; [unrolled: 1-line block ×11, first 2 shown]
	v_and_b32_e32 v79, 0xffff, v130
	v_pk_fma_f16 v62, v117, v88, v62
	v_pk_fma_f16 v51, v118, v89, v51
	v_pk_fma_f16 v52, v119, v89, v52
	v_pk_fma_f16 v53, v120, v89, v53
	v_pk_fma_f16 v88, v121, v89, v54
	v_and_b32_e32 v54, 0xffff, v132
	v_mul_u32_u24_e32 v80, 0x10001, v80
	v_mul_u32_u24_e32 v79, 0x10001, v79
	v_pk_fma_f16 v74, v118, v84, v74
	v_pk_fma_f16 v82, v119, v84, v82
	v_pk_fma_f16 v83, v120, v84, v83
	v_pk_fma_f16 v86, v121, v84, v86
	v_pk_fma_f16 v87, v122, v84, v87
	v_pk_fma_f16 v63, v123, v84, v63
	v_pk_fma_f16 v72, v124, v84, v72
	v_pk_fma_f16 v90, v124, v89, v61
	v_lshrrev_b32_e32 v61, 16, v132
	v_pk_fma_f16 v81, v125, v84, v81
	v_mul_u32_u24_e32 v84, 0x10001, v54
	v_pk_fma_f16 v94, v134, v80, v51
	v_pk_fma_f16 v97, v135, v80, v52
	;; [unrolled: 1-line block ×3, first 2 shown]
	s_wait_loadcnt 0x3
	ds_store_b128 v42, v[142:145]
	s_wait_loadcnt 0x2
	ds_store_b128 v43, v[146:149]
	;; [unrolled: 2-line block ×4, first 2 shown]
	s_wait_dscnt 0x0
	s_barrier_signal -1
	s_barrier_wait -1
	global_inv scope:SCOPE_SE
	ds_load_b128 v[51:54], v41 offset:384
	v_pk_fma_f16 v67, v119, v79, v67
	v_pk_fma_f16 v68, v120, v79, v68
	v_pk_fma_f16 v69, v121, v79, v69
	v_pk_fma_f16 v70, v122, v79, v70
	v_pk_fma_f16 v60, v123, v89, v60
	v_mul_u32_u24_e32 v91, 0x10001, v61
	v_pk_fma_f16 v66, v118, v79, v66
	v_pk_fma_f16 v55, v122, v89, v55
	;; [unrolled: 1-line block ×5, first 2 shown]
	v_and_b32_e32 v79, 0xffff, v133
	v_pk_fma_f16 v89, v125, v89, v62
	v_pk_fma_f16 v95, v135, v84, v67
	;; [unrolled: 1-line block ×7, first 2 shown]
	ds_load_2addr_b64 v[59:62], v58 offset1:32
	ds_load_2addr_b64 v[67:70], v58 offset0:64 offset1:96
	v_mul_u32_u24_e32 v79, 0x10001, v79
	v_pk_fma_f16 v92, v134, v84, v66
	v_pk_fma_f16 v56, v139, v84, v56
	;; [unrolled: 1-line block ×7, first 2 shown]
	ds_load_b128 v[63:66], v41 offset:400
	s_wait_dscnt 0x3
	v_and_b32_e32 v71, 0xffff, v51
	v_lshrrev_b32_e32 v51, 16, v51
	v_and_b32_e32 v72, 0xffff, v52
	v_lshrrev_b32_e32 v52, 16, v52
	v_pk_fma_f16 v57, v134, v91, v57
	v_pk_fma_f16 v93, v134, v79, v74
	;; [unrolled: 1-line block ×16, first 2 shown]
	v_mul_u32_u24_e32 v81, 0x10001, v71
	v_mul_u32_u24_e32 v51, 0x10001, v51
	v_mul_u32_u24_e32 v89, 0x10001, v72
	v_mul_u32_u24_e32 v111, 0x10001, v52
	ds_load_b128 v[71:74], v41 offset:416
	ds_load_b128 v[75:78], v41 offset:432
	s_wait_dscnt 0x4
	v_pk_fma_f16 v92, v59, v81, v92
	v_pk_fma_f16 v57, v59, v51, v57
	;; [unrolled: 1-line block ×16, first 2 shown]
	s_wait_dscnt 0x3
	v_pk_fma_f16 v103, v67, v81, v103
	v_pk_fma_f16 v104, v67, v51, v104
	;; [unrolled: 1-line block ×6, first 2 shown]
	ds_load_2addr_b64 v[59:62], v58 offset0:128 offset1:160
	v_pk_fma_f16 v105, v68, v89, v106
	v_pk_fma_f16 v68, v68, v111, v107
	;; [unrolled: 1-line block ×9, first 2 shown]
	v_and_b32_e32 v89, 0xffff, v53
	v_lshrrev_b32_e32 v90, 16, v53
	v_and_b32_e32 v91, 0xffff, v54
	v_lshrrev_b32_e32 v109, 16, v54
	ds_load_2addr_b64 v[51:54], v58 offset0:192 offset1:224
	v_mul_u32_u24_e32 v89, 0x10001, v89
	v_mul_u32_u24_e32 v90, 0x10001, v90
	;; [unrolled: 1-line block ×4, first 2 shown]
	v_pk_fma_f16 v80, v70, v111, v80
	s_wait_dscnt 0x1
	v_pk_fma_f16 v92, v59, v89, v92
	v_pk_fma_f16 v57, v59, v90, v57
	;; [unrolled: 1-line block ×16, first 2 shown]
	s_wait_dscnt 0x0
	v_pk_fma_f16 v103, v51, v89, v103
	v_pk_fma_f16 v104, v51, v90, v104
	;; [unrolled: 1-line block ×6, first 2 shown]
	ds_load_2addr_b64 v[59:62], v48 offset1:32
	v_pk_fma_f16 v110, v52, v109, v68
	v_pk_fma_f16 v111, v53, v109, v69
	ds_load_2addr_b64 v[67:70], v48 offset0:64 offset1:96
	v_pk_fma_f16 v105, v52, v91, v105
	v_pk_fma_f16 v106, v53, v89, v106
	;; [unrolled: 1-line block ×4, first 2 shown]
	v_and_b32_e32 v52, 0xffff, v63
	v_lshrrev_b32_e32 v53, 16, v63
	v_and_b32_e32 v63, 0xffff, v64
	v_lshrrev_b32_e32 v64, 16, v64
	v_pk_fma_f16 v81, v54, v89, v81
	v_pk_fma_f16 v84, v54, v90, v84
	v_mul_u32_u24_e32 v89, 0x10001, v52
	v_mul_u32_u24_e32 v90, 0x10001, v53
	;; [unrolled: 1-line block ×4, first 2 shown]
	v_pk_fma_f16 v79, v54, v91, v79
	v_pk_fma_f16 v80, v54, v109, v80
	s_wait_dscnt 0x1
	v_pk_fma_f16 v91, v59, v89, v92
	v_pk_fma_f16 v92, v59, v63, v93
	;; [unrolled: 1-line block ×11, first 2 shown]
	s_wait_dscnt 0x0
	v_pk_fma_f16 v102, v67, v89, v103
	v_pk_fma_f16 v103, v67, v90, v104
	;; [unrolled: 1-line block ×4, first 2 shown]
	ds_load_2addr_b64 v[51:54], v48 offset0:128 offset1:160
	v_pk_fma_f16 v57, v59, v90, v57
	v_pk_fma_f16 v82, v60, v63, v82
	;; [unrolled: 1-line block ×12, first 2 shown]
	v_and_b32_e32 v79, 0xffff, v65
	v_lshrrev_b32_e32 v65, 16, v65
	v_and_b32_e32 v89, 0xffff, v66
	v_lshrrev_b32_e32 v66, 16, v66
	ds_load_2addr_b64 v[59:62], v48 offset0:192 offset1:224
	v_pk_fma_f16 v56, v68, v90, v56
	v_pk_fma_f16 v84, v70, v90, v84
	v_mul_u32_u24_e32 v79, 0x10001, v79
	v_mul_u32_u24_e32 v65, 0x10001, v65
	;; [unrolled: 1-line block ×4, first 2 shown]
	v_pk_fma_f16 v70, v70, v64, v80
	s_wait_dscnt 0x1
	v_pk_fma_f16 v80, v51, v79, v91
	v_pk_fma_f16 v57, v51, v65, v57
	;; [unrolled: 1-line block ×16, first 2 shown]
	ds_load_2addr_b64 v[51:54], v49 offset1:32
	v_pk_fma_f16 v68, v68, v64, v110
	v_pk_fma_f16 v69, v69, v64, v111
	s_wait_dscnt 0x1
	v_pk_fma_f16 v101, v59, v79, v102
	v_pk_fma_f16 v102, v59, v65, v103
	;; [unrolled: 1-line block ×15, first 2 shown]
	v_and_b32_e32 v84, 0xffff, v71
	v_lshrrev_b32_e32 v71, 16, v71
	v_and_b32_e32 v89, 0xffff, v72
	v_lshrrev_b32_e32 v72, 16, v72
	ds_load_2addr_b64 v[63:66], v49 offset0:64 offset1:96
	v_mul_u32_u24_e32 v84, 0x10001, v84
	v_mul_u32_u24_e32 v71, 0x10001, v71
	;; [unrolled: 1-line block ×4, first 2 shown]
	v_pk_fma_f16 v70, v62, v90, v70
	s_wait_dscnt 0x1
	v_pk_fma_f16 v80, v51, v84, v80
	v_pk_fma_f16 v57, v51, v71, v57
	v_pk_fma_f16 v90, v51, v89, v91
	v_pk_fma_f16 v91, v51, v72, v92
	v_pk_fma_f16 v92, v52, v84, v93
	v_pk_fma_f16 v93, v52, v71, v94
	v_pk_fma_f16 v82, v52, v89, v82
	v_pk_fma_f16 v94, v52, v72, v95
	v_pk_fma_f16 v95, v53, v84, v96
	v_pk_fma_f16 v96, v53, v71, v97
	v_pk_fma_f16 v83, v53, v89, v83
	v_pk_fma_f16 v97, v53, v72, v98
	v_pk_fma_f16 v98, v54, v84, v99
	v_pk_fma_f16 v99, v54, v71, v100
	v_pk_fma_f16 v86, v54, v89, v86
	v_pk_fma_f16 v88, v54, v72, v88
	ds_load_2addr_b64 v[51:54], v49 offset0:128 offset1:160
	s_wait_dscnt 0x1
	v_pk_fma_f16 v100, v63, v84, v101
	v_pk_fma_f16 v101, v63, v71, v102
	;; [unrolled: 1-line block ×15, first 2 shown]
	v_and_b32_e32 v81, 0xffff, v73
	v_lshrrev_b32_e32 v73, 16, v73
	v_and_b32_e32 v84, 0xffff, v74
	v_lshrrev_b32_e32 v74, 16, v74
	ds_load_2addr_b64 v[59:62], v49 offset0:192 offset1:224
	v_mul_u32_u24_e32 v81, 0x10001, v81
	v_mul_u32_u24_e32 v73, 0x10001, v73
	v_mul_u32_u24_e32 v84, 0x10001, v84
	v_mul_u32_u24_e32 v74, 0x10001, v74
	v_pk_fma_f16 v70, v66, v72, v70
	s_wait_dscnt 0x1
	v_pk_fma_f16 v72, v51, v81, v80
	v_pk_fma_f16 v57, v51, v73, v57
	;; [unrolled: 1-line block ×16, first 2 shown]
	ds_load_2addr_b64 v[51:54], v50 offset1:32
	s_wait_dscnt 0x1
	v_pk_fma_f16 v98, v59, v81, v100
	v_pk_fma_f16 v99, v59, v73, v101
	;; [unrolled: 1-line block ×15, first 2 shown]
	v_and_b32_e32 v79, 0xffff, v75
	v_lshrrev_b32_e32 v75, 16, v75
	v_and_b32_e32 v81, 0xffff, v76
	v_lshrrev_b32_e32 v76, 16, v76
	ds_load_2addr_b64 v[63:66], v50 offset0:64 offset1:96
	v_mul_u32_u24_e32 v79, 0x10001, v79
	v_mul_u32_u24_e32 v75, 0x10001, v75
	;; [unrolled: 1-line block ×4, first 2 shown]
	v_pk_fma_f16 v70, v62, v74, v70
	s_wait_dscnt 0x1
	v_pk_fma_f16 v72, v51, v79, v72
	v_pk_fma_f16 v57, v51, v75, v57
	;; [unrolled: 1-line block ×16, first 2 shown]
	ds_load_2addr_b64 v[51:54], v50 offset0:128 offset1:160
	s_or_b32 s26, s4, 64
	s_wait_dscnt 0x1
	v_pk_fma_f16 v96, v63, v79, v98
	v_pk_fma_f16 v97, v63, v75, v99
	;; [unrolled: 1-line block ×6, first 2 shown]
	v_and_b32_e32 v63, 0xffff, v78
	ds_load_2addr_b64 v[59:62], v50 offset0:192 offset1:224
	s_wait_alu 0xfffe
	s_ashr_i32 s27, s26, 31
	v_pk_fma_f16 v159, v64, v79, v55
	v_and_b32_e32 v55, 0xffff, v77
	s_wait_alu 0xfffe
	s_mul_u64 s[26:27], s[26:27], s[14:15]
	v_pk_fma_f16 v160, v64, v75, v56
	s_wait_alu 0xfffe
	s_lshl_b64 s[26:27], s[26:27], 2
	v_lshrrev_b32_e32 v56, 16, v77
	v_mul_u32_u24_e32 v172, 0x10001, v63
	s_wait_alu 0xfffe
	s_add_nc_u64 s[26:27], s[8:9], s[26:27]
	v_mul_u32_u24_e32 v170, 0x10001, v55
	s_wait_alu 0xfffe
	v_add_co_u32 v55, vcc_lo, s26, v27
	v_pk_fma_f16 v161, v64, v81, v67
	v_lshrrev_b32_e32 v64, 16, v78
	v_mul_u32_u24_e32 v171, 0x10001, v56
	s_wait_dscnt 0x1
	v_pk_fma_f16 v184, v53, v172, v83
	s_wait_alu 0xfffd
	v_add_co_ci_u32_e64 v56, null, s27, v28, vcc_lo
	v_add_co_u32 v83, vcc_lo, s26, v29
	v_pk_fma_f16 v178, v52, v170, v84
	s_wait_alu 0xfffd
	v_add_co_ci_u32_e64 v84, null, s27, v30, vcc_lo
	v_add_co_u32 v55, vcc_lo, v55, v85
	v_mul_u32_u24_e32 v173, 0x10001, v64
	s_wait_alu 0xfffd
	v_add_co_ci_u32_e64 v56, null, 0, v56, vcc_lo
	v_add_co_u32 v83, vcc_lo, v83, v85
	s_wait_alu 0xfffd
	v_add_co_ci_u32_e64 v84, null, 0, v84, vcc_lo
	v_pk_fma_f16 v163, v65, v79, v68
	v_pk_fma_f16 v164, v65, v75, v100
	;; [unrolled: 1-line block ×21, first 2 shown]
	s_wait_dscnt 0x0
	v_pk_fma_f16 v190, v59, v170, v96
	v_pk_fma_f16 v191, v59, v171, v97
	;; [unrolled: 1-line block ×3, first 2 shown]
	ds_load_2addr_b64 v[51:54], v47 offset1:32
	ds_load_2addr_b64 v[63:66], v47 offset0:64 offset1:96
	ds_load_2addr_b64 v[67:70], v47 offset0:128 offset1:160
	;; [unrolled: 1-line block ×3, first 2 shown]
	ds_load_2addr_b64 v[75:78], v15 offset1:32
	ds_load_2addr_b64 v[79:82], v15 offset0:64 offset1:96
	ds_load_b128 v[86:89], v41 offset:448
	ds_load_b128 v[90:93], v41 offset:464
	ds_load_2addr_b64 v[94:97], v15 offset0:128 offset1:160
	ds_load_2addr_b64 v[98:101], v15 offset0:192 offset1:224
	ds_load_2addr_b64 v[102:105], v14 offset1:32
	ds_load_2addr_b64 v[106:109], v14 offset0:64 offset1:96
	ds_load_2addr_b64 v[110:113], v14 offset0:128 offset1:160
	;; [unrolled: 1-line block ×3, first 2 shown]
	ds_load_2addr_b64 v[118:121], v13 offset1:32
	ds_load_2addr_b64 v[122:125], v13 offset0:64 offset1:96
	ds_load_b128 v[126:129], v41 offset:480
	ds_load_b128 v[130:133], v41 offset:496
	ds_load_2addr_b64 v[134:137], v13 offset0:128 offset1:160
	ds_load_2addr_b64 v[138:141], v13 offset0:192 offset1:224
	s_wait_loadcnt_dscnt 0x0
	s_barrier_signal -1
	s_barrier_wait -1
	global_inv scope:SCOPE_SE
	s_clause 0x3
	global_load_b128 v[142:145], v[55:56], off
	global_load_b128 v[146:149], v[55:56], off offset:512
	global_load_b128 v[150:153], v[83:84], off
	global_load_b128 v[154:157], v[83:84], off offset:512
	v_pk_fma_f16 v55, v59, v173, v158
	v_pk_fma_f16 v56, v60, v170, v159
	;; [unrolled: 1-line block ×6, first 2 shown]
	v_and_b32_e32 v162, 0xffff, v86
	v_lshrrev_b32_e32 v86, 16, v86
	v_and_b32_e32 v163, 0xffff, v87
	v_lshrrev_b32_e32 v87, 16, v87
	v_pk_fma_f16 v158, v61, v171, v164
	v_pk_fma_f16 v159, v61, v172, v165
	v_mul_u32_u24_e32 v162, 0x10001, v162
	v_mul_u32_u24_e32 v86, 0x10001, v86
	v_mul_u32_u24_e32 v163, 0x10001, v163
	v_mul_u32_u24_e32 v87, 0x10001, v87
	v_pk_fma_f16 v61, v61, v173, v166
	v_pk_fma_f16 v160, v62, v170, v167
	;; [unrolled: 1-line block ×19, first 2 shown]
	v_and_b32_e32 v158, 0xffff, v88
	v_lshrrev_b32_e32 v88, 16, v88
	v_and_b32_e32 v159, 0xffff, v89
	v_lshrrev_b32_e32 v89, 16, v89
	v_pk_fma_f16 v164, v62, v172, v169
	v_pk_fma_f16 v62, v62, v173, v174
	;; [unrolled: 1-line block ×15, first 2 shown]
	v_mul_u32_u24_e32 v158, 0x10001, v158
	v_mul_u32_u24_e32 v88, 0x10001, v88
	;; [unrolled: 1-line block ×4, first 2 shown]
	v_pk_fma_f16 v65, v66, v162, v160
	v_pk_fma_f16 v160, v66, v163, v164
	;; [unrolled: 1-line block ×32, first 2 shown]
	v_and_b32_e32 v83, 0xffff, v90
	v_lshrrev_b32_e32 v84, 16, v90
	v_and_b32_e32 v86, 0xffff, v91
	v_lshrrev_b32_e32 v88, 16, v91
	v_pk_fma_f16 v65, v74, v158, v65
	v_mul_u32_u24_e32 v83, 0x10001, v83
	v_mul_u32_u24_e32 v84, 0x10001, v84
	;; [unrolled: 1-line block ×4, first 2 shown]
	v_pk_fma_f16 v90, v74, v159, v160
	v_pk_fma_f16 v56, v80, v83, v56
	;; [unrolled: 1-line block ×5, first 2 shown]
	v_lshrrev_b32_e32 v80, 16, v92
	v_pk_fma_f16 v62, v74, v89, v62
	v_pk_fma_f16 v66, v75, v83, v66
	v_pk_fma_f16 v57, v75, v84, v57
	v_pk_fma_f16 v74, v75, v86, v87
	v_pk_fma_f16 v51, v75, v88, v51
	v_pk_fma_f16 v67, v76, v83, v67
	v_pk_fma_f16 v75, v76, v84, v161
	v_pk_fma_f16 v87, v76, v86, v162
	v_pk_fma_f16 v52, v76, v88, v52
	v_pk_fma_f16 v68, v77, v83, v68
	v_pk_fma_f16 v76, v77, v84, v163
	v_pk_fma_f16 v89, v77, v86, v164
	v_pk_fma_f16 v53, v77, v88, v53
	v_pk_fma_f16 v69, v78, v83, v69
	v_pk_fma_f16 v77, v78, v84, v165
	v_pk_fma_f16 v91, v78, v86, v166
	v_pk_fma_f16 v54, v78, v88, v54
	v_pk_fma_f16 v78, v79, v84, v167
	v_pk_fma_f16 v71, v81, v84, v71
	v_pk_fma_f16 v73, v82, v84, v73
	v_mul_u32_u24_e32 v80, 0x10001, v80
	v_pk_fma_f16 v64, v81, v83, v64
	v_pk_fma_f16 v72, v81, v86, v72
	;; [unrolled: 1-line block ×3, first 2 shown]
	v_and_b32_e32 v81, 0xffff, v93
	v_pk_fma_f16 v57, v94, v80, v57
	v_pk_fma_f16 v75, v95, v80, v75
	v_pk_fma_f16 v76, v96, v80, v76
	v_pk_fma_f16 v77, v97, v80, v77
	v_pk_fma_f16 v78, v98, v80, v78
	v_pk_fma_f16 v59, v99, v80, v59
	v_pk_fma_f16 v71, v100, v80, v71
	v_pk_fma_f16 v73, v101, v80, v73
	v_lshrrev_b32_e32 v80, 16, v126
	v_pk_fma_f16 v70, v79, v83, v70
	v_pk_fma_f16 v158, v79, v86, v168
	;; [unrolled: 1-line block ×3, first 2 shown]
	v_and_b32_e32 v79, 0xffff, v92
	v_mul_u32_u24_e32 v81, 0x10001, v81
	v_mul_u32_u24_e32 v80, 0x10001, v80
	v_pk_fma_f16 v65, v82, v83, v65
	v_lshrrev_b32_e32 v83, 16, v93
	v_pk_fma_f16 v84, v82, v86, v90
	v_mul_u32_u24_e32 v79, 0x10001, v79
	v_pk_fma_f16 v86, v96, v81, v89
	v_and_b32_e32 v89, 0xffff, v127
	v_pk_fma_f16 v57, v102, v80, v57
	v_pk_fma_f16 v75, v103, v80, v75
	;; [unrolled: 1-line block ×8, first 2 shown]
	v_lshrrev_b32_e32 v80, 16, v128
	v_mul_u32_u24_e32 v83, 0x10001, v83
	v_pk_fma_f16 v62, v82, v88, v62
	v_pk_fma_f16 v66, v94, v79, v66
	;; [unrolled: 1-line block ×15, first 2 shown]
	v_and_b32_e32 v79, 0xffff, v126
	v_lshrrev_b32_e32 v90, 16, v127
	v_pk_fma_f16 v81, v101, v81, v84
	v_mul_u32_u24_e32 v84, 0x10001, v89
	v_mul_u32_u24_e32 v80, 0x10001, v80
	v_pk_fma_f16 v51, v94, v83, v51
	v_pk_fma_f16 v52, v95, v83, v52
	;; [unrolled: 1-line block ×7, first 2 shown]
	v_mul_u32_u24_e32 v79, 0x10001, v79
	v_mul_u32_u24_e32 v89, 0x10001, v90
	v_pk_fma_f16 v62, v101, v83, v62
	v_pk_fma_f16 v83, v104, v84, v86
	;; [unrolled: 1-line block ×4, first 2 shown]
	v_and_b32_e32 v88, 0xffff, v129
	v_lshrrev_b32_e32 v90, 16, v129
	v_pk_fma_f16 v57, v110, v80, v57
	v_pk_fma_f16 v75, v111, v80, v75
	;; [unrolled: 1-line block ×8, first 2 shown]
	v_lshrrev_b32_e32 v80, 16, v130
	v_pk_fma_f16 v66, v102, v79, v66
	v_pk_fma_f16 v74, v102, v84, v74
	;; [unrolled: 1-line block ×19, first 2 shown]
	v_and_b32_e32 v79, 0xffff, v128
	v_pk_fma_f16 v81, v109, v84, v81
	v_mul_u32_u24_e32 v84, 0x10001, v88
	v_mul_u32_u24_e32 v88, 0x10001, v90
	v_pk_fma_f16 v62, v109, v89, v62
	v_and_b32_e32 v89, 0xffff, v131
	v_lshrrev_b32_e32 v90, 16, v131
	v_mul_u32_u24_e32 v80, 0x10001, v80
	v_mul_u32_u24_e32 v79, 0x10001, v79
	v_pk_fma_f16 v74, v110, v84, v74
	v_pk_fma_f16 v51, v110, v88, v51
	;; [unrolled: 1-line block ×12, first 2 shown]
	v_mul_u32_u24_e32 v84, 0x10001, v89
	v_mul_u32_u24_e32 v89, 0x10001, v90
	v_pk_fma_f16 v57, v118, v80, v57
	v_pk_fma_f16 v75, v119, v80, v75
	;; [unrolled: 1-line block ×8, first 2 shown]
	v_lshrrev_b32_e32 v80, 16, v133
	v_pk_fma_f16 v66, v110, v79, v66
	v_pk_fma_f16 v67, v111, v79, v67
	v_pk_fma_f16 v68, v112, v79, v68
	v_pk_fma_f16 v69, v113, v79, v69
	v_pk_fma_f16 v70, v114, v79, v70
	v_pk_fma_f16 v55, v114, v88, v55
	v_pk_fma_f16 v56, v115, v79, v56
	v_pk_fma_f16 v60, v115, v88, v60
	v_pk_fma_f16 v64, v116, v79, v64
	v_pk_fma_f16 v61, v116, v88, v61
	v_pk_fma_f16 v65, v117, v79, v65
	v_and_b32_e32 v79, 0xffff, v130
	v_pk_fma_f16 v62, v117, v88, v62
	v_pk_fma_f16 v51, v118, v89, v51
	;; [unrolled: 1-line block ×5, first 2 shown]
	v_and_b32_e32 v54, 0xffff, v132
	v_mul_u32_u24_e32 v80, 0x10001, v80
	v_mul_u32_u24_e32 v79, 0x10001, v79
	v_pk_fma_f16 v74, v118, v84, v74
	v_pk_fma_f16 v82, v119, v84, v82
	;; [unrolled: 1-line block ×8, first 2 shown]
	v_lshrrev_b32_e32 v61, 16, v132
	v_pk_fma_f16 v81, v125, v84, v81
	v_mul_u32_u24_e32 v84, 0x10001, v54
	v_pk_fma_f16 v94, v134, v80, v51
	v_pk_fma_f16 v97, v135, v80, v52
	v_pk_fma_f16 v100, v136, v80, v53
	s_wait_loadcnt 0x3
	ds_store_b128 v42, v[142:145]
	s_wait_loadcnt 0x2
	ds_store_b128 v43, v[146:149]
	;; [unrolled: 2-line block ×4, first 2 shown]
	s_wait_dscnt 0x0
	s_barrier_signal -1
	s_barrier_wait -1
	global_inv scope:SCOPE_SE
	ds_load_b128 v[51:54], v41 offset:512
	v_pk_fma_f16 v67, v119, v79, v67
	v_pk_fma_f16 v68, v120, v79, v68
	;; [unrolled: 1-line block ×5, first 2 shown]
	v_mul_u32_u24_e32 v91, 0x10001, v61
	v_pk_fma_f16 v66, v118, v79, v66
	v_pk_fma_f16 v55, v122, v89, v55
	;; [unrolled: 1-line block ×5, first 2 shown]
	v_and_b32_e32 v79, 0xffff, v133
	v_pk_fma_f16 v89, v125, v89, v62
	v_pk_fma_f16 v95, v135, v84, v67
	;; [unrolled: 1-line block ×7, first 2 shown]
	ds_load_2addr_b64 v[59:62], v58 offset1:32
	ds_load_2addr_b64 v[67:70], v58 offset0:64 offset1:96
	v_mul_u32_u24_e32 v79, 0x10001, v79
	v_pk_fma_f16 v92, v134, v84, v66
	v_pk_fma_f16 v56, v139, v84, v56
	;; [unrolled: 1-line block ×7, first 2 shown]
	ds_load_b128 v[63:66], v41 offset:528
	s_wait_dscnt 0x3
	v_and_b32_e32 v71, 0xffff, v51
	v_lshrrev_b32_e32 v51, 16, v51
	v_and_b32_e32 v72, 0xffff, v52
	v_lshrrev_b32_e32 v52, 16, v52
	v_pk_fma_f16 v57, v134, v91, v57
	v_pk_fma_f16 v93, v134, v79, v74
	;; [unrolled: 1-line block ×16, first 2 shown]
	v_mul_u32_u24_e32 v81, 0x10001, v71
	v_mul_u32_u24_e32 v51, 0x10001, v51
	;; [unrolled: 1-line block ×4, first 2 shown]
	ds_load_b128 v[71:74], v41 offset:544
	ds_load_b128 v[75:78], v41 offset:560
	s_wait_dscnt 0x4
	v_pk_fma_f16 v92, v59, v81, v92
	v_pk_fma_f16 v57, v59, v51, v57
	;; [unrolled: 1-line block ×16, first 2 shown]
	s_wait_dscnt 0x3
	v_pk_fma_f16 v103, v67, v81, v103
	v_pk_fma_f16 v104, v67, v51, v104
	;; [unrolled: 1-line block ×6, first 2 shown]
	ds_load_2addr_b64 v[59:62], v58 offset0:128 offset1:160
	v_pk_fma_f16 v105, v68, v89, v106
	v_pk_fma_f16 v68, v68, v111, v107
	;; [unrolled: 1-line block ×9, first 2 shown]
	v_and_b32_e32 v89, 0xffff, v53
	v_lshrrev_b32_e32 v90, 16, v53
	v_and_b32_e32 v91, 0xffff, v54
	v_lshrrev_b32_e32 v109, 16, v54
	ds_load_2addr_b64 v[51:54], v58 offset0:192 offset1:224
	v_mul_u32_u24_e32 v89, 0x10001, v89
	v_mul_u32_u24_e32 v90, 0x10001, v90
	;; [unrolled: 1-line block ×4, first 2 shown]
	v_pk_fma_f16 v80, v70, v111, v80
	s_wait_dscnt 0x1
	v_pk_fma_f16 v92, v59, v89, v92
	v_pk_fma_f16 v57, v59, v90, v57
	;; [unrolled: 1-line block ×16, first 2 shown]
	s_wait_dscnt 0x0
	v_pk_fma_f16 v103, v51, v89, v103
	v_pk_fma_f16 v104, v51, v90, v104
	;; [unrolled: 1-line block ×6, first 2 shown]
	ds_load_2addr_b64 v[59:62], v48 offset1:32
	v_pk_fma_f16 v110, v52, v109, v68
	v_pk_fma_f16 v111, v53, v109, v69
	ds_load_2addr_b64 v[67:70], v48 offset0:64 offset1:96
	v_pk_fma_f16 v105, v52, v91, v105
	v_pk_fma_f16 v106, v53, v89, v106
	;; [unrolled: 1-line block ×4, first 2 shown]
	v_and_b32_e32 v52, 0xffff, v63
	v_lshrrev_b32_e32 v53, 16, v63
	v_and_b32_e32 v63, 0xffff, v64
	v_lshrrev_b32_e32 v64, 16, v64
	v_pk_fma_f16 v81, v54, v89, v81
	v_pk_fma_f16 v84, v54, v90, v84
	v_mul_u32_u24_e32 v89, 0x10001, v52
	v_mul_u32_u24_e32 v90, 0x10001, v53
	;; [unrolled: 1-line block ×4, first 2 shown]
	v_pk_fma_f16 v79, v54, v91, v79
	v_pk_fma_f16 v80, v54, v109, v80
	s_wait_dscnt 0x1
	v_pk_fma_f16 v91, v59, v89, v92
	v_pk_fma_f16 v92, v59, v63, v93
	;; [unrolled: 1-line block ×11, first 2 shown]
	s_wait_dscnt 0x0
	v_pk_fma_f16 v102, v67, v89, v103
	v_pk_fma_f16 v103, v67, v90, v104
	;; [unrolled: 1-line block ×4, first 2 shown]
	ds_load_2addr_b64 v[51:54], v48 offset0:128 offset1:160
	v_pk_fma_f16 v57, v59, v90, v57
	v_pk_fma_f16 v82, v60, v63, v82
	;; [unrolled: 1-line block ×12, first 2 shown]
	v_and_b32_e32 v79, 0xffff, v65
	v_lshrrev_b32_e32 v65, 16, v65
	v_and_b32_e32 v89, 0xffff, v66
	v_lshrrev_b32_e32 v66, 16, v66
	ds_load_2addr_b64 v[59:62], v48 offset0:192 offset1:224
	v_pk_fma_f16 v56, v68, v90, v56
	v_pk_fma_f16 v84, v70, v90, v84
	v_mul_u32_u24_e32 v79, 0x10001, v79
	v_mul_u32_u24_e32 v65, 0x10001, v65
	;; [unrolled: 1-line block ×4, first 2 shown]
	v_pk_fma_f16 v70, v70, v64, v80
	s_wait_dscnt 0x1
	v_pk_fma_f16 v80, v51, v79, v91
	v_pk_fma_f16 v57, v51, v65, v57
	;; [unrolled: 1-line block ×16, first 2 shown]
	ds_load_2addr_b64 v[51:54], v49 offset1:32
	v_pk_fma_f16 v68, v68, v64, v110
	v_pk_fma_f16 v69, v69, v64, v111
	s_wait_dscnt 0x1
	v_pk_fma_f16 v101, v59, v79, v102
	v_pk_fma_f16 v102, v59, v65, v103
	;; [unrolled: 1-line block ×15, first 2 shown]
	v_and_b32_e32 v84, 0xffff, v71
	v_lshrrev_b32_e32 v71, 16, v71
	v_and_b32_e32 v89, 0xffff, v72
	v_lshrrev_b32_e32 v72, 16, v72
	ds_load_2addr_b64 v[63:66], v49 offset0:64 offset1:96
	v_mul_u32_u24_e32 v84, 0x10001, v84
	v_mul_u32_u24_e32 v71, 0x10001, v71
	;; [unrolled: 1-line block ×4, first 2 shown]
	v_pk_fma_f16 v70, v62, v90, v70
	s_wait_dscnt 0x1
	v_pk_fma_f16 v80, v51, v84, v80
	v_pk_fma_f16 v57, v51, v71, v57
	;; [unrolled: 1-line block ×16, first 2 shown]
	ds_load_2addr_b64 v[51:54], v49 offset0:128 offset1:160
	s_wait_dscnt 0x1
	v_pk_fma_f16 v100, v63, v84, v101
	v_pk_fma_f16 v101, v63, v71, v102
	;; [unrolled: 1-line block ×15, first 2 shown]
	v_and_b32_e32 v81, 0xffff, v73
	v_lshrrev_b32_e32 v73, 16, v73
	v_and_b32_e32 v84, 0xffff, v74
	v_lshrrev_b32_e32 v74, 16, v74
	ds_load_2addr_b64 v[59:62], v49 offset0:192 offset1:224
	v_mul_u32_u24_e32 v81, 0x10001, v81
	v_mul_u32_u24_e32 v73, 0x10001, v73
	;; [unrolled: 1-line block ×4, first 2 shown]
	v_pk_fma_f16 v70, v66, v72, v70
	s_wait_dscnt 0x1
	v_pk_fma_f16 v72, v51, v81, v80
	v_pk_fma_f16 v57, v51, v73, v57
	;; [unrolled: 1-line block ×16, first 2 shown]
	ds_load_2addr_b64 v[51:54], v50 offset1:32
	s_wait_dscnt 0x1
	v_pk_fma_f16 v98, v59, v81, v100
	v_pk_fma_f16 v99, v59, v73, v101
	;; [unrolled: 1-line block ×15, first 2 shown]
	v_and_b32_e32 v79, 0xffff, v75
	v_lshrrev_b32_e32 v75, 16, v75
	v_and_b32_e32 v81, 0xffff, v76
	v_lshrrev_b32_e32 v76, 16, v76
	ds_load_2addr_b64 v[63:66], v50 offset0:64 offset1:96
	v_mul_u32_u24_e32 v79, 0x10001, v79
	v_mul_u32_u24_e32 v75, 0x10001, v75
	;; [unrolled: 1-line block ×4, first 2 shown]
	v_pk_fma_f16 v70, v62, v74, v70
	s_wait_dscnt 0x1
	v_pk_fma_f16 v72, v51, v79, v72
	v_pk_fma_f16 v57, v51, v75, v57
	;; [unrolled: 1-line block ×16, first 2 shown]
	ds_load_2addr_b64 v[51:54], v50 offset0:128 offset1:160
	s_or_b32 s26, s4, 0x50
	s_wait_dscnt 0x1
	v_pk_fma_f16 v96, v63, v79, v98
	v_pk_fma_f16 v97, v63, v75, v99
	;; [unrolled: 1-line block ×6, first 2 shown]
	v_and_b32_e32 v63, 0xffff, v78
	ds_load_2addr_b64 v[59:62], v50 offset0:192 offset1:224
	s_wait_alu 0xfffe
	s_ashr_i32 s27, s26, 31
	v_pk_fma_f16 v159, v64, v79, v55
	v_and_b32_e32 v55, 0xffff, v77
	s_wait_alu 0xfffe
	s_mul_u64 s[26:27], s[26:27], s[14:15]
	v_pk_fma_f16 v160, v64, v75, v56
	s_wait_alu 0xfffe
	s_lshl_b64 s[26:27], s[26:27], 2
	v_lshrrev_b32_e32 v56, 16, v77
	v_mul_u32_u24_e32 v172, 0x10001, v63
	s_wait_alu 0xfffe
	s_add_nc_u64 s[26:27], s[8:9], s[26:27]
	v_mul_u32_u24_e32 v170, 0x10001, v55
	s_wait_alu 0xfffe
	v_add_co_u32 v55, vcc_lo, s26, v27
	v_pk_fma_f16 v161, v64, v81, v67
	v_lshrrev_b32_e32 v64, 16, v78
	v_mul_u32_u24_e32 v171, 0x10001, v56
	s_wait_dscnt 0x1
	v_pk_fma_f16 v184, v53, v172, v83
	s_wait_alu 0xfffd
	v_add_co_ci_u32_e64 v56, null, s27, v28, vcc_lo
	v_add_co_u32 v83, vcc_lo, s26, v29
	v_pk_fma_f16 v178, v52, v170, v84
	s_wait_alu 0xfffd
	v_add_co_ci_u32_e64 v84, null, s27, v30, vcc_lo
	v_add_co_u32 v55, vcc_lo, v55, v85
	v_mul_u32_u24_e32 v173, 0x10001, v64
	s_wait_alu 0xfffd
	v_add_co_ci_u32_e64 v56, null, 0, v56, vcc_lo
	v_add_co_u32 v83, vcc_lo, v83, v85
	s_wait_alu 0xfffd
	v_add_co_ci_u32_e64 v84, null, 0, v84, vcc_lo
	v_pk_fma_f16 v163, v65, v79, v68
	v_pk_fma_f16 v164, v65, v75, v100
	v_pk_fma_f16 v165, v65, v81, v101
	v_pk_fma_f16 v167, v66, v79, v69
	v_pk_fma_f16 v168, v66, v75, v71
	v_pk_fma_f16 v169, v66, v81, v73
	v_pk_fma_f16 v174, v66, v76, v70
	v_pk_fma_f16 v175, v51, v170, v72
	v_pk_fma_f16 v57, v51, v171, v57
	v_pk_fma_f16 v176, v51, v172, v74
	v_pk_fma_f16 v177, v51, v173, v80
	v_pk_fma_f16 v179, v52, v171, v89
	v_pk_fma_f16 v180, v52, v172, v82
	v_pk_fma_f16 v181, v52, v173, v90
	v_pk_fma_f16 v182, v53, v170, v91
	v_pk_fma_f16 v183, v53, v171, v92
	v_pk_fma_f16 v185, v53, v173, v93
	v_pk_fma_f16 v186, v54, v170, v94
	v_pk_fma_f16 v187, v54, v171, v95
	v_pk_fma_f16 v188, v54, v172, v86
	v_pk_fma_f16 v189, v54, v173, v88
	s_wait_dscnt 0x0
	v_pk_fma_f16 v190, v59, v170, v96
	v_pk_fma_f16 v191, v59, v171, v97
	;; [unrolled: 1-line block ×3, first 2 shown]
	ds_load_2addr_b64 v[51:54], v47 offset1:32
	ds_load_2addr_b64 v[63:66], v47 offset0:64 offset1:96
	ds_load_2addr_b64 v[67:70], v47 offset0:128 offset1:160
	ds_load_2addr_b64 v[71:74], v47 offset0:192 offset1:224
	ds_load_2addr_b64 v[75:78], v15 offset1:32
	ds_load_2addr_b64 v[79:82], v15 offset0:64 offset1:96
	ds_load_b128 v[86:89], v41 offset:576
	ds_load_b128 v[90:93], v41 offset:592
	ds_load_2addr_b64 v[94:97], v15 offset0:128 offset1:160
	ds_load_2addr_b64 v[98:101], v15 offset0:192 offset1:224
	ds_load_2addr_b64 v[102:105], v14 offset1:32
	ds_load_2addr_b64 v[106:109], v14 offset0:64 offset1:96
	ds_load_2addr_b64 v[110:113], v14 offset0:128 offset1:160
	;; [unrolled: 1-line block ×3, first 2 shown]
	ds_load_2addr_b64 v[118:121], v13 offset1:32
	ds_load_2addr_b64 v[122:125], v13 offset0:64 offset1:96
	ds_load_b128 v[126:129], v41 offset:608
	ds_load_b128 v[130:133], v41 offset:624
	ds_load_2addr_b64 v[134:137], v13 offset0:128 offset1:160
	ds_load_2addr_b64 v[138:141], v13 offset0:192 offset1:224
	s_wait_loadcnt_dscnt 0x0
	s_barrier_signal -1
	s_barrier_wait -1
	global_inv scope:SCOPE_SE
	s_clause 0x3
	global_load_b128 v[142:145], v[55:56], off
	global_load_b128 v[146:149], v[55:56], off offset:512
	global_load_b128 v[150:153], v[83:84], off
	global_load_b128 v[154:157], v[83:84], off offset:512
	v_pk_fma_f16 v55, v59, v173, v158
	v_pk_fma_f16 v56, v60, v170, v159
	;; [unrolled: 1-line block ×6, first 2 shown]
	v_and_b32_e32 v162, 0xffff, v86
	v_lshrrev_b32_e32 v86, 16, v86
	v_and_b32_e32 v163, 0xffff, v87
	v_lshrrev_b32_e32 v87, 16, v87
	v_pk_fma_f16 v158, v61, v171, v164
	v_pk_fma_f16 v159, v61, v172, v165
	v_mul_u32_u24_e32 v162, 0x10001, v162
	v_mul_u32_u24_e32 v86, 0x10001, v86
	;; [unrolled: 1-line block ×4, first 2 shown]
	v_pk_fma_f16 v61, v61, v173, v166
	v_pk_fma_f16 v160, v62, v170, v167
	;; [unrolled: 1-line block ×19, first 2 shown]
	v_and_b32_e32 v158, 0xffff, v88
	v_lshrrev_b32_e32 v88, 16, v88
	v_and_b32_e32 v159, 0xffff, v89
	v_lshrrev_b32_e32 v89, 16, v89
	v_pk_fma_f16 v164, v62, v172, v169
	v_pk_fma_f16 v62, v62, v173, v174
	;; [unrolled: 1-line block ×15, first 2 shown]
	v_mul_u32_u24_e32 v158, 0x10001, v158
	v_mul_u32_u24_e32 v88, 0x10001, v88
	;; [unrolled: 1-line block ×4, first 2 shown]
	v_pk_fma_f16 v65, v66, v162, v160
	v_pk_fma_f16 v160, v66, v163, v164
	;; [unrolled: 1-line block ×32, first 2 shown]
	v_and_b32_e32 v83, 0xffff, v90
	v_lshrrev_b32_e32 v84, 16, v90
	v_and_b32_e32 v86, 0xffff, v91
	v_lshrrev_b32_e32 v88, 16, v91
	v_pk_fma_f16 v65, v74, v158, v65
	v_mul_u32_u24_e32 v83, 0x10001, v83
	v_mul_u32_u24_e32 v84, 0x10001, v84
	;; [unrolled: 1-line block ×4, first 2 shown]
	v_pk_fma_f16 v90, v74, v159, v160
	v_pk_fma_f16 v56, v80, v83, v56
	;; [unrolled: 1-line block ×5, first 2 shown]
	v_lshrrev_b32_e32 v80, 16, v92
	v_pk_fma_f16 v62, v74, v89, v62
	v_pk_fma_f16 v66, v75, v83, v66
	;; [unrolled: 1-line block ×20, first 2 shown]
	v_mul_u32_u24_e32 v80, 0x10001, v80
	v_pk_fma_f16 v64, v81, v83, v64
	v_pk_fma_f16 v72, v81, v86, v72
	;; [unrolled: 1-line block ×3, first 2 shown]
	v_and_b32_e32 v81, 0xffff, v93
	v_pk_fma_f16 v57, v94, v80, v57
	v_pk_fma_f16 v75, v95, v80, v75
	;; [unrolled: 1-line block ×8, first 2 shown]
	v_lshrrev_b32_e32 v80, 16, v126
	v_pk_fma_f16 v70, v79, v83, v70
	v_pk_fma_f16 v158, v79, v86, v168
	;; [unrolled: 1-line block ×3, first 2 shown]
	v_and_b32_e32 v79, 0xffff, v92
	v_mul_u32_u24_e32 v81, 0x10001, v81
	v_mul_u32_u24_e32 v80, 0x10001, v80
	v_pk_fma_f16 v65, v82, v83, v65
	v_lshrrev_b32_e32 v83, 16, v93
	v_pk_fma_f16 v84, v82, v86, v90
	v_mul_u32_u24_e32 v79, 0x10001, v79
	v_pk_fma_f16 v86, v96, v81, v89
	v_and_b32_e32 v89, 0xffff, v127
	v_pk_fma_f16 v57, v102, v80, v57
	v_pk_fma_f16 v75, v103, v80, v75
	;; [unrolled: 1-line block ×8, first 2 shown]
	v_lshrrev_b32_e32 v80, 16, v128
	v_mul_u32_u24_e32 v83, 0x10001, v83
	v_pk_fma_f16 v62, v82, v88, v62
	v_pk_fma_f16 v66, v94, v79, v66
	;; [unrolled: 1-line block ×15, first 2 shown]
	v_and_b32_e32 v79, 0xffff, v126
	v_lshrrev_b32_e32 v90, 16, v127
	v_pk_fma_f16 v81, v101, v81, v84
	v_mul_u32_u24_e32 v84, 0x10001, v89
	v_mul_u32_u24_e32 v80, 0x10001, v80
	v_pk_fma_f16 v51, v94, v83, v51
	v_pk_fma_f16 v52, v95, v83, v52
	;; [unrolled: 1-line block ×7, first 2 shown]
	v_mul_u32_u24_e32 v79, 0x10001, v79
	v_mul_u32_u24_e32 v89, 0x10001, v90
	v_pk_fma_f16 v62, v101, v83, v62
	v_pk_fma_f16 v83, v104, v84, v86
	;; [unrolled: 1-line block ×4, first 2 shown]
	v_and_b32_e32 v88, 0xffff, v129
	v_lshrrev_b32_e32 v90, 16, v129
	v_pk_fma_f16 v57, v110, v80, v57
	v_pk_fma_f16 v75, v111, v80, v75
	;; [unrolled: 1-line block ×8, first 2 shown]
	v_lshrrev_b32_e32 v80, 16, v130
	v_pk_fma_f16 v66, v102, v79, v66
	v_pk_fma_f16 v74, v102, v84, v74
	;; [unrolled: 1-line block ×19, first 2 shown]
	v_and_b32_e32 v79, 0xffff, v128
	v_pk_fma_f16 v81, v109, v84, v81
	v_mul_u32_u24_e32 v84, 0x10001, v88
	v_mul_u32_u24_e32 v88, 0x10001, v90
	v_pk_fma_f16 v62, v109, v89, v62
	v_and_b32_e32 v89, 0xffff, v131
	v_lshrrev_b32_e32 v90, 16, v131
	v_mul_u32_u24_e32 v80, 0x10001, v80
	v_mul_u32_u24_e32 v79, 0x10001, v79
	v_pk_fma_f16 v74, v110, v84, v74
	v_pk_fma_f16 v51, v110, v88, v51
	v_pk_fma_f16 v82, v111, v84, v82
	v_pk_fma_f16 v52, v111, v88, v52
	v_pk_fma_f16 v83, v112, v84, v83
	v_pk_fma_f16 v53, v112, v88, v53
	v_pk_fma_f16 v86, v113, v84, v86
	v_pk_fma_f16 v54, v113, v88, v54
	v_pk_fma_f16 v87, v114, v84, v87
	v_pk_fma_f16 v63, v115, v84, v63
	v_pk_fma_f16 v72, v116, v84, v72
	v_pk_fma_f16 v81, v117, v84, v81
	v_mul_u32_u24_e32 v84, 0x10001, v89
	v_mul_u32_u24_e32 v89, 0x10001, v90
	v_pk_fma_f16 v57, v118, v80, v57
	v_pk_fma_f16 v75, v119, v80, v75
	;; [unrolled: 1-line block ×8, first 2 shown]
	v_lshrrev_b32_e32 v80, 16, v133
	v_pk_fma_f16 v66, v110, v79, v66
	v_pk_fma_f16 v67, v111, v79, v67
	;; [unrolled: 1-line block ×11, first 2 shown]
	v_and_b32_e32 v79, 0xffff, v130
	v_pk_fma_f16 v62, v117, v88, v62
	v_pk_fma_f16 v51, v118, v89, v51
	;; [unrolled: 1-line block ×5, first 2 shown]
	v_and_b32_e32 v54, 0xffff, v132
	v_mul_u32_u24_e32 v80, 0x10001, v80
	v_mul_u32_u24_e32 v79, 0x10001, v79
	v_pk_fma_f16 v74, v118, v84, v74
	v_pk_fma_f16 v82, v119, v84, v82
	;; [unrolled: 1-line block ×8, first 2 shown]
	v_lshrrev_b32_e32 v61, 16, v132
	v_pk_fma_f16 v81, v125, v84, v81
	v_mul_u32_u24_e32 v84, 0x10001, v54
	v_pk_fma_f16 v94, v134, v80, v51
	v_pk_fma_f16 v97, v135, v80, v52
	;; [unrolled: 1-line block ×3, first 2 shown]
	s_wait_loadcnt 0x3
	ds_store_b128 v42, v[142:145]
	s_wait_loadcnt 0x2
	ds_store_b128 v43, v[146:149]
	;; [unrolled: 2-line block ×4, first 2 shown]
	s_wait_dscnt 0x0
	s_barrier_signal -1
	s_barrier_wait -1
	global_inv scope:SCOPE_SE
	ds_load_b128 v[51:54], v41 offset:640
	v_pk_fma_f16 v67, v119, v79, v67
	v_pk_fma_f16 v68, v120, v79, v68
	;; [unrolled: 1-line block ×5, first 2 shown]
	v_mul_u32_u24_e32 v91, 0x10001, v61
	v_pk_fma_f16 v66, v118, v79, v66
	v_pk_fma_f16 v55, v122, v89, v55
	;; [unrolled: 1-line block ×5, first 2 shown]
	v_and_b32_e32 v79, 0xffff, v133
	v_pk_fma_f16 v89, v125, v89, v62
	v_pk_fma_f16 v95, v135, v84, v67
	v_pk_fma_f16 v98, v136, v84, v68
	v_pk_fma_f16 v101, v137, v84, v69
	v_pk_fma_f16 v103, v138, v84, v70
	v_pk_fma_f16 v105, v139, v91, v59
	v_pk_fma_f16 v107, v139, v80, v60
	ds_load_2addr_b64 v[59:62], v58 offset1:32
	ds_load_2addr_b64 v[67:70], v58 offset0:64 offset1:96
	v_mul_u32_u24_e32 v79, 0x10001, v79
	v_pk_fma_f16 v92, v134, v84, v66
	v_pk_fma_f16 v56, v139, v84, v56
	;; [unrolled: 1-line block ×7, first 2 shown]
	ds_load_b128 v[63:66], v41 offset:656
	s_wait_dscnt 0x3
	v_and_b32_e32 v71, 0xffff, v51
	v_lshrrev_b32_e32 v51, 16, v51
	v_and_b32_e32 v72, 0xffff, v52
	v_lshrrev_b32_e32 v52, 16, v52
	v_pk_fma_f16 v57, v134, v91, v57
	v_pk_fma_f16 v93, v134, v79, v74
	;; [unrolled: 1-line block ×16, first 2 shown]
	v_mul_u32_u24_e32 v81, 0x10001, v71
	v_mul_u32_u24_e32 v51, 0x10001, v51
	v_mul_u32_u24_e32 v89, 0x10001, v72
	v_mul_u32_u24_e32 v111, 0x10001, v52
	ds_load_b128 v[71:74], v41 offset:672
	ds_load_b128 v[75:78], v41 offset:688
	s_wait_dscnt 0x4
	v_pk_fma_f16 v92, v59, v81, v92
	v_pk_fma_f16 v57, v59, v51, v57
	;; [unrolled: 1-line block ×16, first 2 shown]
	s_wait_dscnt 0x3
	v_pk_fma_f16 v103, v67, v81, v103
	v_pk_fma_f16 v104, v67, v51, v104
	v_pk_fma_f16 v87, v67, v89, v87
	v_pk_fma_f16 v55, v67, v111, v55
	v_pk_fma_f16 v56, v68, v81, v56
	v_pk_fma_f16 v67, v68, v51, v105
	ds_load_2addr_b64 v[59:62], v58 offset0:128 offset1:160
	v_pk_fma_f16 v105, v68, v89, v106
	v_pk_fma_f16 v68, v68, v111, v107
	;; [unrolled: 1-line block ×9, first 2 shown]
	v_and_b32_e32 v89, 0xffff, v53
	v_lshrrev_b32_e32 v90, 16, v53
	v_and_b32_e32 v91, 0xffff, v54
	v_lshrrev_b32_e32 v109, 16, v54
	ds_load_2addr_b64 v[51:54], v58 offset0:192 offset1:224
	v_mul_u32_u24_e32 v89, 0x10001, v89
	v_mul_u32_u24_e32 v90, 0x10001, v90
	;; [unrolled: 1-line block ×4, first 2 shown]
	v_pk_fma_f16 v80, v70, v111, v80
	s_wait_dscnt 0x1
	v_pk_fma_f16 v92, v59, v89, v92
	v_pk_fma_f16 v57, v59, v90, v57
	;; [unrolled: 1-line block ×16, first 2 shown]
	s_wait_dscnt 0x0
	v_pk_fma_f16 v103, v51, v89, v103
	v_pk_fma_f16 v104, v51, v90, v104
	;; [unrolled: 1-line block ×6, first 2 shown]
	ds_load_2addr_b64 v[59:62], v48 offset1:32
	v_pk_fma_f16 v110, v52, v109, v68
	v_pk_fma_f16 v111, v53, v109, v69
	ds_load_2addr_b64 v[67:70], v48 offset0:64 offset1:96
	v_pk_fma_f16 v105, v52, v91, v105
	v_pk_fma_f16 v106, v53, v89, v106
	;; [unrolled: 1-line block ×4, first 2 shown]
	v_and_b32_e32 v52, 0xffff, v63
	v_lshrrev_b32_e32 v53, 16, v63
	v_and_b32_e32 v63, 0xffff, v64
	v_lshrrev_b32_e32 v64, 16, v64
	v_pk_fma_f16 v81, v54, v89, v81
	v_pk_fma_f16 v84, v54, v90, v84
	v_mul_u32_u24_e32 v89, 0x10001, v52
	v_mul_u32_u24_e32 v90, 0x10001, v53
	;; [unrolled: 1-line block ×4, first 2 shown]
	v_pk_fma_f16 v79, v54, v91, v79
	v_pk_fma_f16 v80, v54, v109, v80
	s_wait_dscnt 0x1
	v_pk_fma_f16 v91, v59, v89, v92
	v_pk_fma_f16 v92, v59, v63, v93
	;; [unrolled: 1-line block ×11, first 2 shown]
	s_wait_dscnt 0x0
	v_pk_fma_f16 v102, v67, v89, v103
	v_pk_fma_f16 v103, v67, v90, v104
	;; [unrolled: 1-line block ×4, first 2 shown]
	ds_load_2addr_b64 v[51:54], v48 offset0:128 offset1:160
	v_pk_fma_f16 v57, v59, v90, v57
	v_pk_fma_f16 v82, v60, v63, v82
	;; [unrolled: 1-line block ×12, first 2 shown]
	v_and_b32_e32 v79, 0xffff, v65
	v_lshrrev_b32_e32 v65, 16, v65
	v_and_b32_e32 v89, 0xffff, v66
	v_lshrrev_b32_e32 v66, 16, v66
	ds_load_2addr_b64 v[59:62], v48 offset0:192 offset1:224
	v_pk_fma_f16 v56, v68, v90, v56
	v_pk_fma_f16 v84, v70, v90, v84
	v_mul_u32_u24_e32 v79, 0x10001, v79
	v_mul_u32_u24_e32 v65, 0x10001, v65
	;; [unrolled: 1-line block ×4, first 2 shown]
	v_pk_fma_f16 v70, v70, v64, v80
	s_wait_dscnt 0x1
	v_pk_fma_f16 v80, v51, v79, v91
	v_pk_fma_f16 v57, v51, v65, v57
	;; [unrolled: 1-line block ×16, first 2 shown]
	ds_load_2addr_b64 v[51:54], v49 offset1:32
	v_pk_fma_f16 v68, v68, v64, v110
	v_pk_fma_f16 v69, v69, v64, v111
	s_wait_dscnt 0x1
	v_pk_fma_f16 v101, v59, v79, v102
	v_pk_fma_f16 v102, v59, v65, v103
	;; [unrolled: 1-line block ×15, first 2 shown]
	v_and_b32_e32 v84, 0xffff, v71
	v_lshrrev_b32_e32 v71, 16, v71
	v_and_b32_e32 v89, 0xffff, v72
	v_lshrrev_b32_e32 v72, 16, v72
	ds_load_2addr_b64 v[63:66], v49 offset0:64 offset1:96
	v_mul_u32_u24_e32 v84, 0x10001, v84
	v_mul_u32_u24_e32 v71, 0x10001, v71
	;; [unrolled: 1-line block ×4, first 2 shown]
	v_pk_fma_f16 v70, v62, v90, v70
	s_wait_dscnt 0x1
	v_pk_fma_f16 v80, v51, v84, v80
	v_pk_fma_f16 v57, v51, v71, v57
	;; [unrolled: 1-line block ×16, first 2 shown]
	ds_load_2addr_b64 v[51:54], v49 offset0:128 offset1:160
	s_wait_dscnt 0x1
	v_pk_fma_f16 v100, v63, v84, v101
	v_pk_fma_f16 v101, v63, v71, v102
	;; [unrolled: 1-line block ×15, first 2 shown]
	v_and_b32_e32 v81, 0xffff, v73
	v_lshrrev_b32_e32 v73, 16, v73
	v_and_b32_e32 v84, 0xffff, v74
	v_lshrrev_b32_e32 v74, 16, v74
	ds_load_2addr_b64 v[59:62], v49 offset0:192 offset1:224
	v_mul_u32_u24_e32 v81, 0x10001, v81
	v_mul_u32_u24_e32 v73, 0x10001, v73
	;; [unrolled: 1-line block ×4, first 2 shown]
	v_pk_fma_f16 v70, v66, v72, v70
	s_wait_dscnt 0x1
	v_pk_fma_f16 v72, v51, v81, v80
	v_pk_fma_f16 v57, v51, v73, v57
	;; [unrolled: 1-line block ×16, first 2 shown]
	ds_load_2addr_b64 v[51:54], v50 offset1:32
	s_wait_dscnt 0x1
	v_pk_fma_f16 v98, v59, v81, v100
	v_pk_fma_f16 v99, v59, v73, v101
	;; [unrolled: 1-line block ×15, first 2 shown]
	v_and_b32_e32 v79, 0xffff, v75
	v_lshrrev_b32_e32 v75, 16, v75
	v_and_b32_e32 v81, 0xffff, v76
	v_lshrrev_b32_e32 v76, 16, v76
	ds_load_2addr_b64 v[63:66], v50 offset0:64 offset1:96
	v_mul_u32_u24_e32 v79, 0x10001, v79
	v_mul_u32_u24_e32 v75, 0x10001, v75
	;; [unrolled: 1-line block ×4, first 2 shown]
	v_pk_fma_f16 v70, v62, v74, v70
	s_wait_dscnt 0x1
	v_pk_fma_f16 v72, v51, v79, v72
	v_pk_fma_f16 v57, v51, v75, v57
	;; [unrolled: 1-line block ×16, first 2 shown]
	ds_load_2addr_b64 v[51:54], v50 offset0:128 offset1:160
	s_or_b32 s26, s4, 0x60
	s_wait_dscnt 0x1
	v_pk_fma_f16 v96, v63, v79, v98
	v_pk_fma_f16 v97, v63, v75, v99
	;; [unrolled: 1-line block ×6, first 2 shown]
	v_and_b32_e32 v63, 0xffff, v78
	ds_load_2addr_b64 v[59:62], v50 offset0:192 offset1:224
	s_wait_alu 0xfffe
	s_ashr_i32 s27, s26, 31
	v_pk_fma_f16 v159, v64, v79, v55
	v_and_b32_e32 v55, 0xffff, v77
	s_wait_alu 0xfffe
	s_mul_u64 s[26:27], s[26:27], s[14:15]
	v_pk_fma_f16 v160, v64, v75, v56
	s_wait_alu 0xfffe
	s_lshl_b64 s[26:27], s[26:27], 2
	v_lshrrev_b32_e32 v56, 16, v77
	v_mul_u32_u24_e32 v172, 0x10001, v63
	s_wait_alu 0xfffe
	s_add_nc_u64 s[26:27], s[8:9], s[26:27]
	v_mul_u32_u24_e32 v170, 0x10001, v55
	s_wait_alu 0xfffe
	v_add_co_u32 v55, vcc_lo, s26, v27
	v_pk_fma_f16 v161, v64, v81, v67
	v_lshrrev_b32_e32 v64, 16, v78
	v_mul_u32_u24_e32 v171, 0x10001, v56
	s_wait_dscnt 0x1
	v_pk_fma_f16 v184, v53, v172, v83
	s_wait_alu 0xfffd
	v_add_co_ci_u32_e64 v56, null, s27, v28, vcc_lo
	v_add_co_u32 v83, vcc_lo, s26, v29
	v_pk_fma_f16 v178, v52, v170, v84
	s_wait_alu 0xfffd
	v_add_co_ci_u32_e64 v84, null, s27, v30, vcc_lo
	v_add_co_u32 v55, vcc_lo, v55, v85
	v_mul_u32_u24_e32 v173, 0x10001, v64
	s_wait_alu 0xfffd
	v_add_co_ci_u32_e64 v56, null, 0, v56, vcc_lo
	v_add_co_u32 v83, vcc_lo, v83, v85
	s_wait_alu 0xfffd
	v_add_co_ci_u32_e64 v84, null, 0, v84, vcc_lo
	v_pk_fma_f16 v163, v65, v79, v68
	v_pk_fma_f16 v164, v65, v75, v100
	;; [unrolled: 1-line block ×21, first 2 shown]
	s_wait_dscnt 0x0
	v_pk_fma_f16 v190, v59, v170, v96
	v_pk_fma_f16 v191, v59, v171, v97
	;; [unrolled: 1-line block ×3, first 2 shown]
	ds_load_2addr_b64 v[51:54], v47 offset1:32
	ds_load_2addr_b64 v[63:66], v47 offset0:64 offset1:96
	ds_load_2addr_b64 v[67:70], v47 offset0:128 offset1:160
	;; [unrolled: 1-line block ×3, first 2 shown]
	ds_load_2addr_b64 v[75:78], v15 offset1:32
	ds_load_2addr_b64 v[79:82], v15 offset0:64 offset1:96
	ds_load_b128 v[86:89], v41 offset:704
	ds_load_b128 v[90:93], v41 offset:720
	ds_load_2addr_b64 v[94:97], v15 offset0:128 offset1:160
	ds_load_2addr_b64 v[98:101], v15 offset0:192 offset1:224
	ds_load_2addr_b64 v[102:105], v14 offset1:32
	ds_load_2addr_b64 v[106:109], v14 offset0:64 offset1:96
	ds_load_2addr_b64 v[110:113], v14 offset0:128 offset1:160
	;; [unrolled: 1-line block ×3, first 2 shown]
	ds_load_2addr_b64 v[118:121], v13 offset1:32
	ds_load_2addr_b64 v[122:125], v13 offset0:64 offset1:96
	ds_load_b128 v[126:129], v41 offset:736
	ds_load_b128 v[130:133], v41 offset:752
	ds_load_2addr_b64 v[134:137], v13 offset0:128 offset1:160
	ds_load_2addr_b64 v[138:141], v13 offset0:192 offset1:224
	s_wait_loadcnt_dscnt 0x0
	s_barrier_signal -1
	s_barrier_wait -1
	global_inv scope:SCOPE_SE
	s_clause 0x3
	global_load_b128 v[142:145], v[55:56], off
	global_load_b128 v[146:149], v[55:56], off offset:512
	global_load_b128 v[150:153], v[83:84], off
	global_load_b128 v[154:157], v[83:84], off offset:512
	v_pk_fma_f16 v55, v59, v173, v158
	v_pk_fma_f16 v56, v60, v170, v159
	;; [unrolled: 1-line block ×6, first 2 shown]
	v_and_b32_e32 v162, 0xffff, v86
	v_lshrrev_b32_e32 v86, 16, v86
	v_and_b32_e32 v163, 0xffff, v87
	v_lshrrev_b32_e32 v87, 16, v87
	v_pk_fma_f16 v158, v61, v171, v164
	v_pk_fma_f16 v159, v61, v172, v165
	v_mul_u32_u24_e32 v162, 0x10001, v162
	v_mul_u32_u24_e32 v86, 0x10001, v86
	;; [unrolled: 1-line block ×4, first 2 shown]
	v_pk_fma_f16 v61, v61, v173, v166
	v_pk_fma_f16 v160, v62, v170, v167
	;; [unrolled: 1-line block ×19, first 2 shown]
	v_and_b32_e32 v158, 0xffff, v88
	v_lshrrev_b32_e32 v88, 16, v88
	v_and_b32_e32 v159, 0xffff, v89
	v_lshrrev_b32_e32 v89, 16, v89
	v_pk_fma_f16 v164, v62, v172, v169
	v_pk_fma_f16 v62, v62, v173, v174
	;; [unrolled: 1-line block ×15, first 2 shown]
	v_mul_u32_u24_e32 v158, 0x10001, v158
	v_mul_u32_u24_e32 v88, 0x10001, v88
	;; [unrolled: 1-line block ×4, first 2 shown]
	v_pk_fma_f16 v65, v66, v162, v160
	v_pk_fma_f16 v160, v66, v163, v164
	;; [unrolled: 1-line block ×32, first 2 shown]
	v_and_b32_e32 v83, 0xffff, v90
	v_lshrrev_b32_e32 v84, 16, v90
	v_and_b32_e32 v86, 0xffff, v91
	v_lshrrev_b32_e32 v88, 16, v91
	v_pk_fma_f16 v65, v74, v158, v65
	v_mul_u32_u24_e32 v83, 0x10001, v83
	v_mul_u32_u24_e32 v84, 0x10001, v84
	;; [unrolled: 1-line block ×4, first 2 shown]
	v_pk_fma_f16 v90, v74, v159, v160
	v_pk_fma_f16 v56, v80, v83, v56
	;; [unrolled: 1-line block ×5, first 2 shown]
	v_lshrrev_b32_e32 v80, 16, v92
	v_pk_fma_f16 v62, v74, v89, v62
	v_pk_fma_f16 v66, v75, v83, v66
	;; [unrolled: 1-line block ×20, first 2 shown]
	v_mul_u32_u24_e32 v80, 0x10001, v80
	v_pk_fma_f16 v64, v81, v83, v64
	v_pk_fma_f16 v72, v81, v86, v72
	;; [unrolled: 1-line block ×3, first 2 shown]
	v_and_b32_e32 v81, 0xffff, v93
	v_pk_fma_f16 v57, v94, v80, v57
	v_pk_fma_f16 v75, v95, v80, v75
	;; [unrolled: 1-line block ×8, first 2 shown]
	v_lshrrev_b32_e32 v80, 16, v126
	v_pk_fma_f16 v70, v79, v83, v70
	v_pk_fma_f16 v158, v79, v86, v168
	;; [unrolled: 1-line block ×3, first 2 shown]
	v_and_b32_e32 v79, 0xffff, v92
	v_mul_u32_u24_e32 v81, 0x10001, v81
	v_mul_u32_u24_e32 v80, 0x10001, v80
	v_pk_fma_f16 v65, v82, v83, v65
	v_lshrrev_b32_e32 v83, 16, v93
	v_pk_fma_f16 v84, v82, v86, v90
	v_mul_u32_u24_e32 v79, 0x10001, v79
	v_pk_fma_f16 v86, v96, v81, v89
	v_and_b32_e32 v89, 0xffff, v127
	v_pk_fma_f16 v57, v102, v80, v57
	v_pk_fma_f16 v75, v103, v80, v75
	;; [unrolled: 1-line block ×8, first 2 shown]
	v_lshrrev_b32_e32 v80, 16, v128
	v_mul_u32_u24_e32 v83, 0x10001, v83
	v_pk_fma_f16 v62, v82, v88, v62
	v_pk_fma_f16 v66, v94, v79, v66
	;; [unrolled: 1-line block ×15, first 2 shown]
	v_and_b32_e32 v79, 0xffff, v126
	v_lshrrev_b32_e32 v90, 16, v127
	v_pk_fma_f16 v81, v101, v81, v84
	v_mul_u32_u24_e32 v84, 0x10001, v89
	v_mul_u32_u24_e32 v80, 0x10001, v80
	v_pk_fma_f16 v51, v94, v83, v51
	v_pk_fma_f16 v52, v95, v83, v52
	;; [unrolled: 1-line block ×7, first 2 shown]
	v_mul_u32_u24_e32 v79, 0x10001, v79
	v_mul_u32_u24_e32 v89, 0x10001, v90
	v_pk_fma_f16 v62, v101, v83, v62
	v_pk_fma_f16 v83, v104, v84, v86
	;; [unrolled: 1-line block ×4, first 2 shown]
	v_and_b32_e32 v88, 0xffff, v129
	v_lshrrev_b32_e32 v90, 16, v129
	v_pk_fma_f16 v57, v110, v80, v57
	v_pk_fma_f16 v75, v111, v80, v75
	;; [unrolled: 1-line block ×8, first 2 shown]
	v_lshrrev_b32_e32 v80, 16, v130
	v_pk_fma_f16 v66, v102, v79, v66
	v_pk_fma_f16 v74, v102, v84, v74
	;; [unrolled: 1-line block ×19, first 2 shown]
	v_and_b32_e32 v79, 0xffff, v128
	v_pk_fma_f16 v81, v109, v84, v81
	v_mul_u32_u24_e32 v84, 0x10001, v88
	v_mul_u32_u24_e32 v88, 0x10001, v90
	v_pk_fma_f16 v62, v109, v89, v62
	v_and_b32_e32 v89, 0xffff, v131
	v_lshrrev_b32_e32 v90, 16, v131
	v_mul_u32_u24_e32 v80, 0x10001, v80
	v_mul_u32_u24_e32 v79, 0x10001, v79
	v_pk_fma_f16 v74, v110, v84, v74
	v_pk_fma_f16 v51, v110, v88, v51
	;; [unrolled: 1-line block ×12, first 2 shown]
	v_mul_u32_u24_e32 v84, 0x10001, v89
	v_mul_u32_u24_e32 v89, 0x10001, v90
	v_pk_fma_f16 v57, v118, v80, v57
	v_pk_fma_f16 v75, v119, v80, v75
	;; [unrolled: 1-line block ×8, first 2 shown]
	v_lshrrev_b32_e32 v80, 16, v133
	v_pk_fma_f16 v66, v110, v79, v66
	v_pk_fma_f16 v67, v111, v79, v67
	;; [unrolled: 1-line block ×11, first 2 shown]
	v_and_b32_e32 v79, 0xffff, v130
	v_pk_fma_f16 v62, v117, v88, v62
	v_pk_fma_f16 v51, v118, v89, v51
	;; [unrolled: 1-line block ×5, first 2 shown]
	v_and_b32_e32 v54, 0xffff, v132
	v_mul_u32_u24_e32 v80, 0x10001, v80
	v_mul_u32_u24_e32 v79, 0x10001, v79
	v_pk_fma_f16 v74, v118, v84, v74
	v_pk_fma_f16 v82, v119, v84, v82
	;; [unrolled: 1-line block ×8, first 2 shown]
	v_lshrrev_b32_e32 v61, 16, v132
	v_pk_fma_f16 v81, v125, v84, v81
	v_mul_u32_u24_e32 v84, 0x10001, v54
	v_pk_fma_f16 v94, v134, v80, v51
	v_pk_fma_f16 v97, v135, v80, v52
	;; [unrolled: 1-line block ×3, first 2 shown]
	s_wait_loadcnt 0x3
	ds_store_b128 v42, v[142:145]
	s_wait_loadcnt 0x2
	ds_store_b128 v43, v[146:149]
	;; [unrolled: 2-line block ×4, first 2 shown]
	s_wait_dscnt 0x0
	s_barrier_signal -1
	s_barrier_wait -1
	global_inv scope:SCOPE_SE
	ds_load_b128 v[51:54], v41 offset:768
	v_pk_fma_f16 v67, v119, v79, v67
	v_pk_fma_f16 v68, v120, v79, v68
	;; [unrolled: 1-line block ×5, first 2 shown]
	v_mul_u32_u24_e32 v91, 0x10001, v61
	v_pk_fma_f16 v66, v118, v79, v66
	v_pk_fma_f16 v55, v122, v89, v55
	;; [unrolled: 1-line block ×5, first 2 shown]
	v_and_b32_e32 v79, 0xffff, v133
	v_pk_fma_f16 v89, v125, v89, v62
	v_pk_fma_f16 v95, v135, v84, v67
	;; [unrolled: 1-line block ×7, first 2 shown]
	ds_load_2addr_b64 v[59:62], v58 offset1:32
	ds_load_2addr_b64 v[67:70], v58 offset0:64 offset1:96
	v_mul_u32_u24_e32 v79, 0x10001, v79
	v_pk_fma_f16 v92, v134, v84, v66
	v_pk_fma_f16 v56, v139, v84, v56
	;; [unrolled: 1-line block ×7, first 2 shown]
	ds_load_b128 v[63:66], v41 offset:784
	s_wait_dscnt 0x3
	v_and_b32_e32 v71, 0xffff, v51
	v_lshrrev_b32_e32 v51, 16, v51
	v_and_b32_e32 v72, 0xffff, v52
	v_lshrrev_b32_e32 v52, 16, v52
	v_pk_fma_f16 v57, v134, v91, v57
	v_pk_fma_f16 v93, v134, v79, v74
	;; [unrolled: 1-line block ×16, first 2 shown]
	v_mul_u32_u24_e32 v81, 0x10001, v71
	v_mul_u32_u24_e32 v51, 0x10001, v51
	;; [unrolled: 1-line block ×4, first 2 shown]
	ds_load_b128 v[71:74], v41 offset:800
	ds_load_b128 v[75:78], v41 offset:816
	s_wait_dscnt 0x4
	v_pk_fma_f16 v92, v59, v81, v92
	v_pk_fma_f16 v57, v59, v51, v57
	;; [unrolled: 1-line block ×16, first 2 shown]
	s_wait_dscnt 0x3
	v_pk_fma_f16 v103, v67, v81, v103
	v_pk_fma_f16 v104, v67, v51, v104
	;; [unrolled: 1-line block ×6, first 2 shown]
	ds_load_2addr_b64 v[59:62], v58 offset0:128 offset1:160
	v_pk_fma_f16 v105, v68, v89, v106
	v_pk_fma_f16 v68, v68, v111, v107
	;; [unrolled: 1-line block ×9, first 2 shown]
	v_and_b32_e32 v89, 0xffff, v53
	v_lshrrev_b32_e32 v90, 16, v53
	v_and_b32_e32 v91, 0xffff, v54
	v_lshrrev_b32_e32 v109, 16, v54
	ds_load_2addr_b64 v[51:54], v58 offset0:192 offset1:224
	v_mul_u32_u24_e32 v89, 0x10001, v89
	v_mul_u32_u24_e32 v90, 0x10001, v90
	;; [unrolled: 1-line block ×4, first 2 shown]
	v_pk_fma_f16 v80, v70, v111, v80
	s_wait_dscnt 0x1
	v_pk_fma_f16 v92, v59, v89, v92
	v_pk_fma_f16 v57, v59, v90, v57
	v_pk_fma_f16 v93, v59, v91, v93
	v_pk_fma_f16 v94, v59, v109, v94
	v_pk_fma_f16 v95, v60, v89, v95
	v_pk_fma_f16 v96, v60, v90, v96
	v_pk_fma_f16 v82, v60, v91, v82
	v_pk_fma_f16 v97, v60, v109, v97
	v_pk_fma_f16 v98, v61, v89, v98
	v_pk_fma_f16 v99, v61, v90, v99
	v_pk_fma_f16 v83, v61, v91, v83
	v_pk_fma_f16 v100, v61, v109, v100
	v_pk_fma_f16 v101, v62, v89, v101
	v_pk_fma_f16 v102, v62, v90, v102
	v_pk_fma_f16 v86, v62, v91, v86
	v_pk_fma_f16 v88, v62, v109, v88
	s_wait_dscnt 0x0
	v_pk_fma_f16 v103, v51, v89, v103
	v_pk_fma_f16 v104, v51, v90, v104
	;; [unrolled: 1-line block ×6, first 2 shown]
	ds_load_2addr_b64 v[59:62], v48 offset1:32
	v_pk_fma_f16 v110, v52, v109, v68
	v_pk_fma_f16 v111, v53, v109, v69
	ds_load_2addr_b64 v[67:70], v48 offset0:64 offset1:96
	v_pk_fma_f16 v105, v52, v91, v105
	v_pk_fma_f16 v106, v53, v89, v106
	;; [unrolled: 1-line block ×4, first 2 shown]
	v_and_b32_e32 v52, 0xffff, v63
	v_lshrrev_b32_e32 v53, 16, v63
	v_and_b32_e32 v63, 0xffff, v64
	v_lshrrev_b32_e32 v64, 16, v64
	v_pk_fma_f16 v81, v54, v89, v81
	v_pk_fma_f16 v84, v54, v90, v84
	v_mul_u32_u24_e32 v89, 0x10001, v52
	v_mul_u32_u24_e32 v90, 0x10001, v53
	;; [unrolled: 1-line block ×4, first 2 shown]
	v_pk_fma_f16 v79, v54, v91, v79
	v_pk_fma_f16 v80, v54, v109, v80
	s_wait_dscnt 0x1
	v_pk_fma_f16 v91, v59, v89, v92
	v_pk_fma_f16 v92, v59, v63, v93
	v_pk_fma_f16 v93, v59, v64, v94
	v_pk_fma_f16 v94, v60, v89, v95
	v_pk_fma_f16 v95, v60, v90, v96
	v_pk_fma_f16 v96, v60, v64, v97
	v_pk_fma_f16 v97, v61, v89, v98
	v_pk_fma_f16 v98, v61, v90, v99
	v_pk_fma_f16 v99, v61, v64, v100
	v_pk_fma_f16 v100, v62, v89, v101
	v_pk_fma_f16 v101, v62, v90, v102
	s_wait_dscnt 0x0
	v_pk_fma_f16 v102, v67, v89, v103
	v_pk_fma_f16 v103, v67, v90, v104
	;; [unrolled: 1-line block ×4, first 2 shown]
	ds_load_2addr_b64 v[51:54], v48 offset0:128 offset1:160
	v_pk_fma_f16 v57, v59, v90, v57
	v_pk_fma_f16 v82, v60, v63, v82
	;; [unrolled: 1-line block ×12, first 2 shown]
	v_and_b32_e32 v79, 0xffff, v65
	v_lshrrev_b32_e32 v65, 16, v65
	v_and_b32_e32 v89, 0xffff, v66
	v_lshrrev_b32_e32 v66, 16, v66
	ds_load_2addr_b64 v[59:62], v48 offset0:192 offset1:224
	v_pk_fma_f16 v56, v68, v90, v56
	v_pk_fma_f16 v84, v70, v90, v84
	v_mul_u32_u24_e32 v79, 0x10001, v79
	v_mul_u32_u24_e32 v65, 0x10001, v65
	;; [unrolled: 1-line block ×4, first 2 shown]
	v_pk_fma_f16 v70, v70, v64, v80
	s_wait_dscnt 0x1
	v_pk_fma_f16 v80, v51, v79, v91
	v_pk_fma_f16 v57, v51, v65, v57
	v_pk_fma_f16 v91, v51, v89, v92
	v_pk_fma_f16 v92, v51, v90, v93
	v_pk_fma_f16 v93, v52, v79, v94
	v_pk_fma_f16 v94, v52, v65, v95
	v_pk_fma_f16 v82, v52, v89, v82
	v_pk_fma_f16 v95, v52, v90, v96
	v_pk_fma_f16 v96, v53, v79, v97
	v_pk_fma_f16 v97, v53, v65, v98
	v_pk_fma_f16 v83, v53, v89, v83
	v_pk_fma_f16 v98, v53, v90, v99
	v_pk_fma_f16 v99, v54, v79, v100
	v_pk_fma_f16 v100, v54, v65, v101
	v_pk_fma_f16 v86, v54, v89, v86
	v_pk_fma_f16 v88, v54, v90, v88
	ds_load_2addr_b64 v[51:54], v49 offset1:32
	v_pk_fma_f16 v68, v68, v64, v110
	v_pk_fma_f16 v69, v69, v64, v111
	s_wait_dscnt 0x1
	v_pk_fma_f16 v101, v59, v79, v102
	v_pk_fma_f16 v102, v59, v65, v103
	;; [unrolled: 1-line block ×15, first 2 shown]
	v_and_b32_e32 v84, 0xffff, v71
	v_lshrrev_b32_e32 v71, 16, v71
	v_and_b32_e32 v89, 0xffff, v72
	v_lshrrev_b32_e32 v72, 16, v72
	ds_load_2addr_b64 v[63:66], v49 offset0:64 offset1:96
	v_mul_u32_u24_e32 v84, 0x10001, v84
	v_mul_u32_u24_e32 v71, 0x10001, v71
	;; [unrolled: 1-line block ×4, first 2 shown]
	v_pk_fma_f16 v70, v62, v90, v70
	s_wait_dscnt 0x1
	v_pk_fma_f16 v80, v51, v84, v80
	v_pk_fma_f16 v57, v51, v71, v57
	;; [unrolled: 1-line block ×16, first 2 shown]
	ds_load_2addr_b64 v[51:54], v49 offset0:128 offset1:160
	s_wait_dscnt 0x1
	v_pk_fma_f16 v100, v63, v84, v101
	v_pk_fma_f16 v101, v63, v71, v102
	;; [unrolled: 1-line block ×15, first 2 shown]
	v_and_b32_e32 v81, 0xffff, v73
	v_lshrrev_b32_e32 v73, 16, v73
	v_and_b32_e32 v84, 0xffff, v74
	v_lshrrev_b32_e32 v74, 16, v74
	ds_load_2addr_b64 v[59:62], v49 offset0:192 offset1:224
	v_mul_u32_u24_e32 v81, 0x10001, v81
	v_mul_u32_u24_e32 v73, 0x10001, v73
	;; [unrolled: 1-line block ×4, first 2 shown]
	v_pk_fma_f16 v70, v66, v72, v70
	s_wait_dscnt 0x1
	v_pk_fma_f16 v72, v51, v81, v80
	v_pk_fma_f16 v57, v51, v73, v57
	;; [unrolled: 1-line block ×16, first 2 shown]
	ds_load_2addr_b64 v[51:54], v50 offset1:32
	s_wait_dscnt 0x1
	v_pk_fma_f16 v98, v59, v81, v100
	v_pk_fma_f16 v99, v59, v73, v101
	;; [unrolled: 1-line block ×15, first 2 shown]
	v_and_b32_e32 v79, 0xffff, v75
	v_lshrrev_b32_e32 v75, 16, v75
	v_and_b32_e32 v81, 0xffff, v76
	v_lshrrev_b32_e32 v76, 16, v76
	ds_load_2addr_b64 v[63:66], v50 offset0:64 offset1:96
	v_mul_u32_u24_e32 v79, 0x10001, v79
	v_mul_u32_u24_e32 v75, 0x10001, v75
	;; [unrolled: 1-line block ×4, first 2 shown]
	v_pk_fma_f16 v70, v62, v74, v70
	s_wait_dscnt 0x1
	v_pk_fma_f16 v72, v51, v79, v72
	v_pk_fma_f16 v57, v51, v75, v57
	;; [unrolled: 1-line block ×16, first 2 shown]
	ds_load_2addr_b64 v[51:54], v50 offset0:128 offset1:160
	s_or_b32 s26, s4, 0x70
	s_wait_dscnt 0x1
	v_pk_fma_f16 v96, v63, v79, v98
	v_pk_fma_f16 v97, v63, v75, v99
	;; [unrolled: 1-line block ×6, first 2 shown]
	v_and_b32_e32 v63, 0xffff, v78
	ds_load_2addr_b64 v[59:62], v50 offset0:192 offset1:224
	s_wait_alu 0xfffe
	s_ashr_i32 s27, s26, 31
	v_pk_fma_f16 v159, v64, v79, v55
	v_and_b32_e32 v55, 0xffff, v77
	s_wait_alu 0xfffe
	s_mul_u64 s[26:27], s[26:27], s[14:15]
	v_pk_fma_f16 v160, v64, v75, v56
	s_wait_alu 0xfffe
	s_lshl_b64 s[26:27], s[26:27], 2
	v_lshrrev_b32_e32 v56, 16, v77
	v_mul_u32_u24_e32 v172, 0x10001, v63
	s_wait_alu 0xfffe
	s_add_nc_u64 s[26:27], s[8:9], s[26:27]
	v_mul_u32_u24_e32 v170, 0x10001, v55
	s_wait_alu 0xfffe
	v_add_co_u32 v55, vcc_lo, s26, v27
	v_pk_fma_f16 v161, v64, v81, v67
	v_lshrrev_b32_e32 v64, 16, v78
	v_mul_u32_u24_e32 v171, 0x10001, v56
	s_wait_dscnt 0x1
	v_pk_fma_f16 v184, v53, v172, v83
	s_wait_alu 0xfffd
	v_add_co_ci_u32_e64 v56, null, s27, v28, vcc_lo
	v_add_co_u32 v83, vcc_lo, s26, v29
	v_pk_fma_f16 v178, v52, v170, v84
	s_wait_alu 0xfffd
	v_add_co_ci_u32_e64 v84, null, s27, v30, vcc_lo
	v_add_co_u32 v55, vcc_lo, v55, v85
	v_mul_u32_u24_e32 v173, 0x10001, v64
	s_wait_alu 0xfffd
	v_add_co_ci_u32_e64 v56, null, 0, v56, vcc_lo
	v_add_co_u32 v83, vcc_lo, v83, v85
	s_wait_alu 0xfffd
	v_add_co_ci_u32_e64 v84, null, 0, v84, vcc_lo
	v_pk_fma_f16 v163, v65, v79, v68
	v_pk_fma_f16 v164, v65, v75, v100
	;; [unrolled: 1-line block ×21, first 2 shown]
	s_wait_dscnt 0x0
	v_pk_fma_f16 v190, v59, v170, v96
	v_pk_fma_f16 v191, v59, v171, v97
	;; [unrolled: 1-line block ×3, first 2 shown]
	ds_load_2addr_b64 v[51:54], v47 offset1:32
	ds_load_2addr_b64 v[63:66], v47 offset0:64 offset1:96
	ds_load_2addr_b64 v[67:70], v47 offset0:128 offset1:160
	;; [unrolled: 1-line block ×3, first 2 shown]
	ds_load_2addr_b64 v[75:78], v15 offset1:32
	ds_load_2addr_b64 v[79:82], v15 offset0:64 offset1:96
	ds_load_b128 v[86:89], v41 offset:832
	ds_load_b128 v[90:93], v41 offset:848
	ds_load_2addr_b64 v[94:97], v15 offset0:128 offset1:160
	ds_load_2addr_b64 v[98:101], v15 offset0:192 offset1:224
	ds_load_2addr_b64 v[102:105], v14 offset1:32
	ds_load_2addr_b64 v[106:109], v14 offset0:64 offset1:96
	ds_load_2addr_b64 v[110:113], v14 offset0:128 offset1:160
	ds_load_2addr_b64 v[114:117], v14 offset0:192 offset1:224
	ds_load_2addr_b64 v[118:121], v13 offset1:32
	ds_load_2addr_b64 v[122:125], v13 offset0:64 offset1:96
	ds_load_b128 v[126:129], v41 offset:864
	ds_load_b128 v[130:133], v41 offset:880
	ds_load_2addr_b64 v[134:137], v13 offset0:128 offset1:160
	ds_load_2addr_b64 v[138:141], v13 offset0:192 offset1:224
	s_wait_loadcnt_dscnt 0x0
	s_barrier_signal -1
	s_barrier_wait -1
	global_inv scope:SCOPE_SE
	s_clause 0x3
	global_load_b128 v[142:145], v[55:56], off
	global_load_b128 v[146:149], v[55:56], off offset:512
	global_load_b128 v[150:153], v[83:84], off
	global_load_b128 v[154:157], v[83:84], off offset:512
	v_pk_fma_f16 v55, v59, v173, v158
	v_pk_fma_f16 v56, v60, v170, v159
	;; [unrolled: 1-line block ×5, first 2 shown]
	v_and_b32_e32 v161, 0xffff, v86
	v_lshrrev_b32_e32 v86, 16, v86
	v_and_b32_e32 v162, 0xffff, v87
	v_lshrrev_b32_e32 v87, 16, v87
	v_pk_fma_f16 v84, v61, v170, v163
	v_pk_fma_f16 v85, v61, v171, v164
	;; [unrolled: 1-line block ×4, first 2 shown]
	v_mul_u32_u24_e32 v161, 0x10001, v161
	v_mul_u32_u24_e32 v86, 0x10001, v86
	;; [unrolled: 1-line block ×4, first 2 shown]
	v_pk_fma_f16 v61, v61, v173, v166
	v_pk_fma_f16 v159, v62, v170, v167
	;; [unrolled: 1-line block ×23, first 2 shown]
	v_and_b32_e32 v86, 0xffff, v88
	v_lshrrev_b32_e32 v88, 16, v88
	v_and_b32_e32 v158, 0xffff, v89
	v_lshrrev_b32_e32 v89, 16, v89
	v_pk_fma_f16 v166, v52, v161, v178
	v_pk_fma_f16 v168, v52, v162, v180
	;; [unrolled: 1-line block ×11, first 2 shown]
	v_mul_u32_u24_e32 v86, 0x10001, v86
	v_mul_u32_u24_e32 v88, 0x10001, v88
	;; [unrolled: 1-line block ×4, first 2 shown]
	v_pk_fma_f16 v159, v66, v162, v163
	v_pk_fma_f16 v62, v66, v87, v62
	;; [unrolled: 1-line block ×32, first 2 shown]
	v_and_b32_e32 v83, 0xffff, v90
	v_lshrrev_b32_e32 v84, 16, v90
	v_and_b32_e32 v85, 0xffff, v91
	v_lshrrev_b32_e32 v86, 16, v91
	v_pk_fma_f16 v88, v74, v158, v159
	v_mul_u32_u24_e32 v83, 0x10001, v83
	v_mul_u32_u24_e32 v84, 0x10001, v84
	;; [unrolled: 1-line block ×4, first 2 shown]
	v_pk_fma_f16 v62, v74, v89, v62
	v_pk_fma_f16 v56, v80, v83, v56
	;; [unrolled: 1-line block ×5, first 2 shown]
	v_lshrrev_b32_e32 v80, 16, v92
	v_pk_fma_f16 v66, v75, v83, v66
	v_pk_fma_f16 v57, v75, v84, v57
	;; [unrolled: 1-line block ×19, first 2 shown]
	v_mul_u32_u24_e32 v80, 0x10001, v80
	v_pk_fma_f16 v70, v79, v83, v70
	v_pk_fma_f16 v91, v79, v85, v167
	;; [unrolled: 1-line block ×12, first 2 shown]
	v_lshrrev_b32_e32 v80, 16, v126
	v_pk_fma_f16 v72, v81, v85, v72
	v_pk_fma_f16 v61, v81, v86, v61
	v_and_b32_e32 v79, 0xffff, v92
	v_and_b32_e32 v81, 0xffff, v93
	v_mul_u32_u24_e32 v80, 0x10001, v80
	v_pk_fma_f16 v65, v82, v83, v65
	v_lshrrev_b32_e32 v83, 16, v93
	v_pk_fma_f16 v84, v82, v85, v88
	v_mul_u32_u24_e32 v79, 0x10001, v79
	v_mul_u32_u24_e32 v81, 0x10001, v81
	v_and_b32_e32 v88, 0xffff, v127
	v_pk_fma_f16 v57, v102, v80, v57
	v_pk_fma_f16 v75, v103, v80, v75
	;; [unrolled: 1-line block ×8, first 2 shown]
	v_lshrrev_b32_e32 v80, 16, v128
	v_mul_u32_u24_e32 v83, 0x10001, v83
	v_pk_fma_f16 v62, v82, v86, v62
	v_pk_fma_f16 v66, v94, v79, v66
	v_pk_fma_f16 v74, v94, v81, v74
	v_pk_fma_f16 v67, v95, v79, v67
	v_pk_fma_f16 v82, v95, v81, v87
	v_pk_fma_f16 v68, v96, v79, v68
	v_pk_fma_f16 v85, v96, v81, v89
	v_pk_fma_f16 v69, v97, v79, v69
	v_pk_fma_f16 v86, v97, v81, v90
	v_pk_fma_f16 v70, v98, v79, v70
	v_pk_fma_f16 v87, v98, v81, v91
	v_pk_fma_f16 v56, v99, v79, v56
	v_pk_fma_f16 v63, v99, v81, v63
	v_pk_fma_f16 v64, v100, v79, v64
	v_pk_fma_f16 v72, v100, v81, v72
	v_pk_fma_f16 v65, v101, v79, v65
	v_and_b32_e32 v79, 0xffff, v126
	v_lshrrev_b32_e32 v89, 16, v127
	v_pk_fma_f16 v81, v101, v81, v84
	v_mul_u32_u24_e32 v84, 0x10001, v88
	v_mul_u32_u24_e32 v80, 0x10001, v80
	v_pk_fma_f16 v51, v94, v83, v51
	v_pk_fma_f16 v52, v95, v83, v52
	;; [unrolled: 1-line block ×7, first 2 shown]
	v_mul_u32_u24_e32 v79, 0x10001, v79
	v_mul_u32_u24_e32 v88, 0x10001, v89
	v_pk_fma_f16 v62, v101, v83, v62
	v_pk_fma_f16 v83, v104, v84, v85
	;; [unrolled: 1-line block ×4, first 2 shown]
	v_and_b32_e32 v87, 0xffff, v129
	v_lshrrev_b32_e32 v89, 16, v129
	v_pk_fma_f16 v57, v110, v80, v57
	v_pk_fma_f16 v75, v111, v80, v75
	v_pk_fma_f16 v76, v112, v80, v76
	v_pk_fma_f16 v77, v113, v80, v77
	v_pk_fma_f16 v78, v114, v80, v78
	v_pk_fma_f16 v59, v115, v80, v59
	v_pk_fma_f16 v71, v116, v80, v71
	v_pk_fma_f16 v73, v117, v80, v73
	v_lshrrev_b32_e32 v80, 16, v130
	v_pk_fma_f16 v66, v102, v79, v66
	v_pk_fma_f16 v74, v102, v84, v74
	;; [unrolled: 1-line block ×19, first 2 shown]
	v_and_b32_e32 v79, 0xffff, v128
	v_pk_fma_f16 v81, v109, v84, v81
	v_mul_u32_u24_e32 v84, 0x10001, v87
	v_mul_u32_u24_e32 v87, 0x10001, v89
	v_pk_fma_f16 v62, v109, v88, v62
	v_and_b32_e32 v88, 0xffff, v131
	v_lshrrev_b32_e32 v89, 16, v131
	v_mul_u32_u24_e32 v80, 0x10001, v80
	v_mul_u32_u24_e32 v79, 0x10001, v79
	v_pk_fma_f16 v74, v110, v84, v74
	v_pk_fma_f16 v51, v110, v87, v51
	;; [unrolled: 1-line block ×12, first 2 shown]
	v_mul_u32_u24_e32 v84, 0x10001, v88
	v_mul_u32_u24_e32 v88, 0x10001, v89
	v_pk_fma_f16 v57, v118, v80, v57
	v_pk_fma_f16 v75, v119, v80, v75
	;; [unrolled: 1-line block ×8, first 2 shown]
	v_lshrrev_b32_e32 v80, 16, v133
	v_pk_fma_f16 v66, v110, v79, v66
	v_pk_fma_f16 v67, v111, v79, v67
	;; [unrolled: 1-line block ×11, first 2 shown]
	v_and_b32_e32 v79, 0xffff, v130
	v_pk_fma_f16 v62, v117, v87, v62
	v_pk_fma_f16 v51, v118, v88, v51
	;; [unrolled: 1-line block ×5, first 2 shown]
	v_and_b32_e32 v54, 0xffff, v132
	v_mul_u32_u24_e32 v80, 0x10001, v80
	v_mul_u32_u24_e32 v79, 0x10001, v79
	v_pk_fma_f16 v74, v118, v84, v74
	v_pk_fma_f16 v82, v119, v84, v82
	;; [unrolled: 1-line block ×8, first 2 shown]
	v_lshrrev_b32_e32 v61, 16, v132
	v_pk_fma_f16 v81, v125, v84, v81
	v_mul_u32_u24_e32 v84, 0x10001, v54
	v_pk_fma_f16 v93, v134, v80, v51
	v_pk_fma_f16 v96, v135, v80, v52
	;; [unrolled: 1-line block ×3, first 2 shown]
	s_wait_loadcnt 0x3
	ds_store_b128 v42, v[142:145]
	s_wait_loadcnt 0x2
	ds_store_b128 v43, v[146:149]
	;; [unrolled: 2-line block ×4, first 2 shown]
	s_wait_dscnt 0x0
	s_barrier_signal -1
	s_barrier_wait -1
	global_inv scope:SCOPE_SE
	ds_load_b128 v[51:54], v41 offset:896
	v_pk_fma_f16 v67, v119, v79, v67
	v_pk_fma_f16 v68, v120, v79, v68
	;; [unrolled: 1-line block ×5, first 2 shown]
	v_mul_u32_u24_e32 v90, 0x10001, v61
	v_pk_fma_f16 v66, v118, v79, v66
	v_pk_fma_f16 v55, v122, v88, v55
	;; [unrolled: 1-line block ×5, first 2 shown]
	v_and_b32_e32 v79, 0xffff, v133
	v_pk_fma_f16 v88, v125, v88, v62
	v_pk_fma_f16 v94, v135, v84, v67
	v_pk_fma_f16 v97, v136, v84, v68
	v_pk_fma_f16 v100, v137, v84, v69
	v_pk_fma_f16 v102, v138, v84, v70
	v_pk_fma_f16 v104, v139, v90, v59
	v_pk_fma_f16 v106, v139, v80, v60
	ds_load_2addr_b64 v[59:62], v58 offset1:32
	ds_load_2addr_b64 v[67:70], v58 offset0:64 offset1:96
	v_mul_u32_u24_e32 v79, 0x10001, v79
	v_pk_fma_f16 v91, v134, v84, v66
	v_pk_fma_f16 v56, v139, v84, v56
	;; [unrolled: 1-line block ×7, first 2 shown]
	ds_load_b128 v[63:66], v41 offset:912
	s_wait_dscnt 0x3
	v_and_b32_e32 v71, 0xffff, v51
	v_lshrrev_b32_e32 v51, 16, v51
	v_and_b32_e32 v72, 0xffff, v52
	v_lshrrev_b32_e32 v52, 16, v52
	v_pk_fma_f16 v57, v134, v90, v57
	v_pk_fma_f16 v92, v134, v79, v74
	;; [unrolled: 1-line block ×16, first 2 shown]
	v_mul_u32_u24_e32 v81, 0x10001, v71
	v_mul_u32_u24_e32 v51, 0x10001, v51
	;; [unrolled: 1-line block ×4, first 2 shown]
	ds_load_b128 v[71:74], v41 offset:928
	ds_load_b128 v[75:78], v41 offset:944
	s_wait_dscnt 0x4
	v_pk_fma_f16 v91, v59, v81, v91
	v_pk_fma_f16 v57, v59, v51, v57
	;; [unrolled: 1-line block ×16, first 2 shown]
	s_wait_dscnt 0x3
	v_pk_fma_f16 v102, v67, v81, v102
	v_pk_fma_f16 v103, v67, v51, v103
	;; [unrolled: 1-line block ×6, first 2 shown]
	ds_load_2addr_b64 v[59:62], v58 offset0:128 offset1:160
	v_pk_fma_f16 v104, v68, v88, v105
	v_pk_fma_f16 v68, v68, v110, v106
	;; [unrolled: 1-line block ×9, first 2 shown]
	v_and_b32_e32 v88, 0xffff, v53
	v_lshrrev_b32_e32 v89, 16, v53
	v_and_b32_e32 v90, 0xffff, v54
	v_lshrrev_b32_e32 v108, 16, v54
	ds_load_2addr_b64 v[51:54], v58 offset0:192 offset1:224
	v_mul_u32_u24_e32 v88, 0x10001, v88
	v_mul_u32_u24_e32 v89, 0x10001, v89
	;; [unrolled: 1-line block ×4, first 2 shown]
	v_pk_fma_f16 v70, v70, v110, v80
	s_wait_dscnt 0x1
	v_pk_fma_f16 v80, v59, v88, v91
	v_pk_fma_f16 v91, v59, v89, v57
	v_pk_fma_f16 v92, v59, v90, v92
	v_pk_fma_f16 v93, v59, v108, v93
	v_pk_fma_f16 v94, v60, v88, v94
	v_pk_fma_f16 v95, v60, v89, v95
	v_pk_fma_f16 v82, v60, v90, v82
	v_pk_fma_f16 v96, v60, v108, v96
	v_pk_fma_f16 v97, v61, v88, v97
	v_pk_fma_f16 v98, v61, v89, v98
	v_pk_fma_f16 v83, v61, v90, v83
	v_pk_fma_f16 v99, v61, v108, v99
	v_pk_fma_f16 v100, v62, v88, v100
	v_pk_fma_f16 v101, v62, v89, v101
	v_pk_fma_f16 v85, v62, v90, v85
	v_pk_fma_f16 v87, v62, v108, v87
	s_wait_dscnt 0x0
	v_pk_fma_f16 v102, v51, v88, v102
	v_pk_fma_f16 v103, v51, v89, v103
	;; [unrolled: 1-line block ×5, first 2 shown]
	ds_load_2addr_b64 v[55:58], v48 offset1:32
	ds_load_2addr_b64 v[59:62], v48 offset0:64 offset1:96
	v_pk_fma_f16 v67, v52, v89, v67
	v_pk_fma_f16 v104, v52, v90, v104
	;; [unrolled: 1-line block ×7, first 2 shown]
	v_and_b32_e32 v52, 0xffff, v63
	v_lshrrev_b32_e32 v53, 16, v63
	v_and_b32_e32 v63, 0xffff, v64
	v_lshrrev_b32_e32 v64, 16, v64
	v_pk_fma_f16 v81, v54, v88, v81
	v_pk_fma_f16 v84, v54, v89, v84
	v_mul_u32_u24_e32 v88, 0x10001, v52
	v_mul_u32_u24_e32 v89, 0x10001, v53
	;; [unrolled: 1-line block ×4, first 2 shown]
	v_pk_fma_f16 v79, v54, v90, v79
	v_pk_fma_f16 v70, v54, v108, v70
	s_wait_dscnt 0x1
	v_pk_fma_f16 v90, v55, v89, v91
	v_pk_fma_f16 v91, v55, v63, v92
	;; [unrolled: 1-line block ×11, first 2 shown]
	s_wait_dscnt 0x0
	v_pk_fma_f16 v101, v59, v88, v102
	v_pk_fma_f16 v102, v59, v89, v103
	;; [unrolled: 1-line block ×4, first 2 shown]
	ds_load_2addr_b64 v[51:54], v48 offset0:128 offset1:160
	v_pk_fma_f16 v80, v55, v88, v80
	v_pk_fma_f16 v82, v56, v63, v82
	;; [unrolled: 1-line block ×16, first 2 shown]
	v_and_b32_e32 v79, 0xffff, v65
	v_lshrrev_b32_e32 v65, 16, v65
	v_and_b32_e32 v84, 0xffff, v66
	v_lshrrev_b32_e32 v66, 16, v66
	ds_load_2addr_b64 v[55:58], v48 offset0:192 offset1:224
	v_mul_u32_u24_e32 v48, 0x10001, v79
	v_mul_u32_u24_e32 v65, 0x10001, v65
	;; [unrolled: 1-line block ×4, first 2 shown]
	v_pk_fma_f16 v64, v62, v64, v70
	s_wait_dscnt 0x1
	v_pk_fma_f16 v70, v51, v48, v80
	v_pk_fma_f16 v80, v51, v65, v90
	;; [unrolled: 1-line block ×16, first 2 shown]
	ds_load_2addr_b64 v[51:54], v49 offset1:32
	s_wait_dscnt 0x1
	v_pk_fma_f16 v97, v55, v48, v101
	v_pk_fma_f16 v98, v55, v65, v102
	;; [unrolled: 1-line block ×14, first 2 shown]
	v_and_b32_e32 v69, 0xffff, v71
	v_lshrrev_b32_e32 v71, 16, v71
	v_and_b32_e32 v79, 0xffff, v72
	v_lshrrev_b32_e32 v72, 16, v72
	ds_load_2addr_b64 v[59:62], v49 offset0:64 offset1:96
	v_mul_u32_u24_e32 v69, 0x10001, v69
	v_mul_u32_u24_e32 v71, 0x10001, v71
	;; [unrolled: 1-line block ×4, first 2 shown]
	v_pk_fma_f16 v65, v58, v65, v81
	v_pk_fma_f16 v64, v58, v66, v64
	s_wait_dscnt 0x1
	v_pk_fma_f16 v66, v51, v69, v70
	v_pk_fma_f16 v70, v51, v71, v80
	;; [unrolled: 1-line block ×16, first 2 shown]
	ds_load_2addr_b64 v[51:54], v49 offset0:128 offset1:160
	s_wait_dscnt 0x1
	v_pk_fma_f16 v95, v59, v69, v97
	v_pk_fma_f16 v96, v59, v71, v98
	;; [unrolled: 1-line block ×14, first 2 shown]
	v_and_b32_e32 v69, 0xffff, v73
	v_lshrrev_b32_e32 v71, 16, v73
	v_and_b32_e32 v73, 0xffff, v74
	v_lshrrev_b32_e32 v74, 16, v74
	ds_load_2addr_b64 v[55:58], v49 offset0:192 offset1:224
	v_mul_u32_u24_e32 v49, 0x10001, v69
	v_mul_u32_u24_e32 v69, 0x10001, v71
	;; [unrolled: 1-line block ×4, first 2 shown]
	v_pk_fma_f16 v63, v62, v79, v63
	v_pk_fma_f16 v64, v62, v72, v64
	s_wait_dscnt 0x1
	v_pk_fma_f16 v66, v51, v49, v66
	v_pk_fma_f16 v70, v51, v69, v70
	;; [unrolled: 1-line block ×16, first 2 shown]
	ds_load_2addr_b64 v[51:54], v50 offset1:32
	s_wait_dscnt 0x1
	v_pk_fma_f16 v92, v55, v49, v95
	v_pk_fma_f16 v93, v55, v69, v96
	;; [unrolled: 1-line block ×15, first 2 shown]
	v_and_b32_e32 v65, 0xffff, v75
	v_lshrrev_b32_e32 v69, 16, v75
	v_and_b32_e32 v71, 0xffff, v76
	v_lshrrev_b32_e32 v75, 16, v76
	ds_load_2addr_b64 v[59:62], v50 offset0:64 offset1:96
	v_mul_u32_u24_e32 v65, 0x10001, v65
	v_mul_u32_u24_e32 v69, 0x10001, v69
	;; [unrolled: 1-line block ×4, first 2 shown]
	v_pk_fma_f16 v64, v58, v73, v64
	s_wait_dscnt 0x1
	v_pk_fma_f16 v66, v51, v65, v66
	v_pk_fma_f16 v70, v51, v69, v70
	;; [unrolled: 1-line block ×16, first 2 shown]
	ds_load_2addr_b64 v[51:54], v50 offset0:128 offset1:160
	s_wait_dscnt 0x1
	v_pk_fma_f16 v90, v59, v65, v92
	v_pk_fma_f16 v91, v59, v69, v93
	;; [unrolled: 1-line block ×15, first 2 shown]
	v_and_b32_e32 v48, 0xffff, v77
	v_lshrrev_b32_e32 v49, 16, v77
	v_and_b32_e32 v71, 0xffff, v78
	v_lshrrev_b32_e32 v77, 16, v78
	ds_load_2addr_b64 v[55:58], v50 offset0:192 offset1:224
	v_mul_u32_u24_e32 v78, 0x10001, v48
	v_mul_u32_u24_e32 v96, 0x10001, v49
	;; [unrolled: 1-line block ×4, first 2 shown]
	v_pk_fma_f16 v75, v62, v75, v64
	s_wait_dscnt 0x1
	v_pk_fma_f16 v97, v51, v78, v66
	v_pk_fma_f16 v70, v51, v96, v70
	v_pk_fma_f16 v72, v51, v71, v72
	v_pk_fma_f16 v73, v51, v77, v73
	ds_load_b128 v[48:51], v41 offset:960
	v_pk_fma_f16 v74, v52, v78, v74
	v_pk_fma_f16 v76, v52, v96, v76
	;; [unrolled: 1-line block ×12, first 2 shown]
	s_wait_dscnt 0x1
	v_pk_fma_f16 v90, v55, v78, v90
	v_pk_fma_f16 v91, v55, v96, v91
	;; [unrolled: 1-line block ×6, first 2 shown]
	ds_load_2addr_b64 v[52:55], v47 offset1:32
	v_pk_fma_f16 v68, v57, v78, v68
	v_pk_fma_f16 v95, v57, v71, v95
	;; [unrolled: 1-line block ×4, first 2 shown]
	ds_load_2addr_b64 v[63:66], v47 offset0:64 offset1:96
	v_pk_fma_f16 v67, v56, v96, v67
	v_pk_fma_f16 v56, v56, v77, v60
	;; [unrolled: 1-line block ×5, first 2 shown]
	ds_load_b128 v[59:62], v41 offset:976
	s_wait_dscnt 0x3
	v_and_b32_e32 v96, 0xffff, v48
	v_lshrrev_b32_e32 v48, 16, v48
	v_and_b32_e32 v99, 0xffff, v49
	v_lshrrev_b32_e32 v49, 16, v49
	v_pk_fma_f16 v58, v58, v77, v75
	v_mul_u32_u24_e32 v96, 0x10001, v96
	v_mul_u32_u24_e32 v48, 0x10001, v48
	;; [unrolled: 1-line block ×4, first 2 shown]
	s_wait_dscnt 0x2
	v_pk_fma_f16 v75, v52, v96, v97
	v_pk_fma_f16 v70, v52, v48, v70
	;; [unrolled: 1-line block ×16, first 2 shown]
	s_wait_dscnt 0x1
	v_pk_fma_f16 v89, v63, v96, v90
	v_pk_fma_f16 v90, v63, v48, v91
	;; [unrolled: 1-line block ×4, first 2 shown]
	ds_load_2addr_b64 v[52:55], v47 offset0:128 offset1:160
	v_pk_fma_f16 v92, v64, v99, v93
	v_pk_fma_f16 v56, v64, v100, v56
	;; [unrolled: 1-line block ×8, first 2 shown]
	v_and_b32_e32 v78, 0xffff, v50
	v_lshrrev_b32_e32 v94, 16, v50
	ds_load_2addr_b64 v[47:50], v47 offset0:192 offset1:224
	v_and_b32_e32 v95, 0xffff, v51
	v_lshrrev_b32_e32 v51, 16, v51
	v_pk_fma_f16 v86, v63, v99, v86
	v_pk_fma_f16 v63, v63, v100, v98
	v_mul_u32_u24_e32 v78, 0x10001, v78
	v_mul_u32_u24_e32 v94, 0x10001, v94
	;; [unrolled: 1-line block ×4, first 2 shown]
	v_pk_fma_f16 v71, v66, v99, v71
	v_pk_fma_f16 v66, v66, v100, v58
	s_wait_dscnt 0x1
	v_pk_fma_f16 v75, v52, v78, v75
	v_pk_fma_f16 v70, v52, v94, v70
	;; [unrolled: 1-line block ×16, first 2 shown]
	s_wait_dscnt 0x0
	v_pk_fma_f16 v89, v47, v78, v89
	v_pk_fma_f16 v90, v47, v94, v90
	;; [unrolled: 1-line block ×5, first 2 shown]
	ds_load_2addr_b64 v[51:54], v15 offset1:32
	v_pk_fma_f16 v91, v48, v95, v92
	v_pk_fma_f16 v92, v48, v96, v56
	;; [unrolled: 1-line block ×3, first 2 shown]
	ds_load_2addr_b64 v[55:58], v15 offset0:64 offset1:96
	v_pk_fma_f16 v67, v48, v94, v67
	v_pk_fma_f16 v64, v49, v78, v64
	;; [unrolled: 1-line block ×4, first 2 shown]
	v_and_b32_e32 v48, 0xffff, v59
	v_lshrrev_b32_e32 v49, 16, v59
	v_and_b32_e32 v59, 0xffff, v60
	v_lshrrev_b32_e32 v60, 16, v60
	v_pk_fma_f16 v65, v50, v78, v65
	v_pk_fma_f16 v69, v50, v94, v69
	v_mul_u32_u24_e32 v78, 0x10001, v48
	v_mul_u32_u24_e32 v94, 0x10001, v49
	;; [unrolled: 1-line block ×4, first 2 shown]
	v_pk_fma_f16 v71, v50, v95, v71
	v_pk_fma_f16 v66, v50, v96, v66
	s_wait_dscnt 0x1
	v_pk_fma_f16 v75, v51, v78, v75
	v_pk_fma_f16 v70, v51, v94, v70
	;; [unrolled: 1-line block ×16, first 2 shown]
	s_wait_dscnt 0x0
	v_pk_fma_f16 v95, v55, v60, v47
	ds_load_2addr_b64 v[47:50], v15 offset0:128 offset1:160
	ds_load_2addr_b64 v[51:54], v15 offset0:192 offset1:224
	v_pk_fma_f16 v89, v55, v78, v89
	v_pk_fma_f16 v90, v55, v94, v90
	;; [unrolled: 1-line block ×11, first 2 shown]
	v_and_b32_e32 v55, 0xffff, v61
	v_lshrrev_b32_e32 v56, 16, v61
	v_and_b32_e32 v57, 0xffff, v62
	v_pk_fma_f16 v65, v58, v78, v65
	v_pk_fma_f16 v69, v58, v94, v69
	v_pk_fma_f16 v59, v58, v59, v71
	v_lshrrev_b32_e32 v61, 16, v62
	v_mul_u32_u24_e32 v15, 0x10001, v55
	v_mul_u32_u24_e32 v62, 0x10001, v56
	;; [unrolled: 1-line block ×3, first 2 shown]
	v_pk_fma_f16 v94, v58, v60, v66
	ds_load_b128 v[55:58], v41 offset:992
	v_mul_u32_u24_e32 v78, 0x10001, v61
	s_wait_dscnt 0x2
	v_pk_fma_f16 v75, v47, v15, v75
	v_pk_fma_f16 v70, v47, v62, v70
	;; [unrolled: 1-line block ×16, first 2 shown]
	s_wait_dscnt 0x1
	v_pk_fma_f16 v89, v51, v15, v89
	v_pk_fma_f16 v90, v51, v62, v90
	;; [unrolled: 1-line block ×7, first 2 shown]
	ds_load_2addr_b64 v[47:50], v14 offset1:32
	v_pk_fma_f16 v52, v52, v78, v92
	v_pk_fma_f16 v92, v53, v15, v64
	;; [unrolled: 1-line block ×3, first 2 shown]
	ds_load_2addr_b64 v[63:66], v14 offset0:64 offset1:96
	v_pk_fma_f16 v68, v53, v62, v68
	v_pk_fma_f16 v93, v53, v71, v93
	;; [unrolled: 1-line block ×5, first 2 shown]
	ds_load_b128 v[59:62], v41 offset:1008
	s_wait_dscnt 0x3
	v_and_b32_e32 v96, 0xffff, v55
	v_lshrrev_b32_e32 v55, 16, v55
	v_and_b32_e32 v97, 0xffff, v56
	v_lshrrev_b32_e32 v56, 16, v56
	v_pk_fma_f16 v78, v54, v78, v94
	v_mul_u32_u24_e32 v96, 0x10001, v96
	v_mul_u32_u24_e32 v55, 0x10001, v55
	;; [unrolled: 1-line block ×4, first 2 shown]
	s_wait_dscnt 0x2
	v_pk_fma_f16 v75, v47, v96, v75
	v_pk_fma_f16 v70, v47, v55, v70
	;; [unrolled: 1-line block ×16, first 2 shown]
	s_wait_dscnt 0x1
	v_pk_fma_f16 v89, v63, v96, v89
	v_pk_fma_f16 v90, v63, v55, v90
	;; [unrolled: 1-line block ×6, first 2 shown]
	ds_load_2addr_b64 v[47:50], v14 offset0:128 offset1:160
	v_pk_fma_f16 v91, v64, v97, v91
	v_pk_fma_f16 v64, v64, v56, v52
	v_pk_fma_f16 v92, v65, v96, v92
	v_pk_fma_f16 v68, v65, v55, v68
	v_pk_fma_f16 v93, v65, v97, v93
	v_pk_fma_f16 v65, v65, v56, v53
	ds_load_2addr_b64 v[51:54], v14 offset0:192 offset1:224
	v_pk_fma_f16 v55, v66, v55, v69
	v_pk_fma_f16 v69, v66, v97, v71
	v_and_b32_e32 v71, 0xffff, v57
	v_lshrrev_b32_e32 v57, 16, v57
	v_and_b32_e32 v95, 0xffff, v58
	v_lshrrev_b32_e32 v58, 16, v58
	v_pk_fma_f16 v15, v66, v96, v15
	v_mul_u32_u24_e32 v14, 0x10001, v71
	v_mul_u32_u24_e32 v57, 0x10001, v57
	;; [unrolled: 1-line block ×4, first 2 shown]
	v_pk_fma_f16 v66, v66, v56, v78
	s_wait_dscnt 0x1
	v_pk_fma_f16 v75, v47, v14, v75
	v_pk_fma_f16 v70, v47, v57, v70
	;; [unrolled: 1-line block ×16, first 2 shown]
	s_wait_dscnt 0x0
	v_pk_fma_f16 v88, v51, v14, v89
	v_pk_fma_f16 v89, v51, v57, v90
	v_pk_fma_f16 v86, v51, v71, v86
	v_pk_fma_f16 v51, v51, v95, v63
	v_pk_fma_f16 v63, v52, v14, v94
	v_pk_fma_f16 v67, v52, v57, v67
	ds_load_2addr_b64 v[47:50], v13 offset1:32
	v_pk_fma_f16 v90, v52, v71, v91
	v_pk_fma_f16 v52, v52, v95, v64
	;; [unrolled: 1-line block ×6, first 2 shown]
	ds_load_2addr_b64 v[55:58], v13 offset0:64 offset1:96
	v_pk_fma_f16 v91, v53, v71, v93
	v_pk_fma_f16 v53, v53, v95, v65
	v_pk_fma_f16 v65, v54, v71, v69
	v_and_b32_e32 v69, 0xffff, v59
	v_lshrrev_b32_e32 v59, 16, v59
	v_and_b32_e32 v71, 0xffff, v60
	v_lshrrev_b32_e32 v60, 16, v60
	v_pk_fma_f16 v54, v54, v95, v66
	v_mul_u32_u24_e32 v69, 0x10001, v69
	v_mul_u32_u24_e32 v59, 0x10001, v59
	;; [unrolled: 1-line block ×4, first 2 shown]
	s_wait_dscnt 0x1
	v_pk_fma_f16 v66, v47, v69, v75
	v_pk_fma_f16 v70, v47, v59, v70
	;; [unrolled: 1-line block ×16, first 2 shown]
	s_wait_dscnt 0x0
	v_pk_fma_f16 v88, v55, v69, v88
	v_pk_fma_f16 v89, v55, v59, v89
	;; [unrolled: 1-line block ×4, first 2 shown]
	ds_load_2addr_b64 v[48:51], v13 offset0:128 offset1:160
	ds_load_2addr_b64 v[79:82], v13 offset0:192 offset1:224
	s_wait_loadcnt_dscnt 0x0
	s_barrier_signal -1
	s_barrier_wait -1
	global_inv scope:SCOPE_SE
	s_load_b32 s5, s[24:25], 0x4
	v_pk_fma_f16 v95, v56, v69, v63
	v_pk_fma_f16 v96, v56, v59, v67
	;; [unrolled: 1-line block ×9, first 2 shown]
	v_and_b32_e32 v52, 0xffff, v61
	v_lshrrev_b32_e32 v53, 16, v61
	v_and_b32_e32 v57, 0xffff, v62
	v_lshrrev_b32_e32 v59, 16, v62
	v_pk_fma_f16 v14, v58, v69, v14
	v_pk_fma_f16 v99, v58, v71, v65
	;; [unrolled: 1-line block ×3, first 2 shown]
	v_mul_u32_u24_e32 v65, 0x10001, v52
	v_mul_u32_u24_e32 v101, 0x10001, v53
	;; [unrolled: 1-line block ×4, first 2 shown]
	s_wait_kmcnt 0x0
	s_lshl_b32 s5, s5, 7
	v_pk_fma_f16 v66, v48, v65, v66
	v_pk_fma_f16 v63, v48, v101, v70
	v_pk_fma_f16 v57, v48, v102, v72
	v_pk_fma_f16 v53, v48, v103, v47
	v_pk_fma_f16 v77, v49, v65, v73
	v_pk_fma_f16 v71, v49, v101, v74
	v_pk_fma_f16 v62, v49, v102, v75
	v_pk_fma_f16 v54, v49, v103, v76
	v_pk_fma_f16 v76, v50, v65, v78
	v_pk_fma_f16 v68, v50, v101, v92
	v_pk_fma_f16 v61, v50, v102, v93
	v_pk_fma_f16 v50, v50, v103, v94
	v_pk_fma_f16 v78, v51, v65, v83
	v_pk_fma_f16 v70, v51, v101, v84
	v_pk_fma_f16 v60, v51, v102, v85
	v_pk_fma_f16 v52, v51, v103, v87
	v_pk_fma_f16 v74, v79, v65, v88
	v_pk_fma_f16 v67, v79, v101, v89
	v_pk_fma_f16 v58, v79, v102, v86
	v_pk_fma_f16 v49, v79, v103, v55
	v_pk_fma_f16 v75, v80, v65, v95
	v_pk_fma_f16 v69, v80, v101, v96
	v_pk_fma_f16 v59, v80, v102, v90
	v_pk_fma_f16 v51, v80, v103, v56
	v_pk_fma_f16 v72, v81, v65, v64
	v_pk_fma_f16 v64, v81, v101, v97
	v_pk_fma_f16 v55, v81, v102, v91
	v_pk_fma_f16 v48, v81, v103, v98
	v_pk_fma_f16 v73, v82, v65, v14
	v_pk_fma_f16 v65, v82, v101, v15
	v_pk_fma_f16 v56, v82, v102, v99
	v_pk_fma_f16 v47, v82, v103, v100
	s_wait_alu 0xfffe
	s_add_co_i32 s4, s5, s4
	s_wait_alu 0xfffe
	s_cmp_ge_i32 s4, s34
	s_cbranch_scc1 .LBB25_87
; %bb.86:                               ;   in Loop: Header=BB25_17 Depth=1
	v_dual_mov_b32 v87, v0 :: v_dual_mov_b32 v84, v1
	v_dual_mov_b32 v82, v2 :: v_dual_mov_b32 v83, v10
	;; [unrolled: 1-line block ×4, first 2 shown]
	s_branch .LBB25_17
.LBB25_87:
	v_mov_b32_e32 v13, v35
.LBB25_88:
	v_cmp_lt_i32_e32 vcc_lo, v8, v34
	s_cmp_lg_u64 s[12:13], 0
	s_cselect_b32 s3, -1, 0
	s_cmp_eq_u32 s2, 0
	s_wait_alu 0xfffd
	v_cndmask_b32_e32 v8, v13, v8, vcc_lo
	v_cmp_lt_i32_e32 vcc_lo, v7, v34
	s_cselect_b32 s4, -1, 0
	s_wait_alu 0xfffe
	s_and_b32 s3, s4, s3
	s_wait_alu 0xfffd
	v_cndmask_b32_e32 v7, v13, v7, vcc_lo
	v_cmp_lt_i32_e32 vcc_lo, v6, v34
	s_delay_alu instid0(VALU_DEP_2)
	v_lshlrev_b32_e32 v7, 2, v7
	v_lshlrev_b32_e32 v8, 2, v8
	ds_bpermute_b32 v14, v8, v9
	s_wait_dscnt 0x0
	v_add_f32_e32 v9, v9, v14
	ds_bpermute_b32 v15, v8, v10
	ds_bpermute_b32 v18, v8, v11
	;; [unrolled: 1-line block ×3, first 2 shown]
	s_wait_dscnt 0x1
	v_dual_add_f32 v10, v10, v15 :: v_dual_add_f32 v11, v11, v18
	s_wait_dscnt 0x0
	v_add_f32_e32 v8, v12, v8
	ds_bpermute_b32 v12, v7, v9
	ds_bpermute_b32 v14, v7, v10
	;; [unrolled: 1-line block ×4, first 2 shown]
	s_wait_alu 0xfffd
	v_cndmask_b32_e32 v6, v13, v6, vcc_lo
	v_cmp_lt_i32_e32 vcc_lo, v5, v34
	s_wait_dscnt 0x2
	v_dual_add_f32 v9, v9, v12 :: v_dual_add_f32 v10, v10, v14
	s_wait_dscnt 0x1
	v_dual_add_f32 v11, v11, v15 :: v_dual_lshlrev_b32 v6, 2, v6
	s_wait_dscnt 0x0
	v_add_f32_e32 v7, v8, v7
	ds_bpermute_b32 v8, v6, v9
	ds_bpermute_b32 v12, v6, v10
	;; [unrolled: 1-line block ×4, first 2 shown]
	s_wait_alu 0xfffd
	v_cndmask_b32_e32 v5, v13, v5, vcc_lo
	v_cmp_lt_i32_e32 vcc_lo, v4, v34
	s_wait_dscnt 0x3
	v_add_f32_e32 v8, v9, v8
	s_wait_dscnt 0x1
	v_dual_add_f32 v9, v10, v12 :: v_dual_add_f32 v10, v11, v14
	s_wait_dscnt 0x0
	v_dual_add_f32 v6, v7, v6 :: v_dual_lshlrev_b32 v5, 2, v5
	ds_bpermute_b32 v7, v5, v8
	ds_bpermute_b32 v11, v5, v9
	;; [unrolled: 1-line block ×4, first 2 shown]
	s_wait_alu 0xfffd
	v_cndmask_b32_e32 v4, v13, v4, vcc_lo
	s_wait_alu 0xfffe
	s_and_b32 vcc_lo, exec_lo, s3
	s_wait_dscnt 0x3
	v_add_f32_e32 v7, v8, v7
	s_wait_dscnt 0x1
	v_dual_add_f32 v8, v9, v11 :: v_dual_add_f32 v9, v10, v12
	v_lshlrev_b32_e32 v4, 2, v4
	s_wait_dscnt 0x0
	v_add_f32_e32 v10, v6, v5
	ds_bpermute_b32 v5, v4, v7
	ds_bpermute_b32 v6, v4, v8
	;; [unrolled: 1-line block ×4, first 2 shown]
	s_wait_dscnt 0x2
	v_dual_add_f32 v4, v7, v5 :: v_dual_add_f32 v5, v8, v6
	s_wait_dscnt 0x0
	v_dual_add_f32 v6, v9, v11 :: v_dual_add_f32 v7, v10, v12
	s_wait_alu 0xfffe
	s_cbranch_vccz .LBB25_91
; %bb.89:
	s_ashr_i32 s31, s30, 31
	v_dual_mov_b32 v8, 0 :: v_dual_max_num_f32 v13, v1, v1
	s_wait_alu 0xfffe
	s_lshl_b64 s[4:5], s[30:31], 2
	s_wait_alu 0xfffe
	s_add_nc_u64 s[4:5], s[12:13], s[4:5]
	global_load_b128 v[8:11], v8, s[4:5]
	v_max_num_f32_e32 v12, v0, v0
	s_wait_loadcnt 0x0
	v_dual_max_num_f32 v14, v2, v2 :: v_dual_max_num_f32 v15, v8, v8
	v_dual_max_num_f32 v19, v9, v9 :: v_dual_max_num_f32 v20, v10, v10
	v_max_num_f32_e32 v21, v11, v11
	s_delay_alu instid0(VALU_DEP_2) | instskip(NEXT) | instid1(VALU_DEP_1)
	v_dual_max_num_f32 v13, v13, v19 :: v_dual_max_num_f32 v14, v14, v20
	v_dual_max_num_f32 v18, v3, v3 :: v_dual_sub_f32 v19, v1, v13
	s_delay_alu instid0(VALU_DEP_1) | instskip(NEXT) | instid1(VALU_DEP_3)
	v_dual_max_num_f32 v12, v12, v15 :: v_dual_max_num_f32 v15, v18, v21
	v_dual_sub_f32 v20, v2, v14 :: v_dual_sub_f32 v9, v9, v13
	v_sub_f32_e32 v10, v10, v14
	s_delay_alu instid0(VALU_DEP_3) | instskip(NEXT) | instid1(VALU_DEP_4)
	v_sub_f32_e32 v18, v0, v12
	v_dual_sub_f32 v8, v8, v12 :: v_dual_sub_f32 v21, v3, v15
	v_dual_mov_b32 v0, v12 :: v_dual_mov_b32 v3, v15
	v_dual_mov_b32 v1, v13 :: v_dual_mov_b32 v2, v14
	s_delay_alu instid0(VALU_DEP_3) | instskip(SKIP_3) | instid1(VALU_DEP_4)
	v_dual_mul_f32 v13, 0x3fb8aa3b, v8 :: v_dual_mul_f32 v12, 0x3fb8aa3b, v18
	v_sub_f32_e32 v11, v11, v15
	v_dual_mul_f32 v14, 0x3fb8aa3b, v19 :: v_dual_mul_f32 v23, 0x3fb8aa3b, v10
	v_mul_f32_e32 v15, 0x3fb8aa3b, v9
	v_fma_f32 v26, 0x3fb8aa3b, v18, -v12
	v_rndne_f32_e32 v27, v12
	v_fma_f32 v28, 0x3fb8aa3b, v8, -v13
	v_rndne_f32_e32 v29, v13
	v_fma_f32 v33, 0x3fb8aa3b, v9, -v15
	v_fma_f32 v37, 0x3fb8aa3b, v10, -v23
	v_fmac_f32_e32 v26, 0x32a5705f, v18
	v_sub_f32_e32 v12, v12, v27
	v_dual_mul_f32 v22, 0x3fb8aa3b, v20 :: v_dual_mul_f32 v25, 0x3fb8aa3b, v11
	v_fma_f32 v30, 0x3fb8aa3b, v19, -v14
	v_rndne_f32_e32 v32, v14
	v_dual_fmac_f32 v28, 0x32a5705f, v8 :: v_dual_fmac_f32 v37, 0x32a5705f, v10
	v_sub_f32_e32 v13, v13, v29
	v_dual_fmac_f32 v33, 0x32a5705f, v9 :: v_dual_add_f32 v12, v12, v26
	v_rndne_f32_e32 v34, v15
	v_mul_f32_e32 v24, 0x3fb8aa3b, v21
	v_fma_f32 v35, 0x3fb8aa3b, v20, -v22
	v_rndne_f32_e32 v38, v23
	v_fmac_f32_e32 v30, 0x32a5705f, v19
	v_sub_f32_e32 v14, v14, v32
	v_add_f32_e32 v13, v13, v28
	v_exp_f32_e32 v12, v12
	v_rndne_f32_e32 v36, v22
	v_fma_f32 v41, 0x3fb8aa3b, v11, -v25
	v_rndne_f32_e32 v42, v25
	v_cvt_i32_f32_e32 v27, v27
	v_sub_f32_e32 v15, v15, v34
	v_fma_f32 v39, 0x3fb8aa3b, v21, -v24
	v_rndne_f32_e32 v40, v24
	v_fmac_f32_e32 v35, 0x32a5705f, v20
	v_sub_f32_e32 v23, v23, v38
	v_dual_add_f32 v14, v14, v30 :: v_dual_add_f32 v15, v15, v33
	v_exp_f32_e32 v13, v13
	v_cvt_i32_f32_e32 v29, v29
	v_dual_sub_f32 v22, v22, v36 :: v_dual_fmac_f32 v39, 0x32a5705f, v21
	v_dual_sub_f32 v24, v24, v40 :: v_dual_fmac_f32 v41, 0x32a5705f, v11
	s_delay_alu instid0(VALU_DEP_2)
	v_dual_sub_f32 v25, v25, v42 :: v_dual_add_f32 v22, v22, v35
	v_exp_f32_e32 v14, v14
	v_ldexp_f32 v12, v12, v27
	v_cmp_ngt_f32_e32 vcc_lo, 0xc2ce8ed0, v18
	v_cvt_i32_f32_e32 v32, v32
	v_add_f32_e32 v25, v25, v41
	v_exp_f32_e32 v15, v15
	v_ldexp_f32 v13, v13, v29
	s_wait_alu 0xfffd
	v_cndmask_b32_e32 v12, 0, v12, vcc_lo
	v_cmp_ngt_f32_e32 vcc_lo, 0xc2ce8ed0, v8
	v_cvt_i32_f32_e32 v34, v34
	v_dual_add_f32 v23, v23, v37 :: v_dual_add_f32 v24, v24, v39
	v_exp_f32_e32 v22, v22
	v_ldexp_f32 v14, v14, v32
	s_wait_alu 0xfffd
	v_cndmask_b32_e32 v13, 0, v13, vcc_lo
	v_cmp_ngt_f32_e32 vcc_lo, 0xc2ce8ed0, v19
	v_cvt_i32_f32_e32 v36, v36
	v_exp_f32_e32 v23, v23
	v_ldexp_f32 v15, v15, v34
	v_cvt_i32_f32_e32 v38, v38
	s_wait_alu 0xfffd
	v_cndmask_b32_e32 v14, 0, v14, vcc_lo
	v_cmp_ngt_f32_e32 vcc_lo, 0xc2ce8ed0, v9
	v_exp_f32_e32 v24, v24
	v_ldexp_f32 v22, v22, v36
	v_exp_f32_e32 v25, v25
	v_cvt_i32_f32_e32 v26, v40
	s_wait_alu 0xfffd
	v_cndmask_b32_e32 v15, 0, v15, vcc_lo
	v_cmp_ngt_f32_e32 vcc_lo, 0xc2ce8ed0, v20
	v_ldexp_f32 v23, v23, v38
	v_cvt_i32_f32_e32 v28, v42
	s_wait_alu 0xfffd
	v_cndmask_b32_e32 v22, 0, v22, vcc_lo
	v_cmp_ngt_f32_e32 vcc_lo, 0xc2ce8ed0, v10
	v_ldexp_f32 v24, v24, v26
	v_ldexp_f32 v25, v25, v28
	s_wait_alu 0xfffd
	v_cndmask_b32_e32 v23, 0, v23, vcc_lo
	v_cmp_ngt_f32_e32 vcc_lo, 0xc2ce8ed0, v21
	s_wait_alu 0xfffd
	v_cndmask_b32_e32 v24, 0, v24, vcc_lo
	v_cmp_ngt_f32_e32 vcc_lo, 0xc2ce8ed0, v11
	s_wait_alu 0xfffd
	v_cndmask_b32_e32 v25, 0, v25, vcc_lo
	v_cmp_nlt_f32_e32 vcc_lo, 0x42b17218, v18
	s_wait_alu 0xfffd
	v_cndmask_b32_e32 v12, 0x7f800000, v12, vcc_lo
	v_cmp_nlt_f32_e32 vcc_lo, 0x42b17218, v8
	;; [unrolled: 3-line block ×7, first 2 shown]
	s_wait_alu 0xfffd
	s_delay_alu instid0(VALU_DEP_2)
	v_dual_fmac_f32 v10, v6, v14 :: v_dual_cndmask_b32 v15, 0x7f800000, v24
	v_cmp_nlt_f32_e32 vcc_lo, 0x42b17218, v11
	v_dual_fmac_f32 v9, v5, v13 :: v_dual_fmac_f32 v8, v4, v12
	v_cvt_f16_f32_e32 v4, v12
	s_wait_alu 0xfffd
	v_cndmask_b32_e32 v11, 0x7f800000, v25, vcc_lo
	s_delay_alu instid0(VALU_DEP_1) | instskip(NEXT) | instid1(VALU_DEP_3)
	v_fmac_f32_e32 v11, v7, v15
	v_dual_mov_b32 v4, v8 :: v_dual_and_b32 v7, 0xffff, v4
	v_cvt_f16_f32_e32 v5, v13
	s_delay_alu instid0(VALU_DEP_2) | instskip(NEXT) | instid1(VALU_DEP_2)
	v_mul_u32_u24_e32 v7, 0x10001, v7
	v_and_b32_e32 v13, 0xffff, v5
	v_mov_b32_e32 v5, v9
	v_cvt_f16_f32_e32 v6, v14
	s_delay_alu instid0(VALU_DEP_4)
	v_pk_mul_f16 v66, v66, v7
	v_pk_mul_f16 v77, v77, v7
	v_mul_u32_u24_e32 v13, 0x10001, v13
	v_pk_mul_f16 v76, v76, v7
	v_and_b32_e32 v14, 0xffff, v6
	v_mov_b32_e32 v6, v10
	v_cvt_f16_f32_e32 v12, v15
	v_pk_mul_f16 v78, v78, v7
	v_pk_mul_f16 v74, v74, v7
	v_mul_u32_u24_e32 v14, 0x10001, v14
	v_pk_mul_f16 v75, v75, v7
	v_and_b32_e32 v12, 0xffff, v12
	v_pk_mul_f16 v72, v72, v7
	v_pk_mul_f16 v73, v73, v7
	;; [unrolled: 1-line block ×4, first 2 shown]
	v_mul_u32_u24_e32 v12, 0x10001, v12
	v_pk_mul_f16 v68, v68, v13
	v_pk_mul_f16 v70, v70, v13
	v_pk_mul_f16 v67, v67, v13
	v_pk_mul_f16 v69, v69, v13
	v_pk_mul_f16 v64, v64, v13
	v_pk_mul_f16 v65, v65, v13
	v_pk_mul_f16 v57, v57, v14
	v_pk_mul_f16 v62, v62, v14
	v_pk_mul_f16 v61, v61, v14
	v_pk_mul_f16 v60, v60, v14
	v_pk_mul_f16 v58, v58, v14
	v_pk_mul_f16 v59, v59, v14
	v_pk_mul_f16 v55, v55, v14
	v_pk_mul_f16 v56, v56, v14
	v_pk_mul_f16 v53, v53, v12
	v_pk_mul_f16 v54, v54, v12
	v_pk_mul_f16 v50, v50, v12
	v_pk_mul_f16 v52, v52, v12
	v_pk_mul_f16 v49, v49, v12
	v_pk_mul_f16 v51, v51, v12
	v_pk_mul_f16 v48, v48, v12
	v_pk_mul_f16 v47, v47, v12
	v_mov_b32_e32 v7, v11
	s_mov_b32 s3, exec_lo
	v_cmpx_gt_i32_e64 s22, v16
	s_cbranch_execnz .LBB25_92
.LBB25_90:
	s_nop 0
	s_sendmsg sendmsg(MSG_DEALLOC_VGPRS)
	s_endpgm
.LBB25_91:
	s_delay_alu instid0(VALU_DEP_1)
	v_dual_mov_b32 v11, v7 :: v_dual_mov_b32 v10, v6
	v_dual_mov_b32 v9, v5 :: v_dual_mov_b32 v8, v4
	s_mov_b32 s3, exec_lo
	v_cmpx_gt_i32_e64 s22, v16
	s_cbranch_execz .LBB25_90
.LBB25_92:
	s_load_b32 s1, s[0:1], 0xd4
	v_mov_b32_e32 v14, 1.0
	s_wait_kmcnt 0x0
	s_cmp_lg_u32 s1, 1
	s_cselect_b32 s4, -1, 0
	s_cmp_eq_u32 s1, 1
	s_cselect_b32 s3, -1, 0
	s_wait_alu 0xfffe
	s_and_b32 vcc_lo, exec_lo, s4
	s_wait_alu 0xfffe
	s_cbranch_vccnz .LBB25_94
; %bb.93:
	v_div_scale_f32 v12, null, v4, v4, 1.0
	s_delay_alu instid0(VALU_DEP_1) | instskip(NEXT) | instid1(TRANS32_DEP_1)
	v_rcp_f32_e32 v13, v12
	v_fma_f32 v14, -v12, v13, 1.0
	s_delay_alu instid0(VALU_DEP_1) | instskip(SKIP_1) | instid1(VALU_DEP_1)
	v_fmac_f32_e32 v13, v14, v13
	v_div_scale_f32 v14, vcc_lo, 1.0, v4, 1.0
	v_mul_f32_e32 v15, v14, v13
	s_delay_alu instid0(VALU_DEP_1) | instskip(NEXT) | instid1(VALU_DEP_1)
	v_fma_f32 v18, -v12, v15, v14
	v_fmac_f32_e32 v15, v18, v13
	s_delay_alu instid0(VALU_DEP_1) | instskip(SKIP_1) | instid1(VALU_DEP_1)
	v_fma_f32 v12, -v12, v15, v14
	s_wait_alu 0xfffd
	v_div_fmas_f32 v12, v12, v13, v15
	s_delay_alu instid0(VALU_DEP_1)
	v_div_fixup_f32 v14, v12, v4, 1.0
.LBB25_94:
	v_mad_co_u64_u32 v[12:13], null, s28, s22, v[16:17]
	v_lshrrev_b32_e32 v4, 16, v77
	v_cvt_f32_f16_e32 v15, v77
	v_cvt_f32_f16_e32 v18, v66
	v_mov_b32_e32 v28, 0
	v_lshrrev_b32_e32 v19, 16, v78
	v_cvt_f32_f16_e32 v23, v76
	v_mad_co_u64_u32 v[12:13], null, v12, s23, s[30:31]
	v_cvt_f32_f16_e32 v4, v4
	v_cmp_eq_u32_e32 vcc_lo, 0, v17
	v_mul_f32_e32 v17, v14, v15
	v_dual_mul_f32 v15, v14, v18 :: v_dual_mov_b32 v24, v28
	v_cvt_f32_f16_e32 v29, v19
	v_mad_co_u64_u32 v[12:13], null, s1, v12, s[2:3]
	v_mul_f32_e32 v19, v14, v23
	v_lshrrev_b32_e32 v16, 16, v66
	v_lshrrev_b32_e32 v13, 16, v75
	v_cvt_f32_f16_e32 v20, v78
	v_lshrrev_b32_e32 v22, 16, v76
	v_cvt_f32_f16_e32 v36, v74
	v_lshl_add_u32 v27, v12, 9, v31
	v_mul_f32_e32 v18, v14, v4
	v_cvt_f32_f16_e32 v16, v16
	v_lshrrev_b32_e32 v4, 16, v74
	v_cvt_f32_f16_e32 v13, v13
	v_add_nc_u32_e32 v23, 0x80, v27
	v_lshlrev_b64_e32 v[25:26], 2, v[27:28]
	v_mul_f32_e32 v21, v14, v20
	v_mul_f32_e32 v16, v14, v16
	v_cvt_f32_f16_e32 v4, v4
	v_lshlrev_b64_e32 v[23:24], 2, v[23:24]
	v_cvt_f32_f16_e32 v20, v22
	v_add_co_u32 v32, s0, s16, v25
	s_wait_alu 0xf1ff
	v_add_co_ci_u32_e64 v33, null, s17, v26, s0
	s_delay_alu instid0(VALU_DEP_4)
	v_add_co_u32 v34, s0, s16, v23
	s_wait_alu 0xf1ff
	v_add_co_ci_u32_e64 v35, null, s17, v24, s0
	v_dual_mov_b32 v24, v28 :: v_dual_add_nc_u32 v23, 0x100, v27
	v_dual_mul_f32 v22, v14, v29 :: v_dual_add_nc_u32 v27, 0x180, v27
	v_mul_f32_e32 v26, v14, v13
	v_lshrrev_b32_e32 v13, 16, v72
	s_delay_alu instid0(VALU_DEP_4)
	v_lshlrev_b64_e32 v[29:30], 2, v[23:24]
	v_mul_f32_e32 v24, v14, v4
	v_lshrrev_b32_e32 v4, 16, v73
	v_lshlrev_b64_e32 v[38:39], 2, v[27:28]
	v_cvt_f32_f16_e32 v13, v13
	v_cvt_f32_f16_e32 v25, v75
	v_mul_f32_e32 v23, v14, v36
	v_add_co_u32 v36, s0, s16, v29
	v_cvt_f32_f16_e32 v4, v4
	v_cvt_f32_f16_e32 v29, v73
	;; [unrolled: 1-line block ×3, first 2 shown]
	v_mul_f32_e32 v20, v14, v20
	s_wait_alu 0xf1ff
	v_add_co_ci_u32_e64 v37, null, s17, v30, s0
	v_mul_f32_e32 v28, v14, v13
	v_add_co_u32 v13, s0, s16, v38
	v_mul_f32_e32 v25, v14, v25
	v_mul_f32_e32 v30, v14, v4
	;; [unrolled: 1-line block ×4, first 2 shown]
	s_wait_alu 0xf1ff
	v_add_co_ci_u32_e64 v14, null, s17, v39, s0
	s_and_b32 s0, vcc_lo, s4
	s_clause 0x3
	global_store_b128 v[32:33], v[15:18], off
	global_store_b128 v[34:35], v[19:22], off
	;; [unrolled: 1-line block ×4, first 2 shown]
	s_wait_alu 0xfffe
	s_and_saveexec_b32 s2, s0
	s_cbranch_execz .LBB25_96
; %bb.95:
	v_ashrrev_i32_e32 v13, 31, v12
	v_dual_mov_b32 v15, v0 :: v_dual_mov_b32 v16, v8
	s_delay_alu instid0(VALU_DEP_2) | instskip(NEXT) | instid1(VALU_DEP_1)
	v_lshlrev_b64_e32 v[13:14], 3, v[12:13]
	v_add_co_u32 v13, vcc_lo, s18, v13
	s_wait_alu 0xfffd
	s_delay_alu instid0(VALU_DEP_2)
	v_add_co_ci_u32_e64 v14, null, s19, v14, vcc_lo
	global_store_b64 v[13:14], v[15:16], off
.LBB25_96:
	s_wait_alu 0xfffe
	s_or_b32 exec_lo, exec_lo, s2
	v_cndmask_b32_e64 v13, 0, 1, s3
	v_mov_b32_e32 v0, 1.0
	s_and_not1_b32 vcc_lo, exec_lo, s3
	s_wait_alu 0xfffe
	s_cbranch_vccnz .LBB25_98
; %bb.97:
	v_div_scale_f32 v0, null, v5, v5, 1.0
	s_delay_alu instid0(VALU_DEP_1) | instskip(NEXT) | instid1(TRANS32_DEP_1)
	v_rcp_f32_e32 v4, v0
	v_fma_f32 v8, -v0, v4, 1.0
	s_delay_alu instid0(VALU_DEP_1) | instskip(SKIP_1) | instid1(VALU_DEP_1)
	v_fmac_f32_e32 v4, v8, v4
	v_div_scale_f32 v8, vcc_lo, 1.0, v5, 1.0
	v_mul_f32_e32 v14, v8, v4
	s_delay_alu instid0(VALU_DEP_1) | instskip(NEXT) | instid1(VALU_DEP_1)
	v_fma_f32 v15, -v0, v14, v8
	v_fmac_f32_e32 v14, v15, v4
	s_delay_alu instid0(VALU_DEP_1) | instskip(SKIP_1) | instid1(VALU_DEP_1)
	v_fma_f32 v0, -v0, v14, v8
	s_wait_alu 0xfffd
	v_div_fmas_f32 v0, v0, v4, v14
	s_delay_alu instid0(VALU_DEP_1)
	v_div_fixup_f32 v0, v0, v5, 1.0
.LBB25_98:
	v_dual_mov_b32 v27, 0 :: v_dual_add_nc_u32 v4, s1, v12
	v_lshrrev_b32_e32 v5, 16, v71
	v_cvt_f32_f16_e32 v8, v71
	v_lshrrev_b32_e32 v20, 16, v70
	s_delay_alu instid0(VALU_DEP_4)
	v_lshl_add_u32 v26, v4, 9, v31
	v_lshrrev_b32_e32 v12, 16, v63
	v_cvt_f32_f16_e32 v5, v5
	v_mul_f32_e32 v16, v0, v8
	v_cvt_f32_f16_e32 v8, v20
	v_lshlrev_b64_e32 v[18:19], 2, v[26:27]
	v_cvt_f32_f16_e32 v14, v63
	v_mul_f32_e32 v17, v0, v5
	v_lshrrev_b32_e32 v5, 16, v68
	v_cvt_f32_f16_e32 v12, v12
	v_mul_f32_e32 v21, v0, v8
	v_add_co_u32 v32, vcc_lo, s16, v18
	s_wait_alu 0xfffd
	v_add_co_ci_u32_e64 v33, null, s17, v19, vcc_lo
	v_dual_mov_b32 v19, v27 :: v_dual_add_nc_u32 v18, 0x80, v26
	v_cvt_f32_f16_e32 v5, v5
	v_lshrrev_b32_e32 v8, 16, v67
	v_mul_f32_e32 v14, v0, v14
	v_mul_f32_e32 v15, v0, v12
	v_lshlrev_b64_e32 v[22:23], 2, v[18:19]
	v_mul_f32_e32 v19, v0, v5
	v_lshrrev_b32_e32 v5, 16, v69
	v_cvt_f32_f16_e32 v12, v70
	v_cvt_f32_f16_e32 v8, v8
	;; [unrolled: 1-line block ×3, first 2 shown]
	v_add_co_u32 v34, vcc_lo, s16, v22
	s_wait_alu 0xfffd
	v_add_co_ci_u32_e64 v35, null, s17, v23, vcc_lo
	v_cvt_f32_f16_e32 v5, v5
	v_dual_mov_b32 v23, v27 :: v_dual_add_nc_u32 v22, 0x100, v26
	v_add_nc_u32_e32 v26, 0x180, v26
	v_mul_f32_e32 v20, v0, v12
	v_cvt_f32_f16_e32 v12, v69
	v_cvt_f32_f16_e32 v30, v67
	v_mul_f32_e32 v25, v0, v5
	v_lshlrev_b64_e32 v[28:29], 2, v[22:23]
	v_mul_f32_e32 v23, v0, v8
	v_lshrrev_b32_e32 v5, 16, v65
	v_lshrrev_b32_e32 v8, 16, v64
	v_lshlrev_b64_e32 v[38:39], 2, v[26:27]
	v_mul_f32_e32 v18, v0, v24
	v_mul_f32_e32 v24, v0, v12
	;; [unrolled: 1-line block ×3, first 2 shown]
	v_cvt_f32_f16_e32 v5, v5
	v_cvt_f32_f16_e32 v12, v65
	;; [unrolled: 1-line block ×4, first 2 shown]
	v_add_co_u32 v36, vcc_lo, s16, v28
	s_wait_alu 0xfffd
	v_add_co_ci_u32_e64 v37, null, s17, v29, vcc_lo
	v_add_co_u32 v38, vcc_lo, s16, v38
	v_mul_f32_e32 v29, v0, v5
	v_mul_f32_e32 v28, v0, v12
	;; [unrolled: 1-line block ×4, first 2 shown]
	s_wait_alu 0xfffd
	v_add_co_ci_u32_e64 v39, null, s17, v39, vcc_lo
	s_clause 0x3
	global_store_b128 v[32:33], v[14:17], off
	global_store_b128 v[34:35], v[18:21], off
	;; [unrolled: 1-line block ×4, first 2 shown]
	s_and_saveexec_b32 s2, s0
	s_cbranch_execz .LBB25_100
; %bb.99:
	v_ashrrev_i32_e32 v5, 31, v4
	v_mov_b32_e32 v8, v1
	s_delay_alu instid0(VALU_DEP_2) | instskip(NEXT) | instid1(VALU_DEP_1)
	v_lshlrev_b64_e32 v[14:15], 3, v[4:5]
	v_add_co_u32 v14, vcc_lo, s18, v14
	s_wait_alu 0xfffd
	s_delay_alu instid0(VALU_DEP_2)
	v_add_co_ci_u32_e64 v15, null, s19, v15, vcc_lo
	global_store_b64 v[14:15], v[8:9], off
.LBB25_100:
	s_wait_alu 0xfffe
	s_or_b32 exec_lo, exec_lo, s2
	v_cmp_ne_u32_e32 vcc_lo, 1, v13
	v_mov_b32_e32 v1, 1.0
	s_cbranch_vccnz .LBB25_102
; %bb.101:
	v_div_scale_f32 v0, null, v6, v6, 1.0
	s_delay_alu instid0(VALU_DEP_1) | instskip(NEXT) | instid1(TRANS32_DEP_1)
	v_rcp_f32_e32 v1, v0
	v_fma_f32 v5, -v0, v1, 1.0
	s_delay_alu instid0(VALU_DEP_1) | instskip(SKIP_1) | instid1(VALU_DEP_1)
	v_fmac_f32_e32 v1, v5, v1
	v_div_scale_f32 v5, vcc_lo, 1.0, v6, 1.0
	v_mul_f32_e32 v8, v5, v1
	s_delay_alu instid0(VALU_DEP_1) | instskip(NEXT) | instid1(VALU_DEP_1)
	v_fma_f32 v9, -v0, v8, v5
	v_fmac_f32_e32 v8, v9, v1
	s_delay_alu instid0(VALU_DEP_1) | instskip(SKIP_1) | instid1(VALU_DEP_1)
	v_fma_f32 v0, -v0, v8, v5
	s_wait_alu 0xfffd
	v_div_fmas_f32 v0, v0, v1, v8
	s_delay_alu instid0(VALU_DEP_1)
	v_div_fixup_f32 v1, v0, v6, 1.0
.LBB25_102:
	v_lshrrev_b32_e32 v6, 16, v62
	v_dual_mov_b32 v5, 0 :: v_dual_add_nc_u32 v0, s1, v4
	v_cvt_f32_f16_e32 v12, v62
	v_lshrrev_b32_e32 v18, 16, v60
	s_delay_alu instid0(VALU_DEP_4) | instskip(NEXT) | instid1(VALU_DEP_4)
	v_cvt_f32_f16_e32 v6, v6
	v_lshl_add_u32 v4, v0, 9, v31
	v_lshrrev_b32_e32 v8, 16, v57
	v_mul_f32_e32 v16, v1, v12
	v_cvt_f32_f16_e32 v12, v18
	s_delay_alu instid0(VALU_DEP_4)
	v_dual_mul_f32 v17, v1, v6 :: v_dual_add_nc_u32 v18, 0x80, v4
	v_lshrrev_b32_e32 v6, 16, v61
	v_mov_b32_e32 v19, v5
	v_cvt_f32_f16_e32 v15, v8
	v_lshlrev_b64_e32 v[8:9], 2, v[4:5]
	v_mul_f32_e32 v21, v1, v12
	v_cvt_f32_f16_e32 v6, v6
	v_lshlrev_b64_e32 v[22:23], 2, v[18:19]
	v_lshrrev_b32_e32 v12, 16, v58
	v_mul_f32_e32 v15, v1, v15
	v_add_co_u32 v8, vcc_lo, s16, v8
	v_mul_f32_e32 v19, v1, v6
	v_lshrrev_b32_e32 v6, 16, v59
	s_wait_alu 0xfffd
	v_add_co_ci_u32_e64 v9, null, s17, v9, vcc_lo
	v_add_co_u32 v32, vcc_lo, s16, v22
	s_wait_alu 0xfffd
	v_add_co_ci_u32_e64 v33, null, s17, v23, vcc_lo
	v_dual_mov_b32 v23, v5 :: v_dual_add_nc_u32 v22, 0x100, v4
	v_cvt_f32_f16_e32 v6, v6
	v_cvt_f32_f16_e32 v12, v12
	v_add_nc_u32_e32 v4, 0x180, v4
	v_cvt_f32_f16_e32 v24, v61
	v_lshlrev_b64_e32 v[26:27], 2, v[22:23]
	v_mul_f32_e32 v25, v1, v6
	v_mul_f32_e32 v23, v1, v12
	v_lshrrev_b32_e32 v6, 16, v56
	v_lshrrev_b32_e32 v12, 16, v55
	v_cvt_f32_f16_e32 v14, v57
	v_lshlrev_b64_e32 v[4:5], 2, v[4:5]
	v_cvt_f32_f16_e32 v20, v60
	v_mul_f32_e32 v18, v1, v24
	v_cvt_f32_f16_e32 v24, v59
	v_cvt_f32_f16_e32 v28, v58
	v_add_co_u32 v34, vcc_lo, s16, v26
	v_cvt_f32_f16_e32 v6, v6
	v_cvt_f32_f16_e32 v26, v56
	;; [unrolled: 1-line block ×4, first 2 shown]
	v_mul_f32_e32 v14, v1, v14
	v_mul_f32_e32 v20, v1, v20
	s_wait_alu 0xfffd
	v_add_co_ci_u32_e64 v35, null, s17, v27, vcc_lo
	v_add_co_u32 v4, vcc_lo, s16, v4
	v_mul_f32_e32 v24, v1, v24
	v_mul_f32_e32 v22, v1, v28
	;; [unrolled: 1-line block ×6, first 2 shown]
	s_wait_alu 0xfffd
	v_add_co_ci_u32_e64 v5, null, s17, v5, vcc_lo
	s_clause 0x3
	global_store_b128 v[8:9], v[14:17], off
	global_store_b128 v[32:33], v[18:21], off
	;; [unrolled: 1-line block ×4, first 2 shown]
	s_and_saveexec_b32 s2, s0
	s_cbranch_execz .LBB25_104
; %bb.103:
	v_ashrrev_i32_e32 v1, 31, v0
	v_mov_b32_e32 v9, v2
	s_delay_alu instid0(VALU_DEP_2) | instskip(NEXT) | instid1(VALU_DEP_1)
	v_lshlrev_b64_e32 v[4:5], 3, v[0:1]
	v_add_co_u32 v4, vcc_lo, s18, v4
	s_wait_alu 0xfffd
	s_delay_alu instid0(VALU_DEP_2)
	v_add_co_ci_u32_e64 v5, null, s19, v5, vcc_lo
	global_store_b64 v[4:5], v[9:10], off
.LBB25_104:
	s_wait_alu 0xfffe
	s_or_b32 exec_lo, exec_lo, s2
	v_cmp_ne_u32_e32 vcc_lo, 1, v13
	v_mov_b32_e32 v1, 1.0
	s_cbranch_vccnz .LBB25_106
; %bb.105:
	v_div_scale_f32 v1, null, v7, v7, 1.0
	s_delay_alu instid0(VALU_DEP_1) | instskip(NEXT) | instid1(TRANS32_DEP_1)
	v_rcp_f32_e32 v2, v1
	v_fma_f32 v4, -v1, v2, 1.0
	s_delay_alu instid0(VALU_DEP_1) | instskip(SKIP_1) | instid1(VALU_DEP_1)
	v_fmac_f32_e32 v2, v4, v2
	v_div_scale_f32 v4, vcc_lo, 1.0, v7, 1.0
	v_mul_f32_e32 v5, v4, v2
	s_delay_alu instid0(VALU_DEP_1) | instskip(NEXT) | instid1(VALU_DEP_1)
	v_fma_f32 v6, -v1, v5, v4
	v_fmac_f32_e32 v5, v6, v2
	s_delay_alu instid0(VALU_DEP_1) | instskip(SKIP_1) | instid1(VALU_DEP_1)
	v_fma_f32 v1, -v1, v5, v4
	s_wait_alu 0xfffd
	v_div_fmas_f32 v1, v1, v2, v5
	s_delay_alu instid0(VALU_DEP_1)
	v_div_fixup_f32 v1, v1, v7, 1.0
.LBB25_106:
	v_dual_mov_b32 v9, 0 :: v_dual_add_nc_u32 v0, s1, v0
	v_lshrrev_b32_e32 v2, 16, v54
	v_cvt_f32_f16_e32 v4, v54
	v_cvt_f32_f16_e32 v7, v53
	s_delay_alu instid0(VALU_DEP_4)
	v_lshl_add_u32 v8, v0, 9, v31
	v_lshrrev_b32_e32 v10, 16, v52
	v_cvt_f32_f16_e32 v2, v2
	v_mul_f32_e32 v6, v1, v4
	v_mul_f32_e32 v4, v1, v7
	v_lshlrev_b64_e32 v[12:13], 2, v[8:9]
	v_lshrrev_b32_e32 v5, 16, v53
	v_mul_f32_e32 v7, v1, v2
	v_lshrrev_b32_e32 v2, 16, v50
	v_cvt_f32_f16_e32 v10, v10
	v_cvt_f32_f16_e32 v18, v50
	v_add_co_u32 v24, vcc_lo, s16, v12
	s_wait_alu 0xfffd
	v_add_co_ci_u32_e64 v25, null, s17, v13, vcc_lo
	v_dual_mov_b32 v13, v9 :: v_dual_add_nc_u32 v12, 0x80, v8
	v_cvt_f32_f16_e32 v2, v2
	v_cvt_f32_f16_e32 v5, v5
	v_mul_f32_e32 v15, v1, v10
	v_lshrrev_b32_e32 v10, 16, v49
	v_lshlrev_b64_e32 v[16:17], 2, v[12:13]
	v_mul_f32_e32 v13, v1, v2
	v_lshrrev_b32_e32 v2, 16, v51
	v_mul_f32_e32 v5, v1, v5
	v_cvt_f32_f16_e32 v10, v10
	v_cvt_f32_f16_e32 v14, v52
	v_add_co_u32 v26, vcc_lo, s16, v16
	s_wait_alu 0xfffd
	v_add_co_ci_u32_e64 v27, null, s17, v17, vcc_lo
	v_dual_mov_b32 v17, v9 :: v_dual_add_nc_u32 v16, 0x100, v8
	v_cvt_f32_f16_e32 v2, v2
	v_add_nc_u32_e32 v8, 0x180, v8
	v_mul_f32_e32 v12, v1, v18
	v_cvt_f32_f16_e32 v18, v51
	v_lshlrev_b64_e32 v[20:21], 2, v[16:17]
	v_mul_f32_e32 v19, v1, v2
	v_mul_f32_e32 v17, v1, v10
	v_lshrrev_b32_e32 v2, 16, v47
	v_lshrrev_b32_e32 v10, 16, v48
	v_lshlrev_b64_e32 v[8:9], 2, v[8:9]
	v_cvt_f32_f16_e32 v22, v49
	v_add_co_u32 v28, vcc_lo, s16, v20
	v_cvt_f32_f16_e32 v2, v2
	v_cvt_f32_f16_e32 v20, v47
	;; [unrolled: 1-line block ×4, first 2 shown]
	v_mul_f32_e32 v14, v1, v14
	v_mul_f32_e32 v18, v1, v18
	v_mul_f32_e32 v16, v1, v22
	s_wait_alu 0xfffd
	v_add_co_ci_u32_e64 v29, null, s17, v21, vcc_lo
	v_mul_f32_e32 v23, v1, v2
	v_mul_f32_e32 v22, v1, v20
	;; [unrolled: 1-line block ×4, first 2 shown]
	v_add_co_u32 v1, vcc_lo, s16, v8
	s_wait_alu 0xfffd
	v_add_co_ci_u32_e64 v2, null, s17, v9, vcc_lo
	s_clause 0x3
	global_store_b128 v[24:25], v[4:7], off
	global_store_b128 v[26:27], v[12:15], off
	;; [unrolled: 1-line block ×4, first 2 shown]
	s_and_b32 exec_lo, exec_lo, s0
	s_cbranch_execz .LBB25_90
; %bb.107:
	v_ashrrev_i32_e32 v1, 31, v0
	v_mov_b32_e32 v10, v3
	s_delay_alu instid0(VALU_DEP_2) | instskip(NEXT) | instid1(VALU_DEP_1)
	v_lshlrev_b64_e32 v[0:1], 3, v[0:1]
	v_add_co_u32 v0, vcc_lo, s18, v0
	s_wait_alu 0xfffd
	s_delay_alu instid0(VALU_DEP_2)
	v_add_co_ci_u32_e64 v1, null, s19, v1, vcc_lo
	global_store_b64 v[0:1], v[10:11], off
	s_nop 0
	s_sendmsg sendmsg(MSG_DEALLOC_VGPRS)
	s_endpgm
	.section	.rodata,"a",@progbits
	.p2align	6, 0x0
	.amdhsa_kernel _ZL15flash_attn_tileILi576ELi512ELi8ELi4ELb1EEvPKcS1_S1_S1_S1_PKiPfP15HIP_vector_typeIfLj2EEffffjfiS5_IjLj3EEiiiiiiiiiiiliiliiiiil
		.amdhsa_group_segment_fixed_size 63488
		.amdhsa_private_segment_fixed_size 0
		.amdhsa_kernarg_size 464
		.amdhsa_user_sgpr_count 2
		.amdhsa_user_sgpr_dispatch_ptr 0
		.amdhsa_user_sgpr_queue_ptr 0
		.amdhsa_user_sgpr_kernarg_segment_ptr 1
		.amdhsa_user_sgpr_dispatch_id 0
		.amdhsa_user_sgpr_private_segment_size 0
		.amdhsa_wavefront_size32 1
		.amdhsa_uses_dynamic_stack 0
		.amdhsa_enable_private_segment 0
		.amdhsa_system_sgpr_workgroup_id_x 1
		.amdhsa_system_sgpr_workgroup_id_y 1
		.amdhsa_system_sgpr_workgroup_id_z 1
		.amdhsa_system_sgpr_workgroup_info 0
		.amdhsa_system_vgpr_workitem_id 1
		.amdhsa_next_free_vgpr 241
		.amdhsa_next_free_sgpr 42
		.amdhsa_reserve_vcc 1
		.amdhsa_float_round_mode_32 0
		.amdhsa_float_round_mode_16_64 0
		.amdhsa_float_denorm_mode_32 3
		.amdhsa_float_denorm_mode_16_64 3
		.amdhsa_fp16_overflow 0
		.amdhsa_workgroup_processor_mode 1
		.amdhsa_memory_ordered 1
		.amdhsa_forward_progress 1
		.amdhsa_inst_pref_size 255
		.amdhsa_round_robin_scheduling 0
		.amdhsa_exception_fp_ieee_invalid_op 0
		.amdhsa_exception_fp_denorm_src 0
		.amdhsa_exception_fp_ieee_div_zero 0
		.amdhsa_exception_fp_ieee_overflow 0
		.amdhsa_exception_fp_ieee_underflow 0
		.amdhsa_exception_fp_ieee_inexact 0
		.amdhsa_exception_int_div_zero 0
	.end_amdhsa_kernel
	.section	.text._ZL15flash_attn_tileILi576ELi512ELi8ELi4ELb1EEvPKcS1_S1_S1_S1_PKiPfP15HIP_vector_typeIfLj2EEffffjfiS5_IjLj3EEiiiiiiiiiiiliiliiiiil,"axG",@progbits,_ZL15flash_attn_tileILi576ELi512ELi8ELi4ELb1EEvPKcS1_S1_S1_S1_PKiPfP15HIP_vector_typeIfLj2EEffffjfiS5_IjLj3EEiiiiiiiiiiiliiliiiiil,comdat
.Lfunc_end25:
	.size	_ZL15flash_attn_tileILi576ELi512ELi8ELi4ELb1EEvPKcS1_S1_S1_S1_PKiPfP15HIP_vector_typeIfLj2EEffffjfiS5_IjLj3EEiiiiiiiiiiiliiliiiiil, .Lfunc_end25-_ZL15flash_attn_tileILi576ELi512ELi8ELi4ELb1EEvPKcS1_S1_S1_S1_PKiPfP15HIP_vector_typeIfLj2EEffffjfiS5_IjLj3EEiiiiiiiiiiiliiliiiiil
                                        ; -- End function
	.set _ZL15flash_attn_tileILi576ELi512ELi8ELi4ELb1EEvPKcS1_S1_S1_S1_PKiPfP15HIP_vector_typeIfLj2EEffffjfiS5_IjLj3EEiiiiiiiiiiiliiliiiiil.num_vgpr, 193
	.set _ZL15flash_attn_tileILi576ELi512ELi8ELi4ELb1EEvPKcS1_S1_S1_S1_PKiPfP15HIP_vector_typeIfLj2EEffffjfiS5_IjLj3EEiiiiiiiiiiiliiliiiiil.num_agpr, 0
	.set _ZL15flash_attn_tileILi576ELi512ELi8ELi4ELb1EEvPKcS1_S1_S1_S1_PKiPfP15HIP_vector_typeIfLj2EEffffjfiS5_IjLj3EEiiiiiiiiiiiliiliiiiil.numbered_sgpr, 42
	.set _ZL15flash_attn_tileILi576ELi512ELi8ELi4ELb1EEvPKcS1_S1_S1_S1_PKiPfP15HIP_vector_typeIfLj2EEffffjfiS5_IjLj3EEiiiiiiiiiiiliiliiiiil.num_named_barrier, 0
	.set _ZL15flash_attn_tileILi576ELi512ELi8ELi4ELb1EEvPKcS1_S1_S1_S1_PKiPfP15HIP_vector_typeIfLj2EEffffjfiS5_IjLj3EEiiiiiiiiiiiliiliiiiil.private_seg_size, 0
	.set _ZL15flash_attn_tileILi576ELi512ELi8ELi4ELb1EEvPKcS1_S1_S1_S1_PKiPfP15HIP_vector_typeIfLj2EEffffjfiS5_IjLj3EEiiiiiiiiiiiliiliiiiil.uses_vcc, 1
	.set _ZL15flash_attn_tileILi576ELi512ELi8ELi4ELb1EEvPKcS1_S1_S1_S1_PKiPfP15HIP_vector_typeIfLj2EEffffjfiS5_IjLj3EEiiiiiiiiiiiliiliiiiil.uses_flat_scratch, 0
	.set _ZL15flash_attn_tileILi576ELi512ELi8ELi4ELb1EEvPKcS1_S1_S1_S1_PKiPfP15HIP_vector_typeIfLj2EEffffjfiS5_IjLj3EEiiiiiiiiiiiliiliiiiil.has_dyn_sized_stack, 0
	.set _ZL15flash_attn_tileILi576ELi512ELi8ELi4ELb1EEvPKcS1_S1_S1_S1_PKiPfP15HIP_vector_typeIfLj2EEffffjfiS5_IjLj3EEiiiiiiiiiiiliiliiiiil.has_recursion, 0
	.set _ZL15flash_attn_tileILi576ELi512ELi8ELi4ELb1EEvPKcS1_S1_S1_S1_PKiPfP15HIP_vector_typeIfLj2EEffffjfiS5_IjLj3EEiiiiiiiiiiiliiliiiiil.has_indirect_call, 0
	.section	.AMDGPU.csdata,"",@progbits
; Kernel info:
; codeLenInByte = 64664
; TotalNumSgprs: 44
; NumVgprs: 193
; ScratchSize: 0
; MemoryBound: 0
; FloatMode: 240
; IeeeMode: 1
; LDSByteSize: 63488 bytes/workgroup (compile time only)
; SGPRBlocks: 0
; VGPRBlocks: 30
; NumSGPRsForWavesPerEU: 44
; NumVGPRsForWavesPerEU: 241
; Occupancy: 4
; WaveLimiterHint : 1
; COMPUTE_PGM_RSRC2:SCRATCH_EN: 0
; COMPUTE_PGM_RSRC2:USER_SGPR: 2
; COMPUTE_PGM_RSRC2:TRAP_HANDLER: 0
; COMPUTE_PGM_RSRC2:TGID_X_EN: 1
; COMPUTE_PGM_RSRC2:TGID_Y_EN: 1
; COMPUTE_PGM_RSRC2:TGID_Z_EN: 1
; COMPUTE_PGM_RSRC2:TIDIG_COMP_CNT: 1
	.section	.text._ZL15flash_attn_tileILi576ELi512ELi4ELi4ELb1EEvPKcS1_S1_S1_S1_PKiPfP15HIP_vector_typeIfLj2EEffffjfiS5_IjLj3EEiiiiiiiiiiiliiliiiiil,"axG",@progbits,_ZL15flash_attn_tileILi576ELi512ELi4ELi4ELb1EEvPKcS1_S1_S1_S1_PKiPfP15HIP_vector_typeIfLj2EEffffjfiS5_IjLj3EEiiiiiiiiiiiliiliiiiil,comdat
	.globl	_ZL15flash_attn_tileILi576ELi512ELi4ELi4ELb1EEvPKcS1_S1_S1_S1_PKiPfP15HIP_vector_typeIfLj2EEffffjfiS5_IjLj3EEiiiiiiiiiiiliiliiiiil ; -- Begin function _ZL15flash_attn_tileILi576ELi512ELi4ELi4ELb1EEvPKcS1_S1_S1_S1_PKiPfP15HIP_vector_typeIfLj2EEffffjfiS5_IjLj3EEiiiiiiiiiiiliiliiiiil
	.p2align	8
	.type	_ZL15flash_attn_tileILi576ELi512ELi4ELi4ELb1EEvPKcS1_S1_S1_S1_PKiPfP15HIP_vector_typeIfLj2EEffffjfiS5_IjLj3EEiiiiiiiiiiiliiliiiiil,@function
_ZL15flash_attn_tileILi576ELi512ELi4ELi4ELb1EEvPKcS1_S1_S1_S1_PKiPfP15HIP_vector_typeIfLj2EEffffjfiS5_IjLj3EEiiiiiiiiiiiliiliiiiil: ; @_ZL15flash_attn_tileILi576ELi512ELi4ELi4ELb1EEvPKcS1_S1_S1_S1_PKiPfP15HIP_vector_typeIfLj2EEffffjfiS5_IjLj3EEiiiiiiiiiiiliiliiiiil
; %bb.0:
	s_clause 0x1
	s_load_b128 s[20:23], s[0:1], 0x5c
	s_load_b64 s[30:31], s[0:1], 0x80
	s_lshr_b32 s5, ttmp7, 16
	s_mov_b32 s37, 0
	s_mov_b64 s[34:35], 0
	s_wait_kmcnt 0x0
	s_ashr_i32 s2, s23, 31
	s_delay_alu instid0(SALU_CYCLE_1) | instskip(NEXT) | instid1(SALU_CYCLE_1)
	s_lshr_b32 s2, s2, 30
	s_add_co_i32 s2, s23, s2
	s_delay_alu instid0(SALU_CYCLE_1) | instskip(NEXT) | instid1(SALU_CYCLE_1)
	s_ashr_i32 s2, s2, 2
	s_cvt_f32_u32 s3, s2
	s_sub_co_i32 s4, 0, s2
	s_delay_alu instid0(SALU_CYCLE_2) | instskip(NEXT) | instid1(TRANS32_DEP_1)
	v_rcp_iflag_f32_e32 v1, s3
	v_readfirstlane_b32 s3, v1
	s_mul_f32 s3, s3, 0x4f7ffffe
	s_wait_alu 0xfffe
	s_delay_alu instid0(SALU_CYCLE_2) | instskip(SKIP_1) | instid1(SALU_CYCLE_2)
	s_cvt_u32_f32 s3, s3
	s_wait_alu 0xfffe
	s_mul_i32 s4, s4, s3
	s_delay_alu instid0(SALU_CYCLE_1) | instskip(NEXT) | instid1(SALU_CYCLE_1)
	s_mul_hi_u32 s4, s3, s4
	s_add_co_i32 s3, s3, s4
	s_wait_alu 0xfffe
	s_mul_hi_u32 s3, s5, s3
	s_wait_alu 0xfffe
	s_mul_i32 s4, s3, s2
	s_add_co_i32 s6, s3, 1
	s_sub_co_i32 s4, s5, s4
	s_delay_alu instid0(SALU_CYCLE_1)
	s_sub_co_i32 s7, s4, s2
	s_cmp_ge_u32 s4, s2
	s_cselect_b32 s3, s6, s3
	s_cselect_b32 s4, s7, s4
	s_wait_alu 0xfffe
	s_add_co_i32 s6, s3, 1
	s_cmp_ge_u32 s4, s2
	s_cselect_b32 s28, s6, s3
	s_abs_i32 s2, s31
	s_abs_i32 s7, s23
	s_wait_alu 0xfffe
	s_cvt_f32_u32 s3, s2
	s_sub_co_i32 s4, 0, s2
	s_lshl_b32 s5, s5, 2
	s_mul_i32 s6, s28, s23
	s_wait_alu 0xfffe
	v_rcp_iflag_f32_e32 v1, s3
	s_sub_co_i32 s33, s5, s6
	s_delay_alu instid0(TRANS32_DEP_1) | instskip(SKIP_2) | instid1(SALU_CYCLE_2)
	v_readfirstlane_b32 s3, v1
	s_mul_f32 s3, s3, 0x4f7ffffe
	s_wait_alu 0xfffe
	s_cvt_u32_f32 s3, s3
	s_wait_alu 0xfffe
	s_delay_alu instid0(SALU_CYCLE_2) | instskip(NEXT) | instid1(SALU_CYCLE_1)
	s_mul_i32 s4, s4, s3
	s_mul_hi_u32 s4, s3, s4
	s_delay_alu instid0(SALU_CYCLE_1)
	s_add_co_i32 s3, s3, s4
	s_xor_b32 s4, s23, s31
	s_wait_alu 0xfffe
	s_mul_hi_u32 s3, s7, s3
	s_ashr_i32 s24, s4, 31
	s_wait_alu 0xfffe
	s_mul_i32 s5, s3, s2
	s_delay_alu instid0(SALU_CYCLE_1)
	s_sub_co_i32 s4, s7, s5
	s_add_co_i32 s5, s3, 1
	s_sub_co_i32 s6, s4, s2
	s_cmp_ge_u32 s4, s2
	s_cselect_b32 s3, s5, s3
	s_cselect_b32 s4, s6, s4
	s_wait_alu 0xfffe
	s_add_co_i32 s5, s3, 1
	s_cmp_ge_u32 s4, s2
	s_cselect_b32 s2, s5, s3
	s_load_b512 s[4:19], s[0:1], 0x0
	s_xor_b32 s2, s2, s24
	s_wait_alu 0xfffe
	s_sub_co_i32 s39, s2, s24
	s_load_b64 s[2:3], s[0:1], 0xb8
	s_abs_i32 s38, s39
	s_delay_alu instid0(SALU_CYCLE_1) | instskip(NEXT) | instid1(SALU_CYCLE_3)
	s_cvt_f32_u32 s24, s38
	v_rcp_iflag_f32_e32 v1, s24
	s_wait_kmcnt 0x0
	s_cmp_eq_u64 s[10:11], 0
	s_delay_alu instid0(TRANS32_DEP_1)
	v_readfirstlane_b32 s24, v1
	s_cbranch_scc1 .LBB26_2
; %bb.1:
	s_abs_i32 s2, s2
	s_wait_alu 0xfffe
	s_cvt_f32_u32 s25, s2
	s_sub_co_i32 s26, 0, s2
	s_wait_alu 0xfffe
	s_delay_alu instid0(SALU_CYCLE_1) | instskip(NEXT) | instid1(TRANS32_DEP_1)
	v_rcp_iflag_f32_e32 v1, s25
	v_readfirstlane_b32 s25, v1
	s_mul_f32 s25, s25, 0x4f7ffffe
	s_wait_alu 0xfffe
	s_delay_alu instid0(SALU_CYCLE_2) | instskip(SKIP_1) | instid1(SALU_CYCLE_2)
	s_cvt_u32_f32 s25, s25
	s_wait_alu 0xfffe
	s_mul_i32 s26, s26, s25
	s_delay_alu instid0(SALU_CYCLE_1)
	s_mul_hi_u32 s29, s25, s26
	s_load_b64 s[26:27], s[0:1], 0xc8
	s_add_co_i32 s25, s25, s29
	s_wait_alu 0xfffe
	s_mul_hi_u32 s25, s28, s25
	s_wait_alu 0xfffe
	s_mul_i32 s25, s25, s2
	s_wait_alu 0xfffe
	s_sub_co_i32 s25, s28, s25
	s_wait_alu 0xfffe
	s_sub_co_i32 s29, s25, s2
	s_cmp_ge_u32 s25, s2
	s_cselect_b32 s25, s29, s25
	s_wait_alu 0xfffe
	s_sub_co_i32 s29, s25, s2
	s_cmp_ge_u32 s25, s2
	s_cselect_b32 s34, s29, s25
	s_delay_alu instid0(SALU_CYCLE_1) | instskip(SKIP_2) | instid1(SALU_CYCLE_1)
	s_ashr_i32 s35, s34, 31
	s_wait_kmcnt 0x0
	s_mul_u64 s[26:27], s[26:27], s[34:35]
	s_add_nc_u64 s[34:35], s[10:11], s[26:27]
.LBB26_2:
	v_lshrrev_b32_e32 v1, 10, v0
	s_load_b96 s[40:42], s[0:1], 0x70
	v_bfe_u32 v3, v0, 10, 10
	v_and_b32_e32 v93, 0x3ff, v0
	s_delay_alu instid0(VALU_DEP_3) | instskip(NEXT) | instid1(VALU_DEP_3)
	v_bfe_u32 v1, v1, 1, 9
	v_lshlrev_b32_e32 v5, 1, v3
	v_mul_u32_u24_e32 v105, 0x900, v3
	s_delay_alu instid0(VALU_DEP_3) | instskip(NEXT) | instid1(VALU_DEP_3)
	v_lshl_add_u32 v92, ttmp9, 2, v1
	v_and_b32_e32 v103, 2, v5
	s_delay_alu instid0(VALU_DEP_2) | instskip(SKIP_3) | instid1(VALU_DEP_1)
	v_mul_hi_u32 v1, s20, v92
	s_wait_kmcnt 0x0
	s_mul_i32 s20, s33, s41
	s_ashr_i32 s11, s41, 31
	v_add_nc_u32_e32 v1, v92, v1
	s_mov_b32 s10, s41
	s_ashr_i32 s41, s40, 31
	s_delay_alu instid0(SALU_CYCLE_1) | instskip(NEXT) | instid1(VALU_DEP_1)
	s_lshr_b64 s[26:27], s[40:41], 2
	v_lshrrev_b32_e32 v1, s21, v1
	s_lshr_b32 s2, s41, 2
	s_wait_alu 0xfffe
	s_ashr_i32 s21, s20, 31
	s_delay_alu instid0(VALU_DEP_1) | instskip(NEXT) | instid1(VALU_DEP_1)
	v_mul_lo_u32 v1, v1, s22
	v_sub_nc_u32_e32 v2, v92, v1
	s_delay_alu instid0(VALU_DEP_1)
	v_mad_co_u64_u32 v[6:7], null, s26, v2, 0
	s_mul_i32 s26, s28, s42
	s_wait_alu 0xfffe
	s_ashr_i32 s27, s26, 31
	s_wait_alu 0xfffe
	s_add_nc_u64 s[4:5], s[4:5], s[26:27]
	s_delay_alu instid0(SALU_CYCLE_1) | instskip(SKIP_1) | instid1(VALU_DEP_1)
	s_add_nc_u64 s[4:5], s[4:5], s[20:21]
	v_mov_b32_e32 v1, v7
	v_mad_co_u64_u32 v[7:8], null, s2, v2, v[1:2]
	s_lshr_b32 s2, s11, 2
	s_lshr_b64 s[10:11], s[10:11], 2
	s_wait_alu 0xfffe
	v_mul_lo_u32 v4, s2, v103
	v_mad_co_u64_u32 v[8:9], null, s10, v103, 0
	v_lshlrev_b64_e32 v[0:1], 2, v[6:7]
	v_lshlrev_b32_e32 v6, 4, v93
	s_delay_alu instid0(VALU_DEP_3) | instskip(NEXT) | instid1(VALU_DEP_3)
	v_or_b32_e32 v9, v9, v4
	v_add_co_u32 v4, vcc_lo, s4, v0
	s_delay_alu instid0(VALU_DEP_1) | instskip(NEXT) | instid1(VALU_DEP_3)
	v_add_co_ci_u32_e64 v7, null, s5, v1, vcc_lo
	v_lshlrev_b64_e32 v[0:1], 2, v[8:9]
	s_delay_alu instid0(VALU_DEP_3) | instskip(SKIP_1) | instid1(VALU_DEP_3)
	v_add_co_u32 v6, vcc_lo, v4, v6
	s_wait_alu 0xfffd
	v_add_co_ci_u32_e64 v7, null, 0, v7, vcc_lo
	s_load_b32 s4, s[0:1], 0x40
	v_add_co_u32 v0, vcc_lo, v6, v0
	s_wait_alu 0xfffd
	v_add_co_ci_u32_e64 v1, null, v7, v1, vcc_lo
	v_lshlrev_b32_e32 v4, 3, v93
	v_cmp_gt_u32_e32 vcc_lo, 16, v93
	s_clause 0x3
	global_load_b128 v[8:11], v[0:1], off
	global_load_b128 v[12:15], v[0:1], off offset:512
	global_load_b128 v[16:19], v[0:1], off offset:1024
	;; [unrolled: 1-line block ×3, first 2 shown]
	v_mad_u32_u24 v24, 0x900, v3, v4
	s_wait_loadcnt 0x3
	s_wait_kmcnt 0x0
	v_fma_mixlo_f16 v8, s4, v8, 0
	v_fma_mixlo_f16 v9, s4, v9, 0
	v_fma_mixlo_f16 v10, s4, v10, 0
	v_fma_mixlo_f16 v11, s4, v11, 0
	s_wait_loadcnt 0x2
	v_fma_mixlo_f16 v12, s4, v12, 0
	v_fma_mixlo_f16 v13, s4, v13, 0
	;; [unrolled: 1-line block ×4, first 2 shown]
	s_wait_loadcnt 0x1
	v_fma_mixlo_f16 v16, s4, v16, 0
	v_fma_mixlo_f16 v17, s4, v17, 0
	s_wait_loadcnt 0x0
	v_fma_mixlo_f16 v20, s4, v20, 0
	v_fma_mixlo_f16 v21, s4, v21, 0
	v_lshlrev_b32_e32 v9, 16, v9
	v_and_b32_e32 v8, 0xffff, v8
	v_lshlrev_b32_e32 v11, 16, v11
	v_and_b32_e32 v10, 0xffff, v10
	;; [unrolled: 2-line block ×3, first 2 shown]
	v_fma_mixlo_f16 v18, s4, v18, 0
	v_fma_mixlo_f16 v19, s4, v19, 0
	;; [unrolled: 1-line block ×4, first 2 shown]
	v_lshlrev_b32_e32 v15, 16, v15
	v_and_b32_e32 v14, 0xffff, v14
	v_lshlrev_b32_e32 v17, 16, v17
	v_and_b32_e32 v16, 0xffff, v16
	;; [unrolled: 2-line block ×3, first 2 shown]
	v_or_b32_e32 v8, v9, v8
	v_or3_b32 v9, v11, v10, 0
	v_or_b32_e32 v10, v13, v12
	v_lshlrev_b32_e32 v19, 16, v19
	v_and_b32_e32 v18, 0xffff, v18
	v_lshlrev_b32_e32 v23, 16, v23
	v_and_b32_e32 v22, 0xffff, v22
	v_or3_b32 v11, v15, v14, 0
	v_or_b32_e32 v12, v17, v16
	v_or_b32_e32 v14, v21, v20
	v_or3_b32 v8, 0, 0, v8
	v_or3_b32 v10, 0, 0, v10
	;; [unrolled: 1-line block ×6, first 2 shown]
	ds_store_2addr_b64 v24, v[8:9], v[10:11] offset1:32
	ds_store_2addr_b64 v24, v[12:13], v[14:15] offset0:64 offset1:96
	s_and_saveexec_b32 s2, vcc_lo
	s_cbranch_execz .LBB26_4
; %bb.3:
	global_load_b128 v[8:11], v[0:1], off offset:2048
	s_wait_loadcnt 0x0
	v_fma_mixlo_f16 v0, s4, v9, 0
	v_fma_mixlo_f16 v1, s4, v8, 0
	;; [unrolled: 1-line block ×4, first 2 shown]
	s_delay_alu instid0(VALU_DEP_4) | instskip(NEXT) | instid1(VALU_DEP_4)
	v_lshlrev_b32_e32 v0, 16, v0
	v_and_b32_e32 v1, 0xffff, v1
	s_delay_alu instid0(VALU_DEP_4) | instskip(NEXT) | instid1(VALU_DEP_4)
	v_and_b32_e32 v8, 0xffff, v8
	v_lshlrev_b32_e32 v9, 16, v9
	s_delay_alu instid0(VALU_DEP_3) | instskip(NEXT) | instid1(VALU_DEP_2)
	v_or_b32_e32 v0, v0, v1
	v_or3_b32 v1, v9, v8, 0
	v_add_nc_u32_e32 v8, v4, v105
	s_delay_alu instid0(VALU_DEP_3)
	v_or3_b32 v0, 0, 0, v0
	ds_store_b64 v8, v[0:1] offset:1024
.LBB26_4:
	s_wait_alu 0xfffe
	s_or_b32 exec_lo, exec_lo, s2
	v_or_b32_e32 v5, 1, v5
	s_delay_alu instid0(VALU_DEP_1) | instskip(SKIP_1) | instid1(VALU_DEP_2)
	v_and_b32_e32 v8, 3, v5
	v_mad_u32_u24 v22, 0x480, v5, v4
	v_mad_co_u64_u32 v[0:1], null, s10, v8, 0
	s_delay_alu instid0(VALU_DEP_1) | instskip(NEXT) | instid1(VALU_DEP_1)
	v_mad_co_u64_u32 v[8:9], null, s11, v8, v[1:2]
	v_mov_b32_e32 v1, v8
	s_delay_alu instid0(VALU_DEP_1) | instskip(NEXT) | instid1(VALU_DEP_1)
	v_lshlrev_b64_e32 v[0:1], 2, v[0:1]
	v_add_co_u32 v0, s2, v6, v0
	s_wait_alu 0xf1ff
	s_delay_alu instid0(VALU_DEP_2)
	v_add_co_ci_u32_e64 v1, null, v7, v1, s2
	s_clause 0x3
	global_load_b128 v[6:9], v[0:1], off
	global_load_b128 v[10:13], v[0:1], off offset:512
	global_load_b128 v[14:17], v[0:1], off offset:1024
	;; [unrolled: 1-line block ×3, first 2 shown]
	s_wait_loadcnt 0x3
	v_fma_mixlo_f16 v6, s4, v6, 0
	v_fma_mixlo_f16 v7, s4, v7, 0
	;; [unrolled: 1-line block ×4, first 2 shown]
	s_wait_loadcnt 0x2
	v_fma_mixlo_f16 v10, s4, v10, 0
	v_fma_mixlo_f16 v11, s4, v11, 0
	;; [unrolled: 1-line block ×4, first 2 shown]
	s_wait_loadcnt 0x1
	v_fma_mixlo_f16 v14, s4, v14, 0
	v_fma_mixlo_f16 v15, s4, v15, 0
	s_wait_loadcnt 0x0
	v_fma_mixlo_f16 v18, s4, v18, 0
	v_fma_mixlo_f16 v19, s4, v19, 0
	v_lshlrev_b32_e32 v7, 16, v7
	v_and_b32_e32 v6, 0xffff, v6
	v_lshlrev_b32_e32 v9, 16, v9
	v_and_b32_e32 v8, 0xffff, v8
	;; [unrolled: 2-line block ×3, first 2 shown]
	v_fma_mixlo_f16 v16, s4, v16, 0
	v_fma_mixlo_f16 v17, s4, v17, 0
	;; [unrolled: 1-line block ×4, first 2 shown]
	v_lshlrev_b32_e32 v13, 16, v13
	v_and_b32_e32 v12, 0xffff, v12
	v_lshlrev_b32_e32 v15, 16, v15
	v_and_b32_e32 v14, 0xffff, v14
	;; [unrolled: 2-line block ×3, first 2 shown]
	v_or_b32_e32 v6, v7, v6
	v_or3_b32 v7, v9, v8, 0
	v_or_b32_e32 v8, v11, v10
	v_lshlrev_b32_e32 v17, 16, v17
	v_and_b32_e32 v16, 0xffff, v16
	v_lshlrev_b32_e32 v21, 16, v21
	v_and_b32_e32 v20, 0xffff, v20
	v_or3_b32 v9, v13, v12, 0
	v_or_b32_e32 v10, v15, v14
	v_or_b32_e32 v12, v19, v18
	v_or3_b32 v6, 0, 0, v6
	v_or3_b32 v8, 0, 0, v8
	;; [unrolled: 1-line block ×6, first 2 shown]
	ds_store_2addr_b64 v22, v[6:7], v[8:9] offset1:32
	ds_store_2addr_b64 v22, v[10:11], v[12:13] offset0:64 offset1:96
	s_and_saveexec_b32 s2, vcc_lo
	s_cbranch_execz .LBB26_6
; %bb.5:
	global_load_b128 v[6:9], v[0:1], off offset:2048
	v_mul_u32_u24_e32 v5, 0x480, v5
	s_delay_alu instid0(VALU_DEP_1)
	v_add_nc_u32_e32 v5, v4, v5
	s_wait_loadcnt 0x0
	v_fma_mixlo_f16 v0, s4, v7, 0
	v_fma_mixlo_f16 v1, s4, v6, 0
	;; [unrolled: 1-line block ×4, first 2 shown]
	s_delay_alu instid0(VALU_DEP_4) | instskip(NEXT) | instid1(VALU_DEP_4)
	v_lshlrev_b32_e32 v0, 16, v0
	v_and_b32_e32 v1, 0xffff, v1
	s_delay_alu instid0(VALU_DEP_4) | instskip(NEXT) | instid1(VALU_DEP_4)
	v_and_b32_e32 v6, 0xffff, v6
	v_lshlrev_b32_e32 v7, 16, v7
	s_delay_alu instid0(VALU_DEP_3) | instskip(NEXT) | instid1(VALU_DEP_2)
	v_or_b32_e32 v0, v0, v1
	v_or3_b32 v1, v7, v6, 0
	s_delay_alu instid0(VALU_DEP_2)
	v_or3_b32 v0, 0, 0, v0
	ds_store_b64 v5, v[0:1] offset:1024
.LBB26_6:
	s_wait_alu 0xfffe
	s_or_b32 exec_lo, exec_lo, s2
	s_cmp_eq_u64 s[14:15], 0
	s_wait_dscnt 0x0
	s_barrier_signal -1
	s_barrier_wait -1
	global_inv scope:SCOPE_SE
	s_cbranch_scc1 .LBB26_8
; %bb.7:
	s_load_b32 s2, s[0:1], 0xd0
	s_mov_b32 s5, 0
	s_wait_kmcnt 0x0
	s_mul_i32 s2, s2, s28
	s_wait_alu 0xfffe
	s_add_co_i32 s4, s2, ttmp9
	s_wait_alu 0xfffe
	s_lshl_b64 s[4:5], s[4:5], 2
	s_wait_alu 0xfffe
	s_add_nc_u64 s[4:5], s[14:15], s[4:5]
	s_load_b32 s30, s[4:5], 0x0
.LBB26_8:
	s_and_b32 s2, ttmp7, 0xffff
	v_lshlrev_b32_e32 v104, 2, v93
	v_mbcnt_lo_u32_b32 v106, -1, 0
	s_wait_alu 0xfffe
	s_lshl_b32 s4, s2, 6
	s_wait_kmcnt 0x0
	s_wait_alu 0xfffe
	s_cmp_lt_i32 s4, s30
	s_cbranch_scc1 .LBB26_11
; %bb.9:
	v_mbcnt_lo_u32_b32 v0, -1, 0
	v_mov_b32_e32 v107, 32
	s_delay_alu instid0(VALU_DEP_2)
	v_xor_b32_e32 v142, 16, v0
	v_xor_b32_e32 v138, 8, v0
	;; [unrolled: 1-line block ×5, first 2 shown]
	s_mov_b32 s29, 0
	s_cbranch_execz .LBB26_12
; %bb.10:
	v_dual_mov_b32 v129, 0 :: v_dual_mov_b32 v20, 0
	v_dual_mov_b32 v100, 0xfeffffff :: v_dual_mov_b32 v99, 0xfeffffff
	;; [unrolled: 1-line block ×10, first 2 shown]
	s_branch .LBB26_32
.LBB26_11:
                                        ; implicit-def: $vgpr0
                                        ; implicit-def: $vgpr107
                                        ; implicit-def: $vgpr142
                                        ; implicit-def: $vgpr138
                                        ; implicit-def: $vgpr139
                                        ; implicit-def: $vgpr140
                                        ; implicit-def: $vgpr141
	s_mov_b32 s29, 0
.LBB26_12:
	s_mul_f32 s5, s24, 0x4f7ffffe
	s_clause 0x1
	s_load_b128 s[24:27], s[0:1], 0x98
	s_load_b64 s[14:15], s[0:1], 0x8c
	s_sub_co_i32 s10, 0, s38
	v_lshrrev_b32_e32 v0, 3, v93
	s_cvt_u32_f32 s5, s5
	v_dual_mov_b32 v136, 0xfeffffff :: v_dual_and_b32 v9, 28, v104
	s_abs_i32 s36, s33
	s_wait_alu 0xfffe
	s_mul_i32 s10, s10, s5
	s_mov_b32 s11, s37
	s_wait_alu 0xfffe
	s_mul_hi_u32 s10, s5, s10
	s_clause 0x1
	s_load_b32 s31, s[0:1], 0x54
	s_load_b64 s[20:21], s[0:1], 0xa8
	s_add_co_i32 s10, s5, s10
	v_lshl_add_u32 v1, v3, 2, v0
	s_wait_alu 0xfffe
	s_mul_u64 s[10:11], s[36:37], s[10:11]
	v_dual_mov_b32 v120, 0 :: v_dual_lshlrev_b32 v5, 2, v9
	s_wait_alu 0xfffe
	s_mul_i32 s37, s11, s38
	s_ashr_i32 s40, s33, 31
	s_ashr_i32 s5, s39, 31
	s_wait_kmcnt 0x0
	s_ashr_i32 s10, s26, 2
	s_sub_co_i32 s26, s36, s37
	s_ashr_i32 s3, s3, 1
	s_wait_alu 0xfffe
	s_xor_b32 s5, s40, s5
	s_add_co_i32 s39, s11, 1
	s_ashr_i32 s14, s14, 2
	s_sub_co_i32 s36, s26, s38
	s_cmp_ge_u32 s26, s38
	v_mad_u32_u24 v8, 0x90, v1, v5
	v_mul_lo_u32 v5, s10, v3
	s_cselect_b32 s11, s39, s11
	s_cselect_b32 s26, s36, s26
	s_wait_alu 0xfffe
	s_add_co_i32 s36, s11, 1
	s_cmp_ge_u32 s26, s38
	v_mul_lo_u32 v0, s14, v1
	s_cselect_b32 s11, s36, s11
	s_mul_u64 s[24:25], s[24:25], s[28:29]
	v_ashrrev_i32_e32 v6, 31, v5
	s_wait_alu 0xfffe
	s_xor_b32 s11, s11, s5
	s_mul_u64 s[20:21], s[20:21], s[28:29]
	s_wait_alu 0xfffe
	s_sub_co_i32 s5, s11, s5
	s_add_nc_u64 s[6:7], s[6:7], s[24:25]
	s_wait_alu 0xfffe
	s_mul_i32 s24, s5, s27
	v_lshlrev_b64_e32 v[5:6], 2, v[5:6]
	s_add_nc_u64 s[8:9], s[8:9], s[20:21]
	s_wait_alu 0xfffe
	s_ashr_i32 s25, s24, 31
	v_lshl_add_u32 v7, s14, 5, v0
	v_dual_mov_b32 v107, 32 :: v_dual_lshlrev_b32 v10, 2, v104
	s_wait_alu 0xfffe
	s_add_nc_u64 s[8:9], s[8:9], s[24:25]
	v_mad_co_u64_u32 v[94:95], null, v2, s3, v[93:94]
	v_add_co_u32 v2, vcc_lo, s8, v5
	v_dual_mov_b32 v119, 0 :: v_dual_add_nc_u32 v108, 0x4800, v8
	v_ashrrev_i32_e32 v1, 31, v0
	v_dual_mov_b32 v124, 0 :: v_dual_add_nc_u32 v109, 0x5a00, v8
	v_ashrrev_i32_e32 v8, 31, v7
	v_lshl_add_u32 v11, v3, 10, v10
	v_lshl_add_u32 v111, v3, 8, 0x6c00
	s_wait_alu 0xfffd
	v_add_co_ci_u32_e64 v3, null, s9, v6, vcc_lo
	s_mul_i32 s36, s5, s15
	s_movk_i32 s5, 0x4800
	v_add_co_u32 v115, vcc_lo, v2, v10
	v_lshlrev_b64_e32 v[95:96], 2, v[0:1]
	v_lshlrev_b64_e32 v[97:98], 2, v[7:8]
	s_wait_alu 0xfffe
	v_mad_u32_u24 v110, 0x90, v93, s5
	v_dual_mov_b32 v123, 0 :: v_dual_add_nc_u32 v112, 0x4800, v11
	v_dual_mov_b32 v126, 0 :: v_dual_add_nc_u32 v113, 0x4a00, v11
	v_dual_mov_b32 v121, 0 :: v_dual_add_nc_u32 v114, 0x4800, v4
	s_wait_alu 0xfffd
	v_add_co_ci_u32_e64 v116, null, 0, v3, vcc_lo
	v_dual_mov_b32 v122, 0 :: v_dual_lshlrev_b32 v117, 2, v9
	v_dual_mov_b32 v125, 0 :: v_dual_mov_b32 v128, 0
	v_dual_mov_b32 v127, 0 :: v_dual_mov_b32 v130, 0
	;; [unrolled: 1-line block ×5, first 2 shown]
	v_mov_b32_e32 v137, 0xfeffffff
	v_mov_b32_e32 v135, 0
	s_ashr_i32 s37, s36, 31
	s_ashr_i32 s15, s14, 31
	s_add_nc_u64 s[6:7], s[6:7], s[36:37]
	s_ashr_i32 s11, s10, 31
	s_add_nc_u64 s[8:9], s[0:1], 0xd0
	s_mov_b32 s3, 0xbbbac73d
.LBB26_13:                              ; =>This Inner Loop Header: Depth=1
	s_ashr_i32 s5, s4, 31
	s_wait_alu 0xfffe
	s_mul_u64 s[20:21], s[4:5], s[14:15]
	s_wait_alu 0xfffe
	s_lshl_b64 s[20:21], s[20:21], 2
	s_wait_alu 0xfffe
	s_add_nc_u64 s[20:21], s[6:7], s[20:21]
	s_wait_alu 0xfffe
	v_add_co_u32 v0, vcc_lo, s20, v95
	s_wait_alu 0xfffd
	v_add_co_ci_u32_e64 v1, null, s21, v96, vcc_lo
	v_add_co_u32 v2, vcc_lo, s20, v97
	s_wait_alu 0xfffd
	v_add_co_ci_u32_e64 v3, null, s21, v98, vcc_lo
	;; [unrolled: 3-line block ×4, first 2 shown]
	s_clause 0x1
	global_load_b128 v[4:7], v[0:1], off
	global_load_b128 v[8:11], v[2:3], off
	s_wait_loadcnt 0x1
	ds_store_b128 v108, v[4:7]
	s_wait_loadcnt 0x0
	ds_store_b128 v109, v[8:11]
	s_wait_dscnt 0x0
	s_barrier_signal -1
	s_barrier_wait -1
	global_inv scope:SCOPE_SE
	ds_load_b128 v[8:11], v110
	ds_load_b128 v[12:15], v105
	ds_load_b128 v[16:19], v105 offset:1152
	ds_load_b128 v[20:23], v110 offset:4608
	v_dual_mov_b32 v6, 0 :: v_dual_mov_b32 v7, 0
	v_dual_mov_b32 v4, 0 :: v_dual_mov_b32 v5, 0
	s_wait_dscnt 0x2
	;;#ASMSTART
	v_dot2_f32_f16 v6, v8, v12, v6
	;;#ASMEND
	;;#ASMSTART
	v_dot2_f32_f16 v6, v9, v13, v6
	;;#ASMEND
	;;#ASMSTART
	v_dot2_f32_f16 v6, v10, v14, v6
	;;#ASMEND
	;;#ASMSTART
	v_dot2_f32_f16 v6, v11, v15, v6
	;;#ASMEND
	s_wait_dscnt 0x1
	;;#ASMSTART
	v_dot2_f32_f16 v4, v8, v16, v4
	;;#ASMEND
	;;#ASMSTART
	v_dot2_f32_f16 v4, v9, v17, v4
	;;#ASMEND
	;;#ASMSTART
	v_dot2_f32_f16 v4, v10, v18, v4
	;;#ASMEND
	;;#ASMSTART
	v_dot2_f32_f16 v4, v11, v19, v4
	;;#ASMEND
	s_wait_dscnt 0x0
	;;#ASMSTART
	v_dot2_f32_f16 v7, v20, v12, v7
	;;#ASMEND
	;;#ASMSTART
	v_dot2_f32_f16 v7, v21, v13, v7
	;;#ASMEND
	;;#ASMSTART
	v_dot2_f32_f16 v7, v22, v14, v7
	;;#ASMEND
	;;#ASMSTART
	v_dot2_f32_f16 v7, v23, v15, v7
	;;#ASMEND
	;;#ASMSTART
	v_dot2_f32_f16 v5, v20, v16, v5
	;;#ASMEND
	;;#ASMSTART
	v_dot2_f32_f16 v5, v21, v17, v5
	;;#ASMEND
	;;#ASMSTART
	v_dot2_f32_f16 v5, v22, v18, v5
	;;#ASMEND
	;;#ASMSTART
	v_dot2_f32_f16 v5, v23, v19, v5
	;;#ASMEND
	ds_load_b128 v[8:11], v110 offset:16
	ds_load_b128 v[12:15], v105 offset:16
	ds_load_b128 v[16:19], v105 offset:1168
	ds_load_b128 v[20:23], v110 offset:4624
	s_wait_dscnt 0x2
	;;#ASMSTART
	v_dot2_f32_f16 v6, v8, v12, v6
	;;#ASMEND
	;;#ASMSTART
	v_dot2_f32_f16 v6, v9, v13, v6
	;;#ASMEND
	;;#ASMSTART
	v_dot2_f32_f16 v6, v10, v14, v6
	;;#ASMEND
	;;#ASMSTART
	v_dot2_f32_f16 v6, v11, v15, v6
	;;#ASMEND
	s_wait_dscnt 0x1
	;;#ASMSTART
	v_dot2_f32_f16 v4, v8, v16, v4
	;;#ASMEND
	;;#ASMSTART
	v_dot2_f32_f16 v4, v9, v17, v4
	;;#ASMEND
	;;#ASMSTART
	v_dot2_f32_f16 v4, v10, v18, v4
	;;#ASMEND
	;;#ASMSTART
	v_dot2_f32_f16 v4, v11, v19, v4
	;;#ASMEND
	s_wait_dscnt 0x0
	;;#ASMSTART
	v_dot2_f32_f16 v7, v20, v12, v7
	;;#ASMEND
	;;#ASMSTART
	v_dot2_f32_f16 v7, v21, v13, v7
	;;#ASMEND
	;;#ASMSTART
	v_dot2_f32_f16 v7, v22, v14, v7
	;;#ASMEND
	;;#ASMSTART
	v_dot2_f32_f16 v7, v23, v15, v7
	;;#ASMEND
	;;#ASMSTART
	v_dot2_f32_f16 v5, v20, v16, v5
	;;#ASMEND
	;;#ASMSTART
	v_dot2_f32_f16 v5, v21, v17, v5
	;;#ASMEND
	;;#ASMSTART
	v_dot2_f32_f16 v5, v22, v18, v5
	;;#ASMEND
	;;#ASMSTART
	v_dot2_f32_f16 v5, v23, v19, v5
	;;#ASMEND
	ds_load_b128 v[8:11], v110 offset:32
	ds_load_b128 v[12:15], v105 offset:32
	ds_load_b128 v[16:19], v105 offset:1184
	ds_load_b128 v[20:23], v110 offset:4640
	;; [unrolled: 55-line block ×7, first 2 shown]
	s_wait_dscnt 0x2
	;;#ASMSTART
	v_dot2_f32_f16 v6, v8, v12, v6
	;;#ASMEND
	;;#ASMSTART
	v_dot2_f32_f16 v6, v9, v13, v6
	;;#ASMEND
	;;#ASMSTART
	v_dot2_f32_f16 v6, v10, v14, v6
	;;#ASMEND
	;;#ASMSTART
	v_dot2_f32_f16 v6, v11, v15, v6
	;;#ASMEND
	s_wait_dscnt 0x1
	;;#ASMSTART
	v_dot2_f32_f16 v4, v8, v16, v4
	;;#ASMEND
	;;#ASMSTART
	v_dot2_f32_f16 v4, v9, v17, v4
	;;#ASMEND
	;;#ASMSTART
	v_dot2_f32_f16 v4, v10, v18, v4
	;;#ASMEND
	;;#ASMSTART
	v_dot2_f32_f16 v4, v11, v19, v4
	;;#ASMEND
	;; [unrolled: 13-line block ×3, first 2 shown]
	;;#ASMSTART
	v_dot2_f32_f16 v5, v20, v16, v5
	;;#ASMEND
	;;#ASMSTART
	v_dot2_f32_f16 v5, v21, v17, v5
	;;#ASMEND
	;; [unrolled: 3-line block ×4, first 2 shown]
	s_wait_loadcnt 0x0
	s_barrier_signal -1
	s_barrier_wait -1
	global_inv scope:SCOPE_SE
	s_clause 0x1
	global_load_b128 v[8:11], v[0:1], off offset:128
	global_load_b128 v[12:15], v[2:3], off offset:128
	s_wait_loadcnt 0x1
	ds_store_b128 v108, v[8:11]
	s_wait_loadcnt 0x0
	ds_store_b128 v109, v[12:15]
	s_wait_dscnt 0x0
	s_barrier_signal -1
	s_barrier_wait -1
	global_inv scope:SCOPE_SE
	ds_load_b128 v[8:11], v110
	ds_load_b128 v[12:15], v105 offset:128
	ds_load_b128 v[16:19], v105 offset:1280
	ds_load_b128 v[20:23], v110 offset:4608
	s_wait_dscnt 0x2
	;;#ASMSTART
	v_dot2_f32_f16 v6, v8, v12, v6
	;;#ASMEND
	;;#ASMSTART
	v_dot2_f32_f16 v6, v9, v13, v6
	;;#ASMEND
	;;#ASMSTART
	v_dot2_f32_f16 v6, v10, v14, v6
	;;#ASMEND
	;;#ASMSTART
	v_dot2_f32_f16 v6, v11, v15, v6
	;;#ASMEND
	s_wait_dscnt 0x1
	;;#ASMSTART
	v_dot2_f32_f16 v4, v8, v16, v4
	;;#ASMEND
	;;#ASMSTART
	v_dot2_f32_f16 v4, v9, v17, v4
	;;#ASMEND
	;;#ASMSTART
	v_dot2_f32_f16 v4, v10, v18, v4
	;;#ASMEND
	;;#ASMSTART
	v_dot2_f32_f16 v4, v11, v19, v4
	;;#ASMEND
	s_wait_dscnt 0x0
	;;#ASMSTART
	v_dot2_f32_f16 v7, v20, v12, v7
	;;#ASMEND
	;;#ASMSTART
	v_dot2_f32_f16 v7, v21, v13, v7
	;;#ASMEND
	;;#ASMSTART
	v_dot2_f32_f16 v7, v22, v14, v7
	;;#ASMEND
	;;#ASMSTART
	v_dot2_f32_f16 v7, v23, v15, v7
	;;#ASMEND
	;;#ASMSTART
	v_dot2_f32_f16 v5, v20, v16, v5
	;;#ASMEND
	;;#ASMSTART
	v_dot2_f32_f16 v5, v21, v17, v5
	;;#ASMEND
	;;#ASMSTART
	v_dot2_f32_f16 v5, v22, v18, v5
	;;#ASMEND
	;;#ASMSTART
	v_dot2_f32_f16 v5, v23, v19, v5
	;;#ASMEND
	ds_load_b128 v[8:11], v110 offset:16
	ds_load_b128 v[12:15], v105 offset:144
	ds_load_b128 v[16:19], v105 offset:1296
	ds_load_b128 v[20:23], v110 offset:4624
	s_wait_dscnt 0x2
	;;#ASMSTART
	v_dot2_f32_f16 v6, v8, v12, v6
	;;#ASMEND
	;;#ASMSTART
	v_dot2_f32_f16 v6, v9, v13, v6
	;;#ASMEND
	;;#ASMSTART
	v_dot2_f32_f16 v6, v10, v14, v6
	;;#ASMEND
	;;#ASMSTART
	v_dot2_f32_f16 v6, v11, v15, v6
	;;#ASMEND
	s_wait_dscnt 0x1
	;;#ASMSTART
	v_dot2_f32_f16 v4, v8, v16, v4
	;;#ASMEND
	;;#ASMSTART
	v_dot2_f32_f16 v4, v9, v17, v4
	;;#ASMEND
	;;#ASMSTART
	v_dot2_f32_f16 v4, v10, v18, v4
	;;#ASMEND
	;;#ASMSTART
	v_dot2_f32_f16 v4, v11, v19, v4
	;;#ASMEND
	s_wait_dscnt 0x0
	;;#ASMSTART
	v_dot2_f32_f16 v7, v20, v12, v7
	;;#ASMEND
	;;#ASMSTART
	v_dot2_f32_f16 v7, v21, v13, v7
	;;#ASMEND
	;;#ASMSTART
	v_dot2_f32_f16 v7, v22, v14, v7
	;;#ASMEND
	;;#ASMSTART
	v_dot2_f32_f16 v7, v23, v15, v7
	;;#ASMEND
	;;#ASMSTART
	v_dot2_f32_f16 v5, v20, v16, v5
	;;#ASMEND
	;;#ASMSTART
	v_dot2_f32_f16 v5, v21, v17, v5
	;;#ASMEND
	;;#ASMSTART
	v_dot2_f32_f16 v5, v22, v18, v5
	;;#ASMEND
	;;#ASMSTART
	v_dot2_f32_f16 v5, v23, v19, v5
	;;#ASMEND
	ds_load_b128 v[8:11], v110 offset:32
	;; [unrolled: 55-line block ×7, first 2 shown]
	ds_load_b128 v[12:15], v105 offset:240
	ds_load_b128 v[16:19], v105 offset:1392
	;; [unrolled: 1-line block ×3, first 2 shown]
	s_wait_dscnt 0x2
	;;#ASMSTART
	v_dot2_f32_f16 v6, v8, v12, v6
	;;#ASMEND
	;;#ASMSTART
	v_dot2_f32_f16 v6, v9, v13, v6
	;;#ASMEND
	;;#ASMSTART
	v_dot2_f32_f16 v6, v10, v14, v6
	;;#ASMEND
	;;#ASMSTART
	v_dot2_f32_f16 v6, v11, v15, v6
	;;#ASMEND
	s_wait_dscnt 0x1
	;;#ASMSTART
	v_dot2_f32_f16 v4, v8, v16, v4
	;;#ASMEND
	;;#ASMSTART
	v_dot2_f32_f16 v4, v9, v17, v4
	;;#ASMEND
	;;#ASMSTART
	v_dot2_f32_f16 v4, v10, v18, v4
	;;#ASMEND
	;;#ASMSTART
	v_dot2_f32_f16 v4, v11, v19, v4
	;;#ASMEND
	;; [unrolled: 13-line block ×3, first 2 shown]
	;;#ASMSTART
	v_dot2_f32_f16 v5, v20, v16, v5
	;;#ASMEND
	;;#ASMSTART
	v_dot2_f32_f16 v5, v21, v17, v5
	;;#ASMEND
	;; [unrolled: 3-line block ×4, first 2 shown]
	s_wait_loadcnt 0x0
	s_barrier_signal -1
	s_barrier_wait -1
	global_inv scope:SCOPE_SE
	s_clause 0x1
	global_load_b128 v[8:11], v[0:1], off offset:256
	global_load_b128 v[12:15], v[2:3], off offset:256
	s_wait_loadcnt 0x1
	ds_store_b128 v108, v[8:11]
	s_wait_loadcnt 0x0
	ds_store_b128 v109, v[12:15]
	s_wait_dscnt 0x0
	s_barrier_signal -1
	s_barrier_wait -1
	global_inv scope:SCOPE_SE
	ds_load_b128 v[8:11], v110
	ds_load_b128 v[12:15], v105 offset:256
	ds_load_b128 v[16:19], v105 offset:1408
	ds_load_b128 v[20:23], v110 offset:4608
	s_wait_dscnt 0x2
	;;#ASMSTART
	v_dot2_f32_f16 v6, v8, v12, v6
	;;#ASMEND
	;;#ASMSTART
	v_dot2_f32_f16 v6, v9, v13, v6
	;;#ASMEND
	;;#ASMSTART
	v_dot2_f32_f16 v6, v10, v14, v6
	;;#ASMEND
	;;#ASMSTART
	v_dot2_f32_f16 v6, v11, v15, v6
	;;#ASMEND
	s_wait_dscnt 0x1
	;;#ASMSTART
	v_dot2_f32_f16 v4, v8, v16, v4
	;;#ASMEND
	;;#ASMSTART
	v_dot2_f32_f16 v4, v9, v17, v4
	;;#ASMEND
	;;#ASMSTART
	v_dot2_f32_f16 v4, v10, v18, v4
	;;#ASMEND
	;;#ASMSTART
	v_dot2_f32_f16 v4, v11, v19, v4
	;;#ASMEND
	s_wait_dscnt 0x0
	;;#ASMSTART
	v_dot2_f32_f16 v7, v20, v12, v7
	;;#ASMEND
	;;#ASMSTART
	v_dot2_f32_f16 v7, v21, v13, v7
	;;#ASMEND
	;;#ASMSTART
	v_dot2_f32_f16 v7, v22, v14, v7
	;;#ASMEND
	;;#ASMSTART
	v_dot2_f32_f16 v7, v23, v15, v7
	;;#ASMEND
	;;#ASMSTART
	v_dot2_f32_f16 v5, v20, v16, v5
	;;#ASMEND
	;;#ASMSTART
	v_dot2_f32_f16 v5, v21, v17, v5
	;;#ASMEND
	;;#ASMSTART
	v_dot2_f32_f16 v5, v22, v18, v5
	;;#ASMEND
	;;#ASMSTART
	v_dot2_f32_f16 v5, v23, v19, v5
	;;#ASMEND
	ds_load_b128 v[8:11], v110 offset:16
	ds_load_b128 v[12:15], v105 offset:272
	ds_load_b128 v[16:19], v105 offset:1424
	ds_load_b128 v[20:23], v110 offset:4624
	s_wait_dscnt 0x2
	;;#ASMSTART
	v_dot2_f32_f16 v6, v8, v12, v6
	;;#ASMEND
	;;#ASMSTART
	v_dot2_f32_f16 v6, v9, v13, v6
	;;#ASMEND
	;;#ASMSTART
	v_dot2_f32_f16 v6, v10, v14, v6
	;;#ASMEND
	;;#ASMSTART
	v_dot2_f32_f16 v6, v11, v15, v6
	;;#ASMEND
	s_wait_dscnt 0x1
	;;#ASMSTART
	v_dot2_f32_f16 v4, v8, v16, v4
	;;#ASMEND
	;;#ASMSTART
	v_dot2_f32_f16 v4, v9, v17, v4
	;;#ASMEND
	;;#ASMSTART
	v_dot2_f32_f16 v4, v10, v18, v4
	;;#ASMEND
	;;#ASMSTART
	v_dot2_f32_f16 v4, v11, v19, v4
	;;#ASMEND
	s_wait_dscnt 0x0
	;;#ASMSTART
	v_dot2_f32_f16 v7, v20, v12, v7
	;;#ASMEND
	;;#ASMSTART
	v_dot2_f32_f16 v7, v21, v13, v7
	;;#ASMEND
	;;#ASMSTART
	v_dot2_f32_f16 v7, v22, v14, v7
	;;#ASMEND
	;;#ASMSTART
	v_dot2_f32_f16 v7, v23, v15, v7
	;;#ASMEND
	;;#ASMSTART
	v_dot2_f32_f16 v5, v20, v16, v5
	;;#ASMEND
	;;#ASMSTART
	v_dot2_f32_f16 v5, v21, v17, v5
	;;#ASMEND
	;;#ASMSTART
	v_dot2_f32_f16 v5, v22, v18, v5
	;;#ASMEND
	;;#ASMSTART
	v_dot2_f32_f16 v5, v23, v19, v5
	;;#ASMEND
	ds_load_b128 v[8:11], v110 offset:32
	;; [unrolled: 55-line block ×7, first 2 shown]
	ds_load_b128 v[12:15], v105 offset:368
	ds_load_b128 v[16:19], v105 offset:1520
	;; [unrolled: 1-line block ×3, first 2 shown]
	s_wait_dscnt 0x2
	;;#ASMSTART
	v_dot2_f32_f16 v6, v8, v12, v6
	;;#ASMEND
	;;#ASMSTART
	v_dot2_f32_f16 v6, v9, v13, v6
	;;#ASMEND
	;;#ASMSTART
	v_dot2_f32_f16 v6, v10, v14, v6
	;;#ASMEND
	;;#ASMSTART
	v_dot2_f32_f16 v6, v11, v15, v6
	;;#ASMEND
	s_wait_dscnt 0x1
	;;#ASMSTART
	v_dot2_f32_f16 v4, v8, v16, v4
	;;#ASMEND
	;;#ASMSTART
	v_dot2_f32_f16 v4, v9, v17, v4
	;;#ASMEND
	;;#ASMSTART
	v_dot2_f32_f16 v4, v10, v18, v4
	;;#ASMEND
	;;#ASMSTART
	v_dot2_f32_f16 v4, v11, v19, v4
	;;#ASMEND
	;; [unrolled: 13-line block ×3, first 2 shown]
	;;#ASMSTART
	v_dot2_f32_f16 v5, v20, v16, v5
	;;#ASMEND
	;;#ASMSTART
	v_dot2_f32_f16 v5, v21, v17, v5
	;;#ASMEND
	;; [unrolled: 3-line block ×4, first 2 shown]
	s_wait_loadcnt 0x0
	s_barrier_signal -1
	s_barrier_wait -1
	global_inv scope:SCOPE_SE
	s_clause 0x1
	global_load_b128 v[8:11], v[0:1], off offset:384
	global_load_b128 v[12:15], v[2:3], off offset:384
	s_wait_loadcnt 0x1
	ds_store_b128 v108, v[8:11]
	s_wait_loadcnt 0x0
	ds_store_b128 v109, v[12:15]
	s_wait_dscnt 0x0
	s_barrier_signal -1
	s_barrier_wait -1
	global_inv scope:SCOPE_SE
	ds_load_b128 v[8:11], v110
	ds_load_b128 v[12:15], v105 offset:384
	ds_load_b128 v[16:19], v105 offset:1536
	ds_load_b128 v[20:23], v110 offset:4608
	s_wait_dscnt 0x2
	;;#ASMSTART
	v_dot2_f32_f16 v6, v8, v12, v6
	;;#ASMEND
	;;#ASMSTART
	v_dot2_f32_f16 v6, v9, v13, v6
	;;#ASMEND
	;;#ASMSTART
	v_dot2_f32_f16 v6, v10, v14, v6
	;;#ASMEND
	;;#ASMSTART
	v_dot2_f32_f16 v6, v11, v15, v6
	;;#ASMEND
	s_wait_dscnt 0x1
	;;#ASMSTART
	v_dot2_f32_f16 v4, v8, v16, v4
	;;#ASMEND
	;;#ASMSTART
	v_dot2_f32_f16 v4, v9, v17, v4
	;;#ASMEND
	;;#ASMSTART
	v_dot2_f32_f16 v4, v10, v18, v4
	;;#ASMEND
	;;#ASMSTART
	v_dot2_f32_f16 v4, v11, v19, v4
	;;#ASMEND
	s_wait_dscnt 0x0
	;;#ASMSTART
	v_dot2_f32_f16 v7, v20, v12, v7
	;;#ASMEND
	;;#ASMSTART
	v_dot2_f32_f16 v7, v21, v13, v7
	;;#ASMEND
	;;#ASMSTART
	v_dot2_f32_f16 v7, v22, v14, v7
	;;#ASMEND
	;;#ASMSTART
	v_dot2_f32_f16 v7, v23, v15, v7
	;;#ASMEND
	;;#ASMSTART
	v_dot2_f32_f16 v5, v20, v16, v5
	;;#ASMEND
	;;#ASMSTART
	v_dot2_f32_f16 v5, v21, v17, v5
	;;#ASMEND
	;;#ASMSTART
	v_dot2_f32_f16 v5, v22, v18, v5
	;;#ASMEND
	;;#ASMSTART
	v_dot2_f32_f16 v5, v23, v19, v5
	;;#ASMEND
	ds_load_b128 v[8:11], v110 offset:16
	ds_load_b128 v[12:15], v105 offset:400
	ds_load_b128 v[16:19], v105 offset:1552
	ds_load_b128 v[20:23], v110 offset:4624
	s_wait_dscnt 0x2
	;;#ASMSTART
	v_dot2_f32_f16 v6, v8, v12, v6
	;;#ASMEND
	;;#ASMSTART
	v_dot2_f32_f16 v6, v9, v13, v6
	;;#ASMEND
	;;#ASMSTART
	v_dot2_f32_f16 v6, v10, v14, v6
	;;#ASMEND
	;;#ASMSTART
	v_dot2_f32_f16 v6, v11, v15, v6
	;;#ASMEND
	s_wait_dscnt 0x1
	;;#ASMSTART
	v_dot2_f32_f16 v4, v8, v16, v4
	;;#ASMEND
	;;#ASMSTART
	v_dot2_f32_f16 v4, v9, v17, v4
	;;#ASMEND
	;;#ASMSTART
	v_dot2_f32_f16 v4, v10, v18, v4
	;;#ASMEND
	;;#ASMSTART
	v_dot2_f32_f16 v4, v11, v19, v4
	;;#ASMEND
	s_wait_dscnt 0x0
	;;#ASMSTART
	v_dot2_f32_f16 v7, v20, v12, v7
	;;#ASMEND
	;;#ASMSTART
	v_dot2_f32_f16 v7, v21, v13, v7
	;;#ASMEND
	;;#ASMSTART
	v_dot2_f32_f16 v7, v22, v14, v7
	;;#ASMEND
	;;#ASMSTART
	v_dot2_f32_f16 v7, v23, v15, v7
	;;#ASMEND
	;;#ASMSTART
	v_dot2_f32_f16 v5, v20, v16, v5
	;;#ASMEND
	;;#ASMSTART
	v_dot2_f32_f16 v5, v21, v17, v5
	;;#ASMEND
	;;#ASMSTART
	v_dot2_f32_f16 v5, v22, v18, v5
	;;#ASMEND
	;;#ASMSTART
	v_dot2_f32_f16 v5, v23, v19, v5
	;;#ASMEND
	ds_load_b128 v[8:11], v110 offset:32
	ds_load_b128 v[12:15], v105 offset:416
	ds_load_b128 v[16:19], v105 offset:1568
	ds_load_b128 v[20:23], v110 offset:4640
	s_wait_dscnt 0x2
	;;#ASMSTART
	v_dot2_f32_f16 v6, v8, v12, v6
	;;#ASMEND
	;;#ASMSTART
	v_dot2_f32_f16 v6, v9, v13, v6
	;;#ASMEND
	;;#ASMSTART
	v_dot2_f32_f16 v6, v10, v14, v6
	;;#ASMEND
	;;#ASMSTART
	v_dot2_f32_f16 v6, v11, v15, v6
	;;#ASMEND
	s_wait_dscnt 0x1
	;;#ASMSTART
	v_dot2_f32_f16 v4, v8, v16, v4
	;;#ASMEND
	;;#ASMSTART
	v_dot2_f32_f16 v4, v9, v17, v4
	;;#ASMEND
	;;#ASMSTART
	v_dot2_f32_f16 v4, v10, v18, v4
	;;#ASMEND
	;;#ASMSTART
	v_dot2_f32_f16 v4, v11, v19, v4
	;;#ASMEND
	s_wait_dscnt 0x0
	;;#ASMSTART
	v_dot2_f32_f16 v7, v20, v12, v7
	;;#ASMEND
	;;#ASMSTART
	v_dot2_f32_f16 v7, v21, v13, v7
	;;#ASMEND
	;;#ASMSTART
	v_dot2_f32_f16 v7, v22, v14, v7
	;;#ASMEND
	;;#ASMSTART
	v_dot2_f32_f16 v7, v23, v15, v7
	;;#ASMEND
	;;#ASMSTART
	v_dot2_f32_f16 v5, v20, v16, v5
	;;#ASMEND
	;;#ASMSTART
	v_dot2_f32_f16 v5, v21, v17, v5
	;;#ASMEND
	;;#ASMSTART
	v_dot2_f32_f16 v5, v22, v18, v5
	;;#ASMEND
	;;#ASMSTART
	v_dot2_f32_f16 v5, v23, v19, v5
	;;#ASMEND
	ds_load_b128 v[8:11], v110 offset:48
	ds_load_b128 v[12:15], v105 offset:432
	ds_load_b128 v[16:19], v105 offset:1584
	ds_load_b128 v[20:23], v110 offset:4656
	s_wait_dscnt 0x2
	;;#ASMSTART
	v_dot2_f32_f16 v6, v8, v12, v6
	;;#ASMEND
	;;#ASMSTART
	v_dot2_f32_f16 v6, v9, v13, v6
	;;#ASMEND
	;;#ASMSTART
	v_dot2_f32_f16 v6, v10, v14, v6
	;;#ASMEND
	;;#ASMSTART
	v_dot2_f32_f16 v6, v11, v15, v6
	;;#ASMEND
	s_wait_dscnt 0x1
	;;#ASMSTART
	v_dot2_f32_f16 v4, v8, v16, v4
	;;#ASMEND
	;;#ASMSTART
	v_dot2_f32_f16 v4, v9, v17, v4
	;;#ASMEND
	;;#ASMSTART
	v_dot2_f32_f16 v4, v10, v18, v4
	;;#ASMEND
	;;#ASMSTART
	v_dot2_f32_f16 v4, v11, v19, v4
	;;#ASMEND
	s_wait_dscnt 0x0
	;;#ASMSTART
	v_dot2_f32_f16 v7, v20, v12, v7
	;;#ASMEND
	;;#ASMSTART
	v_dot2_f32_f16 v7, v21, v13, v7
	;;#ASMEND
	;;#ASMSTART
	v_dot2_f32_f16 v7, v22, v14, v7
	;;#ASMEND
	;;#ASMSTART
	v_dot2_f32_f16 v7, v23, v15, v7
	;;#ASMEND
	;;#ASMSTART
	v_dot2_f32_f16 v5, v20, v16, v5
	;;#ASMEND
	;;#ASMSTART
	v_dot2_f32_f16 v5, v21, v17, v5
	;;#ASMEND
	;;#ASMSTART
	v_dot2_f32_f16 v5, v22, v18, v5
	;;#ASMEND
	;;#ASMSTART
	v_dot2_f32_f16 v5, v23, v19, v5
	;;#ASMEND
	ds_load_b128 v[8:11], v110 offset:64
	ds_load_b128 v[12:15], v105 offset:448
	ds_load_b128 v[16:19], v105 offset:1600
	ds_load_b128 v[20:23], v110 offset:4672
	s_wait_dscnt 0x2
	;;#ASMSTART
	v_dot2_f32_f16 v6, v8, v12, v6
	;;#ASMEND
	;;#ASMSTART
	v_dot2_f32_f16 v6, v9, v13, v6
	;;#ASMEND
	;;#ASMSTART
	v_dot2_f32_f16 v6, v10, v14, v6
	;;#ASMEND
	;;#ASMSTART
	v_dot2_f32_f16 v6, v11, v15, v6
	;;#ASMEND
	s_wait_dscnt 0x1
	;;#ASMSTART
	v_dot2_f32_f16 v4, v8, v16, v4
	;;#ASMEND
	;;#ASMSTART
	v_dot2_f32_f16 v4, v9, v17, v4
	;;#ASMEND
	;;#ASMSTART
	v_dot2_f32_f16 v4, v10, v18, v4
	;;#ASMEND
	;;#ASMSTART
	v_dot2_f32_f16 v4, v11, v19, v4
	;;#ASMEND
	s_wait_dscnt 0x0
	;;#ASMSTART
	v_dot2_f32_f16 v7, v20, v12, v7
	;;#ASMEND
	;;#ASMSTART
	v_dot2_f32_f16 v7, v21, v13, v7
	;;#ASMEND
	;;#ASMSTART
	v_dot2_f32_f16 v7, v22, v14, v7
	;;#ASMEND
	;;#ASMSTART
	v_dot2_f32_f16 v7, v23, v15, v7
	;;#ASMEND
	;;#ASMSTART
	v_dot2_f32_f16 v5, v20, v16, v5
	;;#ASMEND
	;;#ASMSTART
	v_dot2_f32_f16 v5, v21, v17, v5
	;;#ASMEND
	;;#ASMSTART
	v_dot2_f32_f16 v5, v22, v18, v5
	;;#ASMEND
	;;#ASMSTART
	v_dot2_f32_f16 v5, v23, v19, v5
	;;#ASMEND
	ds_load_b128 v[8:11], v110 offset:80
	ds_load_b128 v[12:15], v105 offset:464
	ds_load_b128 v[16:19], v105 offset:1616
	ds_load_b128 v[20:23], v110 offset:4688
	s_wait_dscnt 0x2
	;;#ASMSTART
	v_dot2_f32_f16 v6, v8, v12, v6
	;;#ASMEND
	;;#ASMSTART
	v_dot2_f32_f16 v6, v9, v13, v6
	;;#ASMEND
	;;#ASMSTART
	v_dot2_f32_f16 v6, v10, v14, v6
	;;#ASMEND
	;;#ASMSTART
	v_dot2_f32_f16 v6, v11, v15, v6
	;;#ASMEND
	s_wait_dscnt 0x1
	;;#ASMSTART
	v_dot2_f32_f16 v4, v8, v16, v4
	;;#ASMEND
	;;#ASMSTART
	v_dot2_f32_f16 v4, v9, v17, v4
	;;#ASMEND
	;;#ASMSTART
	v_dot2_f32_f16 v4, v10, v18, v4
	;;#ASMEND
	;;#ASMSTART
	v_dot2_f32_f16 v4, v11, v19, v4
	;;#ASMEND
	s_wait_dscnt 0x0
	;;#ASMSTART
	v_dot2_f32_f16 v7, v20, v12, v7
	;;#ASMEND
	;;#ASMSTART
	v_dot2_f32_f16 v7, v21, v13, v7
	;;#ASMEND
	;;#ASMSTART
	v_dot2_f32_f16 v7, v22, v14, v7
	;;#ASMEND
	;;#ASMSTART
	v_dot2_f32_f16 v7, v23, v15, v7
	;;#ASMEND
	;;#ASMSTART
	v_dot2_f32_f16 v5, v20, v16, v5
	;;#ASMEND
	;;#ASMSTART
	v_dot2_f32_f16 v5, v21, v17, v5
	;;#ASMEND
	;;#ASMSTART
	v_dot2_f32_f16 v5, v22, v18, v5
	;;#ASMEND
	;;#ASMSTART
	v_dot2_f32_f16 v5, v23, v19, v5
	;;#ASMEND
	ds_load_b128 v[8:11], v110 offset:96
	ds_load_b128 v[12:15], v105 offset:480
	ds_load_b128 v[16:19], v105 offset:1632
	ds_load_b128 v[20:23], v110 offset:4704
	s_wait_dscnt 0x2
	;;#ASMSTART
	v_dot2_f32_f16 v6, v8, v12, v6
	;;#ASMEND
	;;#ASMSTART
	v_dot2_f32_f16 v6, v9, v13, v6
	;;#ASMEND
	;;#ASMSTART
	v_dot2_f32_f16 v6, v10, v14, v6
	;;#ASMEND
	;;#ASMSTART
	v_dot2_f32_f16 v6, v11, v15, v6
	;;#ASMEND
	s_wait_dscnt 0x1
	;;#ASMSTART
	v_dot2_f32_f16 v4, v8, v16, v4
	;;#ASMEND
	;;#ASMSTART
	v_dot2_f32_f16 v4, v9, v17, v4
	;;#ASMEND
	;;#ASMSTART
	v_dot2_f32_f16 v4, v10, v18, v4
	;;#ASMEND
	;;#ASMSTART
	v_dot2_f32_f16 v4, v11, v19, v4
	;;#ASMEND
	s_wait_dscnt 0x0
	;;#ASMSTART
	v_dot2_f32_f16 v7, v20, v12, v7
	;;#ASMEND
	;;#ASMSTART
	v_dot2_f32_f16 v7, v21, v13, v7
	;;#ASMEND
	;;#ASMSTART
	v_dot2_f32_f16 v7, v22, v14, v7
	;;#ASMEND
	;;#ASMSTART
	v_dot2_f32_f16 v7, v23, v15, v7
	;;#ASMEND
	;;#ASMSTART
	v_dot2_f32_f16 v5, v20, v16, v5
	;;#ASMEND
	;;#ASMSTART
	v_dot2_f32_f16 v5, v21, v17, v5
	;;#ASMEND
	;;#ASMSTART
	v_dot2_f32_f16 v5, v22, v18, v5
	;;#ASMEND
	;;#ASMSTART
	v_dot2_f32_f16 v5, v23, v19, v5
	;;#ASMEND
	ds_load_b128 v[8:11], v110 offset:112
	ds_load_b128 v[12:15], v105 offset:496
	ds_load_b128 v[16:19], v105 offset:1648
	;; [unrolled: 1-line block ×3, first 2 shown]
	s_wait_dscnt 0x2
	;;#ASMSTART
	v_dot2_f32_f16 v6, v8, v12, v6
	;;#ASMEND
	;;#ASMSTART
	v_dot2_f32_f16 v6, v9, v13, v6
	;;#ASMEND
	;;#ASMSTART
	v_dot2_f32_f16 v6, v10, v14, v6
	;;#ASMEND
	;;#ASMSTART
	v_dot2_f32_f16 v6, v11, v15, v6
	;;#ASMEND
	s_wait_dscnt 0x1
	;;#ASMSTART
	v_dot2_f32_f16 v4, v8, v16, v4
	;;#ASMEND
	;;#ASMSTART
	v_dot2_f32_f16 v4, v9, v17, v4
	;;#ASMEND
	;;#ASMSTART
	v_dot2_f32_f16 v4, v10, v18, v4
	;;#ASMEND
	;;#ASMSTART
	v_dot2_f32_f16 v4, v11, v19, v4
	;;#ASMEND
	;; [unrolled: 13-line block ×3, first 2 shown]
	;;#ASMSTART
	v_dot2_f32_f16 v5, v20, v16, v5
	;;#ASMEND
	;;#ASMSTART
	v_dot2_f32_f16 v5, v21, v17, v5
	;;#ASMEND
	;; [unrolled: 3-line block ×4, first 2 shown]
	s_wait_loadcnt 0x0
	s_barrier_signal -1
	s_barrier_wait -1
	global_inv scope:SCOPE_SE
	s_clause 0x1
	global_load_b128 v[8:11], v[0:1], off offset:512
	global_load_b128 v[12:15], v[2:3], off offset:512
	s_wait_loadcnt 0x1
	ds_store_b128 v108, v[8:11]
	s_wait_loadcnt 0x0
	ds_store_b128 v109, v[12:15]
	s_wait_dscnt 0x0
	s_barrier_signal -1
	s_barrier_wait -1
	global_inv scope:SCOPE_SE
	ds_load_b128 v[8:11], v110
	ds_load_b128 v[12:15], v105 offset:512
	ds_load_b128 v[16:19], v105 offset:1664
	ds_load_b128 v[20:23], v110 offset:4608
	s_wait_dscnt 0x2
	;;#ASMSTART
	v_dot2_f32_f16 v6, v8, v12, v6
	;;#ASMEND
	;;#ASMSTART
	v_dot2_f32_f16 v6, v9, v13, v6
	;;#ASMEND
	;;#ASMSTART
	v_dot2_f32_f16 v6, v10, v14, v6
	;;#ASMEND
	;;#ASMSTART
	v_dot2_f32_f16 v6, v11, v15, v6
	;;#ASMEND
	s_wait_dscnt 0x1
	;;#ASMSTART
	v_dot2_f32_f16 v4, v8, v16, v4
	;;#ASMEND
	;;#ASMSTART
	v_dot2_f32_f16 v4, v9, v17, v4
	;;#ASMEND
	;;#ASMSTART
	v_dot2_f32_f16 v4, v10, v18, v4
	;;#ASMEND
	;;#ASMSTART
	v_dot2_f32_f16 v4, v11, v19, v4
	;;#ASMEND
	s_wait_dscnt 0x0
	;;#ASMSTART
	v_dot2_f32_f16 v7, v20, v12, v7
	;;#ASMEND
	;;#ASMSTART
	v_dot2_f32_f16 v7, v21, v13, v7
	;;#ASMEND
	;;#ASMSTART
	v_dot2_f32_f16 v7, v22, v14, v7
	;;#ASMEND
	;;#ASMSTART
	v_dot2_f32_f16 v7, v23, v15, v7
	;;#ASMEND
	;;#ASMSTART
	v_dot2_f32_f16 v5, v20, v16, v5
	;;#ASMEND
	;;#ASMSTART
	v_dot2_f32_f16 v5, v21, v17, v5
	;;#ASMEND
	;;#ASMSTART
	v_dot2_f32_f16 v5, v22, v18, v5
	;;#ASMEND
	;;#ASMSTART
	v_dot2_f32_f16 v5, v23, v19, v5
	;;#ASMEND
	ds_load_b128 v[8:11], v110 offset:16
	ds_load_b128 v[12:15], v105 offset:528
	ds_load_b128 v[16:19], v105 offset:1680
	ds_load_b128 v[20:23], v110 offset:4624
	s_wait_dscnt 0x2
	;;#ASMSTART
	v_dot2_f32_f16 v6, v8, v12, v6
	;;#ASMEND
	;;#ASMSTART
	v_dot2_f32_f16 v6, v9, v13, v6
	;;#ASMEND
	;;#ASMSTART
	v_dot2_f32_f16 v6, v10, v14, v6
	;;#ASMEND
	;;#ASMSTART
	v_dot2_f32_f16 v6, v11, v15, v6
	;;#ASMEND
	s_wait_dscnt 0x1
	;;#ASMSTART
	v_dot2_f32_f16 v4, v8, v16, v4
	;;#ASMEND
	;;#ASMSTART
	v_dot2_f32_f16 v4, v9, v17, v4
	;;#ASMEND
	;;#ASMSTART
	v_dot2_f32_f16 v4, v10, v18, v4
	;;#ASMEND
	;;#ASMSTART
	v_dot2_f32_f16 v4, v11, v19, v4
	;;#ASMEND
	s_wait_dscnt 0x0
	;;#ASMSTART
	v_dot2_f32_f16 v7, v20, v12, v7
	;;#ASMEND
	;;#ASMSTART
	v_dot2_f32_f16 v7, v21, v13, v7
	;;#ASMEND
	;;#ASMSTART
	v_dot2_f32_f16 v7, v22, v14, v7
	;;#ASMEND
	;;#ASMSTART
	v_dot2_f32_f16 v7, v23, v15, v7
	;;#ASMEND
	;;#ASMSTART
	v_dot2_f32_f16 v5, v20, v16, v5
	;;#ASMEND
	;;#ASMSTART
	v_dot2_f32_f16 v5, v21, v17, v5
	;;#ASMEND
	;;#ASMSTART
	v_dot2_f32_f16 v5, v22, v18, v5
	;;#ASMEND
	;;#ASMSTART
	v_dot2_f32_f16 v5, v23, v19, v5
	;;#ASMEND
	ds_load_b128 v[8:11], v110 offset:32
	;; [unrolled: 55-line block ×7, first 2 shown]
	ds_load_b128 v[12:15], v105 offset:624
	ds_load_b128 v[16:19], v105 offset:1776
	;; [unrolled: 1-line block ×3, first 2 shown]
	s_wait_dscnt 0x2
	;;#ASMSTART
	v_dot2_f32_f16 v6, v8, v12, v6
	;;#ASMEND
	;;#ASMSTART
	v_dot2_f32_f16 v6, v9, v13, v6
	;;#ASMEND
	;;#ASMSTART
	v_dot2_f32_f16 v6, v10, v14, v6
	;;#ASMEND
	;;#ASMSTART
	v_dot2_f32_f16 v6, v11, v15, v6
	;;#ASMEND
	s_wait_dscnt 0x1
	;;#ASMSTART
	v_dot2_f32_f16 v4, v8, v16, v4
	;;#ASMEND
	;;#ASMSTART
	v_dot2_f32_f16 v4, v9, v17, v4
	;;#ASMEND
	;;#ASMSTART
	v_dot2_f32_f16 v4, v10, v18, v4
	;;#ASMEND
	;;#ASMSTART
	v_dot2_f32_f16 v4, v11, v19, v4
	;;#ASMEND
	;; [unrolled: 13-line block ×3, first 2 shown]
	;;#ASMSTART
	v_dot2_f32_f16 v5, v20, v16, v5
	;;#ASMEND
	;;#ASMSTART
	v_dot2_f32_f16 v5, v21, v17, v5
	;;#ASMEND
	;; [unrolled: 3-line block ×4, first 2 shown]
	s_wait_loadcnt 0x0
	s_barrier_signal -1
	s_barrier_wait -1
	global_inv scope:SCOPE_SE
	s_clause 0x1
	global_load_b128 v[8:11], v[0:1], off offset:640
	global_load_b128 v[12:15], v[2:3], off offset:640
	s_wait_loadcnt 0x1
	ds_store_b128 v108, v[8:11]
	s_wait_loadcnt 0x0
	ds_store_b128 v109, v[12:15]
	s_wait_dscnt 0x0
	s_barrier_signal -1
	s_barrier_wait -1
	global_inv scope:SCOPE_SE
	ds_load_b128 v[8:11], v110
	ds_load_b128 v[12:15], v105 offset:640
	ds_load_b128 v[16:19], v105 offset:1792
	ds_load_b128 v[20:23], v110 offset:4608
	s_wait_dscnt 0x2
	;;#ASMSTART
	v_dot2_f32_f16 v6, v8, v12, v6
	;;#ASMEND
	;;#ASMSTART
	v_dot2_f32_f16 v6, v9, v13, v6
	;;#ASMEND
	;;#ASMSTART
	v_dot2_f32_f16 v6, v10, v14, v6
	;;#ASMEND
	;;#ASMSTART
	v_dot2_f32_f16 v6, v11, v15, v6
	;;#ASMEND
	s_wait_dscnt 0x1
	;;#ASMSTART
	v_dot2_f32_f16 v4, v8, v16, v4
	;;#ASMEND
	;;#ASMSTART
	v_dot2_f32_f16 v4, v9, v17, v4
	;;#ASMEND
	;;#ASMSTART
	v_dot2_f32_f16 v4, v10, v18, v4
	;;#ASMEND
	;;#ASMSTART
	v_dot2_f32_f16 v4, v11, v19, v4
	;;#ASMEND
	s_wait_dscnt 0x0
	;;#ASMSTART
	v_dot2_f32_f16 v7, v20, v12, v7
	;;#ASMEND
	;;#ASMSTART
	v_dot2_f32_f16 v7, v21, v13, v7
	;;#ASMEND
	;;#ASMSTART
	v_dot2_f32_f16 v7, v22, v14, v7
	;;#ASMEND
	;;#ASMSTART
	v_dot2_f32_f16 v7, v23, v15, v7
	;;#ASMEND
	;;#ASMSTART
	v_dot2_f32_f16 v5, v20, v16, v5
	;;#ASMEND
	;;#ASMSTART
	v_dot2_f32_f16 v5, v21, v17, v5
	;;#ASMEND
	;;#ASMSTART
	v_dot2_f32_f16 v5, v22, v18, v5
	;;#ASMEND
	;;#ASMSTART
	v_dot2_f32_f16 v5, v23, v19, v5
	;;#ASMEND
	ds_load_b128 v[8:11], v110 offset:16
	ds_load_b128 v[12:15], v105 offset:656
	ds_load_b128 v[16:19], v105 offset:1808
	ds_load_b128 v[20:23], v110 offset:4624
	s_wait_dscnt 0x2
	;;#ASMSTART
	v_dot2_f32_f16 v6, v8, v12, v6
	;;#ASMEND
	;;#ASMSTART
	v_dot2_f32_f16 v6, v9, v13, v6
	;;#ASMEND
	;;#ASMSTART
	v_dot2_f32_f16 v6, v10, v14, v6
	;;#ASMEND
	;;#ASMSTART
	v_dot2_f32_f16 v6, v11, v15, v6
	;;#ASMEND
	s_wait_dscnt 0x1
	;;#ASMSTART
	v_dot2_f32_f16 v4, v8, v16, v4
	;;#ASMEND
	;;#ASMSTART
	v_dot2_f32_f16 v4, v9, v17, v4
	;;#ASMEND
	;;#ASMSTART
	v_dot2_f32_f16 v4, v10, v18, v4
	;;#ASMEND
	;;#ASMSTART
	v_dot2_f32_f16 v4, v11, v19, v4
	;;#ASMEND
	s_wait_dscnt 0x0
	;;#ASMSTART
	v_dot2_f32_f16 v7, v20, v12, v7
	;;#ASMEND
	;;#ASMSTART
	v_dot2_f32_f16 v7, v21, v13, v7
	;;#ASMEND
	;;#ASMSTART
	v_dot2_f32_f16 v7, v22, v14, v7
	;;#ASMEND
	;;#ASMSTART
	v_dot2_f32_f16 v7, v23, v15, v7
	;;#ASMEND
	;;#ASMSTART
	v_dot2_f32_f16 v5, v20, v16, v5
	;;#ASMEND
	;;#ASMSTART
	v_dot2_f32_f16 v5, v21, v17, v5
	;;#ASMEND
	;;#ASMSTART
	v_dot2_f32_f16 v5, v22, v18, v5
	;;#ASMEND
	;;#ASMSTART
	v_dot2_f32_f16 v5, v23, v19, v5
	;;#ASMEND
	ds_load_b128 v[8:11], v110 offset:32
	;; [unrolled: 55-line block ×7, first 2 shown]
	ds_load_b128 v[12:15], v105 offset:752
	ds_load_b128 v[16:19], v105 offset:1904
	;; [unrolled: 1-line block ×3, first 2 shown]
	s_wait_dscnt 0x2
	;;#ASMSTART
	v_dot2_f32_f16 v6, v8, v12, v6
	;;#ASMEND
	;;#ASMSTART
	v_dot2_f32_f16 v6, v9, v13, v6
	;;#ASMEND
	;;#ASMSTART
	v_dot2_f32_f16 v6, v10, v14, v6
	;;#ASMEND
	;;#ASMSTART
	v_dot2_f32_f16 v6, v11, v15, v6
	;;#ASMEND
	s_wait_dscnt 0x1
	;;#ASMSTART
	v_dot2_f32_f16 v4, v8, v16, v4
	;;#ASMEND
	;;#ASMSTART
	v_dot2_f32_f16 v4, v9, v17, v4
	;;#ASMEND
	;;#ASMSTART
	v_dot2_f32_f16 v4, v10, v18, v4
	;;#ASMEND
	;;#ASMSTART
	v_dot2_f32_f16 v4, v11, v19, v4
	;;#ASMEND
	;; [unrolled: 13-line block ×3, first 2 shown]
	;;#ASMSTART
	v_dot2_f32_f16 v5, v20, v16, v5
	;;#ASMEND
	;;#ASMSTART
	v_dot2_f32_f16 v5, v21, v17, v5
	;;#ASMEND
	;; [unrolled: 3-line block ×4, first 2 shown]
	s_wait_loadcnt 0x0
	s_barrier_signal -1
	s_barrier_wait -1
	global_inv scope:SCOPE_SE
	s_clause 0x1
	global_load_b128 v[8:11], v[0:1], off offset:768
	global_load_b128 v[12:15], v[2:3], off offset:768
	s_wait_loadcnt 0x1
	ds_store_b128 v108, v[8:11]
	s_wait_loadcnt 0x0
	ds_store_b128 v109, v[12:15]
	s_wait_dscnt 0x0
	s_barrier_signal -1
	s_barrier_wait -1
	global_inv scope:SCOPE_SE
	ds_load_b128 v[8:11], v110
	ds_load_b128 v[12:15], v105 offset:768
	ds_load_b128 v[16:19], v105 offset:1920
	ds_load_b128 v[20:23], v110 offset:4608
	s_wait_dscnt 0x2
	;;#ASMSTART
	v_dot2_f32_f16 v6, v8, v12, v6
	;;#ASMEND
	;;#ASMSTART
	v_dot2_f32_f16 v6, v9, v13, v6
	;;#ASMEND
	;;#ASMSTART
	v_dot2_f32_f16 v6, v10, v14, v6
	;;#ASMEND
	;;#ASMSTART
	v_dot2_f32_f16 v6, v11, v15, v6
	;;#ASMEND
	s_wait_dscnt 0x1
	;;#ASMSTART
	v_dot2_f32_f16 v4, v8, v16, v4
	;;#ASMEND
	;;#ASMSTART
	v_dot2_f32_f16 v4, v9, v17, v4
	;;#ASMEND
	;;#ASMSTART
	v_dot2_f32_f16 v4, v10, v18, v4
	;;#ASMEND
	;;#ASMSTART
	v_dot2_f32_f16 v4, v11, v19, v4
	;;#ASMEND
	s_wait_dscnt 0x0
	;;#ASMSTART
	v_dot2_f32_f16 v7, v20, v12, v7
	;;#ASMEND
	;;#ASMSTART
	v_dot2_f32_f16 v7, v21, v13, v7
	;;#ASMEND
	;;#ASMSTART
	v_dot2_f32_f16 v7, v22, v14, v7
	;;#ASMEND
	;;#ASMSTART
	v_dot2_f32_f16 v7, v23, v15, v7
	;;#ASMEND
	;;#ASMSTART
	v_dot2_f32_f16 v5, v20, v16, v5
	;;#ASMEND
	;;#ASMSTART
	v_dot2_f32_f16 v5, v21, v17, v5
	;;#ASMEND
	;;#ASMSTART
	v_dot2_f32_f16 v5, v22, v18, v5
	;;#ASMEND
	;;#ASMSTART
	v_dot2_f32_f16 v5, v23, v19, v5
	;;#ASMEND
	ds_load_b128 v[8:11], v110 offset:16
	ds_load_b128 v[12:15], v105 offset:784
	ds_load_b128 v[16:19], v105 offset:1936
	ds_load_b128 v[20:23], v110 offset:4624
	s_wait_dscnt 0x2
	;;#ASMSTART
	v_dot2_f32_f16 v6, v8, v12, v6
	;;#ASMEND
	;;#ASMSTART
	v_dot2_f32_f16 v6, v9, v13, v6
	;;#ASMEND
	;;#ASMSTART
	v_dot2_f32_f16 v6, v10, v14, v6
	;;#ASMEND
	;;#ASMSTART
	v_dot2_f32_f16 v6, v11, v15, v6
	;;#ASMEND
	s_wait_dscnt 0x1
	;;#ASMSTART
	v_dot2_f32_f16 v4, v8, v16, v4
	;;#ASMEND
	;;#ASMSTART
	v_dot2_f32_f16 v4, v9, v17, v4
	;;#ASMEND
	;;#ASMSTART
	v_dot2_f32_f16 v4, v10, v18, v4
	;;#ASMEND
	;;#ASMSTART
	v_dot2_f32_f16 v4, v11, v19, v4
	;;#ASMEND
	s_wait_dscnt 0x0
	;;#ASMSTART
	v_dot2_f32_f16 v7, v20, v12, v7
	;;#ASMEND
	;;#ASMSTART
	v_dot2_f32_f16 v7, v21, v13, v7
	;;#ASMEND
	;;#ASMSTART
	v_dot2_f32_f16 v7, v22, v14, v7
	;;#ASMEND
	;;#ASMSTART
	v_dot2_f32_f16 v7, v23, v15, v7
	;;#ASMEND
	;;#ASMSTART
	v_dot2_f32_f16 v5, v20, v16, v5
	;;#ASMEND
	;;#ASMSTART
	v_dot2_f32_f16 v5, v21, v17, v5
	;;#ASMEND
	;;#ASMSTART
	v_dot2_f32_f16 v5, v22, v18, v5
	;;#ASMEND
	;;#ASMSTART
	v_dot2_f32_f16 v5, v23, v19, v5
	;;#ASMEND
	ds_load_b128 v[8:11], v110 offset:32
	;; [unrolled: 55-line block ×7, first 2 shown]
	ds_load_b128 v[12:15], v105 offset:880
	ds_load_b128 v[16:19], v105 offset:2032
	;; [unrolled: 1-line block ×3, first 2 shown]
	s_wait_dscnt 0x2
	;;#ASMSTART
	v_dot2_f32_f16 v6, v8, v12, v6
	;;#ASMEND
	;;#ASMSTART
	v_dot2_f32_f16 v6, v9, v13, v6
	;;#ASMEND
	;;#ASMSTART
	v_dot2_f32_f16 v6, v10, v14, v6
	;;#ASMEND
	;;#ASMSTART
	v_dot2_f32_f16 v6, v11, v15, v6
	;;#ASMEND
	s_wait_dscnt 0x1
	;;#ASMSTART
	v_dot2_f32_f16 v4, v8, v16, v4
	;;#ASMEND
	;;#ASMSTART
	v_dot2_f32_f16 v4, v9, v17, v4
	;;#ASMEND
	;;#ASMSTART
	v_dot2_f32_f16 v4, v10, v18, v4
	;;#ASMEND
	;;#ASMSTART
	v_dot2_f32_f16 v4, v11, v19, v4
	;;#ASMEND
	s_wait_dscnt 0x0
	;;#ASMSTART
	v_dot2_f32_f16 v7, v20, v12, v7
	;;#ASMEND
	;;#ASMSTART
	v_dot2_f32_f16 v7, v21, v13, v7
	;;#ASMEND
	;;#ASMSTART
	v_dot2_f32_f16 v7, v22, v14, v7
	;;#ASMEND
	;;#ASMSTART
	v_dot2_f32_f16 v7, v23, v15, v7
	;;#ASMEND
	;;#ASMSTART
	v_dot2_f32_f16 v5, v20, v16, v5
	;;#ASMEND
	;;#ASMSTART
	v_dot2_f32_f16 v5, v21, v17, v5
	;;#ASMEND
	;; [unrolled: 3-line block ×4, first 2 shown]
	s_wait_loadcnt 0x0
	s_barrier_signal -1
	s_barrier_wait -1
	global_inv scope:SCOPE_SE
	s_clause 0x1
	global_load_b128 v[8:11], v[0:1], off offset:896
	global_load_b128 v[12:15], v[2:3], off offset:896
	s_wait_loadcnt 0x1
	ds_store_b128 v108, v[8:11]
	s_wait_loadcnt 0x0
	ds_store_b128 v109, v[12:15]
	s_wait_dscnt 0x0
	s_barrier_signal -1
	s_barrier_wait -1
	global_inv scope:SCOPE_SE
	ds_load_b128 v[8:11], v110
	ds_load_b128 v[12:15], v105 offset:896
	ds_load_b128 v[16:19], v105 offset:2048
	ds_load_b128 v[20:23], v110 offset:4608
	s_wait_dscnt 0x2
	;;#ASMSTART
	v_dot2_f32_f16 v6, v8, v12, v6
	;;#ASMEND
	;;#ASMSTART
	v_dot2_f32_f16 v6, v9, v13, v6
	;;#ASMEND
	;;#ASMSTART
	v_dot2_f32_f16 v6, v10, v14, v6
	;;#ASMEND
	;;#ASMSTART
	v_dot2_f32_f16 v6, v11, v15, v6
	;;#ASMEND
	s_wait_dscnt 0x1
	;;#ASMSTART
	v_dot2_f32_f16 v4, v8, v16, v4
	;;#ASMEND
	;;#ASMSTART
	v_dot2_f32_f16 v4, v9, v17, v4
	;;#ASMEND
	;;#ASMSTART
	v_dot2_f32_f16 v4, v10, v18, v4
	;;#ASMEND
	;;#ASMSTART
	v_dot2_f32_f16 v4, v11, v19, v4
	;;#ASMEND
	s_wait_dscnt 0x0
	;;#ASMSTART
	v_dot2_f32_f16 v7, v20, v12, v7
	;;#ASMEND
	;;#ASMSTART
	v_dot2_f32_f16 v7, v21, v13, v7
	;;#ASMEND
	;;#ASMSTART
	v_dot2_f32_f16 v7, v22, v14, v7
	;;#ASMEND
	;;#ASMSTART
	v_dot2_f32_f16 v7, v23, v15, v7
	;;#ASMEND
	;;#ASMSTART
	v_dot2_f32_f16 v5, v20, v16, v5
	;;#ASMEND
	;;#ASMSTART
	v_dot2_f32_f16 v5, v21, v17, v5
	;;#ASMEND
	;;#ASMSTART
	v_dot2_f32_f16 v5, v22, v18, v5
	;;#ASMEND
	;;#ASMSTART
	v_dot2_f32_f16 v5, v23, v19, v5
	;;#ASMEND
	ds_load_b128 v[8:11], v110 offset:16
	ds_load_b128 v[12:15], v105 offset:912
	ds_load_b128 v[16:19], v105 offset:2064
	ds_load_b128 v[20:23], v110 offset:4624
	s_wait_dscnt 0x2
	;;#ASMSTART
	v_dot2_f32_f16 v6, v8, v12, v6
	;;#ASMEND
	;;#ASMSTART
	v_dot2_f32_f16 v6, v9, v13, v6
	;;#ASMEND
	;;#ASMSTART
	v_dot2_f32_f16 v6, v10, v14, v6
	;;#ASMEND
	;;#ASMSTART
	v_dot2_f32_f16 v6, v11, v15, v6
	;;#ASMEND
	s_wait_dscnt 0x1
	;;#ASMSTART
	v_dot2_f32_f16 v4, v8, v16, v4
	;;#ASMEND
	;;#ASMSTART
	v_dot2_f32_f16 v4, v9, v17, v4
	;;#ASMEND
	;;#ASMSTART
	v_dot2_f32_f16 v4, v10, v18, v4
	;;#ASMEND
	;;#ASMSTART
	v_dot2_f32_f16 v4, v11, v19, v4
	;;#ASMEND
	s_wait_dscnt 0x0
	;;#ASMSTART
	v_dot2_f32_f16 v7, v20, v12, v7
	;;#ASMEND
	;;#ASMSTART
	v_dot2_f32_f16 v7, v21, v13, v7
	;;#ASMEND
	;;#ASMSTART
	v_dot2_f32_f16 v7, v22, v14, v7
	;;#ASMEND
	;;#ASMSTART
	v_dot2_f32_f16 v7, v23, v15, v7
	;;#ASMEND
	;;#ASMSTART
	v_dot2_f32_f16 v5, v20, v16, v5
	;;#ASMEND
	;;#ASMSTART
	v_dot2_f32_f16 v5, v21, v17, v5
	;;#ASMEND
	;;#ASMSTART
	v_dot2_f32_f16 v5, v22, v18, v5
	;;#ASMEND
	;;#ASMSTART
	v_dot2_f32_f16 v5, v23, v19, v5
	;;#ASMEND
	ds_load_b128 v[8:11], v110 offset:32
	;; [unrolled: 55-line block ×7, first 2 shown]
	ds_load_b128 v[12:15], v105 offset:1008
	ds_load_b128 v[16:19], v105 offset:2160
	;; [unrolled: 1-line block ×3, first 2 shown]
	s_wait_dscnt 0x2
	;;#ASMSTART
	v_dot2_f32_f16 v6, v8, v12, v6
	;;#ASMEND
	;;#ASMSTART
	v_dot2_f32_f16 v6, v9, v13, v6
	;;#ASMEND
	;;#ASMSTART
	v_dot2_f32_f16 v6, v10, v14, v6
	;;#ASMEND
	;;#ASMSTART
	v_dot2_f32_f16 v6, v11, v15, v6
	;;#ASMEND
	s_wait_dscnt 0x1
	;;#ASMSTART
	v_dot2_f32_f16 v4, v8, v16, v4
	;;#ASMEND
	;;#ASMSTART
	v_dot2_f32_f16 v4, v9, v17, v4
	;;#ASMEND
	;;#ASMSTART
	v_dot2_f32_f16 v4, v10, v18, v4
	;;#ASMEND
	;;#ASMSTART
	v_dot2_f32_f16 v4, v11, v19, v4
	;;#ASMEND
	;; [unrolled: 13-line block ×3, first 2 shown]
	;;#ASMSTART
	v_dot2_f32_f16 v5, v20, v16, v5
	;;#ASMEND
	;;#ASMSTART
	v_dot2_f32_f16 v5, v21, v17, v5
	;;#ASMEND
	;; [unrolled: 3-line block ×4, first 2 shown]
	s_wait_loadcnt 0x0
	s_barrier_signal -1
	s_barrier_wait -1
	global_inv scope:SCOPE_SE
	s_clause 0x1
	global_load_b128 v[8:11], v[0:1], off offset:1024
	global_load_b128 v[0:3], v[2:3], off offset:1024
	s_wait_loadcnt 0x1
	ds_store_b128 v108, v[8:11]
	s_wait_loadcnt 0x0
	ds_store_b128 v109, v[0:3]
	s_wait_dscnt 0x0
	s_barrier_signal -1
	s_barrier_wait -1
	global_inv scope:SCOPE_SE
	ds_load_b128 v[0:3], v110
	ds_load_b128 v[8:11], v105 offset:1024
	ds_load_b128 v[12:15], v105 offset:2176
	ds_load_b128 v[16:19], v110 offset:4608
	s_wait_dscnt 0x2
	;;#ASMSTART
	v_dot2_f32_f16 v6, v0, v8, v6
	;;#ASMEND
	;;#ASMSTART
	v_dot2_f32_f16 v6, v1, v9, v6
	;;#ASMEND
	;;#ASMSTART
	v_dot2_f32_f16 v6, v2, v10, v6
	;;#ASMEND
	;;#ASMSTART
	v_dot2_f32_f16 v6, v3, v11, v6
	;;#ASMEND
	s_wait_dscnt 0x1
	;;#ASMSTART
	v_dot2_f32_f16 v4, v0, v12, v4
	;;#ASMEND
	;;#ASMSTART
	v_dot2_f32_f16 v4, v1, v13, v4
	;;#ASMEND
	;;#ASMSTART
	v_dot2_f32_f16 v4, v2, v14, v4
	;;#ASMEND
	;;#ASMSTART
	v_dot2_f32_f16 v4, v3, v15, v4
	;;#ASMEND
	s_wait_dscnt 0x0
	;;#ASMSTART
	v_dot2_f32_f16 v7, v16, v8, v7
	;;#ASMEND
	;;#ASMSTART
	v_dot2_f32_f16 v7, v17, v9, v7
	;;#ASMEND
	;;#ASMSTART
	v_dot2_f32_f16 v7, v18, v10, v7
	;;#ASMEND
	;;#ASMSTART
	v_dot2_f32_f16 v7, v19, v11, v7
	;;#ASMEND
	;;#ASMSTART
	v_dot2_f32_f16 v5, v16, v12, v5
	;;#ASMEND
	;;#ASMSTART
	v_dot2_f32_f16 v5, v17, v13, v5
	;;#ASMEND
	;;#ASMSTART
	v_dot2_f32_f16 v5, v18, v14, v5
	;;#ASMEND
	;;#ASMSTART
	v_dot2_f32_f16 v5, v19, v15, v5
	;;#ASMEND
	ds_load_b128 v[0:3], v110 offset:16
	ds_load_b128 v[8:11], v105 offset:1040
	ds_load_b128 v[12:15], v105 offset:2192
	ds_load_b128 v[16:19], v110 offset:4624
	s_wait_dscnt 0x2
	;;#ASMSTART
	v_dot2_f32_f16 v6, v0, v8, v6
	;;#ASMEND
	;;#ASMSTART
	v_dot2_f32_f16 v6, v1, v9, v6
	;;#ASMEND
	;;#ASMSTART
	v_dot2_f32_f16 v6, v2, v10, v6
	;;#ASMEND
	;;#ASMSTART
	v_dot2_f32_f16 v6, v3, v11, v6
	;;#ASMEND
	s_wait_dscnt 0x1
	;;#ASMSTART
	v_dot2_f32_f16 v4, v0, v12, v4
	;;#ASMEND
	;;#ASMSTART
	v_dot2_f32_f16 v4, v1, v13, v4
	;;#ASMEND
	;;#ASMSTART
	v_dot2_f32_f16 v4, v2, v14, v4
	;;#ASMEND
	;;#ASMSTART
	v_dot2_f32_f16 v4, v3, v15, v4
	;;#ASMEND
	s_wait_dscnt 0x0
	;;#ASMSTART
	v_dot2_f32_f16 v7, v16, v8, v7
	;;#ASMEND
	;;#ASMSTART
	v_dot2_f32_f16 v7, v17, v9, v7
	;;#ASMEND
	;;#ASMSTART
	v_dot2_f32_f16 v7, v18, v10, v7
	;;#ASMEND
	;;#ASMSTART
	v_dot2_f32_f16 v7, v19, v11, v7
	;;#ASMEND
	;;#ASMSTART
	v_dot2_f32_f16 v5, v16, v12, v5
	;;#ASMEND
	;;#ASMSTART
	v_dot2_f32_f16 v5, v17, v13, v5
	;;#ASMEND
	;;#ASMSTART
	v_dot2_f32_f16 v5, v18, v14, v5
	;;#ASMEND
	;;#ASMSTART
	v_dot2_f32_f16 v5, v19, v15, v5
	;;#ASMEND
	ds_load_b128 v[0:3], v110 offset:32
	ds_load_b128 v[8:11], v105 offset:1056
	ds_load_b128 v[12:15], v105 offset:2208
	ds_load_b128 v[16:19], v110 offset:4640
	s_wait_dscnt 0x2
	;;#ASMSTART
	v_dot2_f32_f16 v6, v0, v8, v6
	;;#ASMEND
	;;#ASMSTART
	v_dot2_f32_f16 v6, v1, v9, v6
	;;#ASMEND
	;;#ASMSTART
	v_dot2_f32_f16 v6, v2, v10, v6
	;;#ASMEND
	;;#ASMSTART
	v_dot2_f32_f16 v6, v3, v11, v6
	;;#ASMEND
	s_wait_dscnt 0x1
	;;#ASMSTART
	v_dot2_f32_f16 v4, v0, v12, v4
	;;#ASMEND
	;;#ASMSTART
	v_dot2_f32_f16 v4, v1, v13, v4
	;;#ASMEND
	;;#ASMSTART
	v_dot2_f32_f16 v4, v2, v14, v4
	;;#ASMEND
	;;#ASMSTART
	v_dot2_f32_f16 v4, v3, v15, v4
	;;#ASMEND
	s_wait_dscnt 0x0
	;;#ASMSTART
	v_dot2_f32_f16 v7, v16, v8, v7
	;;#ASMEND
	;;#ASMSTART
	v_dot2_f32_f16 v7, v17, v9, v7
	;;#ASMEND
	;;#ASMSTART
	v_dot2_f32_f16 v7, v18, v10, v7
	;;#ASMEND
	;;#ASMSTART
	v_dot2_f32_f16 v7, v19, v11, v7
	;;#ASMEND
	;;#ASMSTART
	v_dot2_f32_f16 v5, v16, v12, v5
	;;#ASMEND
	;;#ASMSTART
	v_dot2_f32_f16 v5, v17, v13, v5
	;;#ASMEND
	;;#ASMSTART
	v_dot2_f32_f16 v5, v18, v14, v5
	;;#ASMEND
	;;#ASMSTART
	v_dot2_f32_f16 v5, v19, v15, v5
	;;#ASMEND
	ds_load_b128 v[0:3], v110 offset:48
	ds_load_b128 v[8:11], v105 offset:1072
	ds_load_b128 v[12:15], v105 offset:2224
	ds_load_b128 v[16:19], v110 offset:4656
	s_wait_dscnt 0x2
	;;#ASMSTART
	v_dot2_f32_f16 v6, v0, v8, v6
	;;#ASMEND
	;;#ASMSTART
	v_dot2_f32_f16 v6, v1, v9, v6
	;;#ASMEND
	;;#ASMSTART
	v_dot2_f32_f16 v6, v2, v10, v6
	;;#ASMEND
	;;#ASMSTART
	v_dot2_f32_f16 v6, v3, v11, v6
	;;#ASMEND
	s_wait_dscnt 0x1
	;;#ASMSTART
	v_dot2_f32_f16 v4, v0, v12, v4
	;;#ASMEND
	;;#ASMSTART
	v_dot2_f32_f16 v4, v1, v13, v4
	;;#ASMEND
	;;#ASMSTART
	v_dot2_f32_f16 v4, v2, v14, v4
	;;#ASMEND
	;;#ASMSTART
	v_dot2_f32_f16 v4, v3, v15, v4
	;;#ASMEND
	s_wait_dscnt 0x0
	;;#ASMSTART
	v_dot2_f32_f16 v7, v16, v8, v7
	;;#ASMEND
	;;#ASMSTART
	v_dot2_f32_f16 v7, v17, v9, v7
	;;#ASMEND
	;;#ASMSTART
	v_dot2_f32_f16 v7, v18, v10, v7
	;;#ASMEND
	;;#ASMSTART
	v_dot2_f32_f16 v7, v19, v11, v7
	;;#ASMEND
	;;#ASMSTART
	v_dot2_f32_f16 v5, v16, v12, v5
	;;#ASMEND
	;;#ASMSTART
	v_dot2_f32_f16 v5, v17, v13, v5
	;;#ASMEND
	;;#ASMSTART
	v_dot2_f32_f16 v5, v18, v14, v5
	;;#ASMEND
	;;#ASMSTART
	v_dot2_f32_f16 v5, v19, v15, v5
	;;#ASMEND
	ds_load_b128 v[0:3], v110 offset:64
	ds_load_b128 v[8:11], v105 offset:1088
	ds_load_b128 v[12:15], v105 offset:2240
	ds_load_b128 v[16:19], v110 offset:4672
	s_wait_dscnt 0x2
	;;#ASMSTART
	v_dot2_f32_f16 v6, v0, v8, v6
	;;#ASMEND
	;;#ASMSTART
	v_dot2_f32_f16 v6, v1, v9, v6
	;;#ASMEND
	;;#ASMSTART
	v_dot2_f32_f16 v6, v2, v10, v6
	;;#ASMEND
	;;#ASMSTART
	v_dot2_f32_f16 v6, v3, v11, v6
	;;#ASMEND
	s_wait_dscnt 0x1
	;;#ASMSTART
	v_dot2_f32_f16 v4, v0, v12, v4
	;;#ASMEND
	;;#ASMSTART
	v_dot2_f32_f16 v4, v1, v13, v4
	;;#ASMEND
	;;#ASMSTART
	v_dot2_f32_f16 v4, v2, v14, v4
	;;#ASMEND
	;;#ASMSTART
	v_dot2_f32_f16 v4, v3, v15, v4
	;;#ASMEND
	s_wait_dscnt 0x0
	;;#ASMSTART
	v_dot2_f32_f16 v7, v16, v8, v7
	;;#ASMEND
	;;#ASMSTART
	v_dot2_f32_f16 v7, v17, v9, v7
	;;#ASMEND
	;;#ASMSTART
	v_dot2_f32_f16 v7, v18, v10, v7
	;;#ASMEND
	;;#ASMSTART
	v_dot2_f32_f16 v7, v19, v11, v7
	;;#ASMEND
	;;#ASMSTART
	v_dot2_f32_f16 v5, v16, v12, v5
	;;#ASMEND
	;;#ASMSTART
	v_dot2_f32_f16 v5, v17, v13, v5
	;;#ASMEND
	;;#ASMSTART
	v_dot2_f32_f16 v5, v18, v14, v5
	;;#ASMEND
	;;#ASMSTART
	v_dot2_f32_f16 v5, v19, v15, v5
	;;#ASMEND
	ds_load_b128 v[0:3], v110 offset:80
	ds_load_b128 v[8:11], v105 offset:1104
	ds_load_b128 v[12:15], v105 offset:2256
	ds_load_b128 v[16:19], v110 offset:4688
	s_wait_dscnt 0x2
	;;#ASMSTART
	v_dot2_f32_f16 v6, v0, v8, v6
	;;#ASMEND
	;;#ASMSTART
	v_dot2_f32_f16 v6, v1, v9, v6
	;;#ASMEND
	;;#ASMSTART
	v_dot2_f32_f16 v6, v2, v10, v6
	;;#ASMEND
	;;#ASMSTART
	v_dot2_f32_f16 v6, v3, v11, v6
	;;#ASMEND
	s_wait_dscnt 0x1
	;;#ASMSTART
	v_dot2_f32_f16 v4, v0, v12, v4
	;;#ASMEND
	;;#ASMSTART
	v_dot2_f32_f16 v4, v1, v13, v4
	;;#ASMEND
	;;#ASMSTART
	v_dot2_f32_f16 v4, v2, v14, v4
	;;#ASMEND
	;;#ASMSTART
	v_dot2_f32_f16 v4, v3, v15, v4
	;;#ASMEND
	s_wait_dscnt 0x0
	;;#ASMSTART
	v_dot2_f32_f16 v7, v16, v8, v7
	;;#ASMEND
	;;#ASMSTART
	v_dot2_f32_f16 v7, v17, v9, v7
	;;#ASMEND
	;;#ASMSTART
	v_dot2_f32_f16 v7, v18, v10, v7
	;;#ASMEND
	;;#ASMSTART
	v_dot2_f32_f16 v7, v19, v11, v7
	;;#ASMEND
	;;#ASMSTART
	v_dot2_f32_f16 v5, v16, v12, v5
	;;#ASMEND
	;;#ASMSTART
	v_dot2_f32_f16 v5, v17, v13, v5
	;;#ASMEND
	;;#ASMSTART
	v_dot2_f32_f16 v5, v18, v14, v5
	;;#ASMEND
	;;#ASMSTART
	v_dot2_f32_f16 v5, v19, v15, v5
	;;#ASMEND
	ds_load_b128 v[0:3], v110 offset:96
	ds_load_b128 v[8:11], v105 offset:1120
	ds_load_b128 v[12:15], v105 offset:2272
	ds_load_b128 v[16:19], v110 offset:4704
	s_wait_dscnt 0x2
	;;#ASMSTART
	v_dot2_f32_f16 v6, v0, v8, v6
	;;#ASMEND
	;;#ASMSTART
	v_dot2_f32_f16 v6, v1, v9, v6
	;;#ASMEND
	;;#ASMSTART
	v_dot2_f32_f16 v6, v2, v10, v6
	;;#ASMEND
	;;#ASMSTART
	v_dot2_f32_f16 v6, v3, v11, v6
	;;#ASMEND
	s_wait_dscnt 0x1
	;;#ASMSTART
	v_dot2_f32_f16 v4, v0, v12, v4
	;;#ASMEND
	;;#ASMSTART
	v_dot2_f32_f16 v4, v1, v13, v4
	;;#ASMEND
	;;#ASMSTART
	v_dot2_f32_f16 v4, v2, v14, v4
	;;#ASMEND
	;;#ASMSTART
	v_dot2_f32_f16 v4, v3, v15, v4
	;;#ASMEND
	s_wait_dscnt 0x0
	;;#ASMSTART
	v_dot2_f32_f16 v7, v16, v8, v7
	;;#ASMEND
	;;#ASMSTART
	v_dot2_f32_f16 v7, v17, v9, v7
	;;#ASMEND
	;;#ASMSTART
	v_dot2_f32_f16 v7, v18, v10, v7
	;;#ASMEND
	;;#ASMSTART
	v_dot2_f32_f16 v7, v19, v11, v7
	;;#ASMEND
	;;#ASMSTART
	v_dot2_f32_f16 v5, v16, v12, v5
	;;#ASMEND
	;;#ASMSTART
	v_dot2_f32_f16 v5, v17, v13, v5
	;;#ASMEND
	;;#ASMSTART
	v_dot2_f32_f16 v5, v18, v14, v5
	;;#ASMEND
	;;#ASMSTART
	v_dot2_f32_f16 v5, v19, v15, v5
	;;#ASMEND
	ds_load_b128 v[0:3], v110 offset:112
	ds_load_b128 v[8:11], v105 offset:1136
	ds_load_b128 v[12:15], v105 offset:2288
	;; [unrolled: 1-line block ×3, first 2 shown]
	s_wait_dscnt 0x2
	;;#ASMSTART
	v_dot2_f32_f16 v6, v0, v8, v6
	;;#ASMEND
	;;#ASMSTART
	v_dot2_f32_f16 v6, v1, v9, v6
	;;#ASMEND
	;; [unrolled: 3-line block ×4, first 2 shown]
	s_wait_dscnt 0x1
	;;#ASMSTART
	v_dot2_f32_f16 v4, v0, v12, v4
	;;#ASMEND
	;;#ASMSTART
	v_dot2_f32_f16 v4, v1, v13, v4
	;;#ASMEND
	;; [unrolled: 3-line block ×4, first 2 shown]
	s_wait_dscnt 0x0
	;;#ASMSTART
	v_dot2_f32_f16 v7, v16, v8, v7
	;;#ASMEND
	v_cmp_ngt_f32_e64 s20, 0x3f200000, |v6|
	;;#ASMSTART
	v_dot2_f32_f16 v7, v17, v9, v7
	;;#ASMEND
	;;#ASMSTART
	v_dot2_f32_f16 v7, v18, v10, v7
	;;#ASMEND
	;;#ASMSTART
	v_dot2_f32_f16 v7, v19, v11, v7
	;;#ASMEND
	;;#ASMSTART
	v_dot2_f32_f16 v5, v16, v12, v5
	;;#ASMEND
	;;#ASMSTART
	v_dot2_f32_f16 v5, v17, v13, v5
	;;#ASMEND
	;;#ASMSTART
	v_dot2_f32_f16 v5, v18, v14, v5
	;;#ASMEND
	;;#ASMSTART
	v_dot2_f32_f16 v5, v19, v15, v5
	;;#ASMEND
                                        ; implicit-def: $vgpr8
	s_and_saveexec_b32 s21, s20
	s_wait_alu 0xfffe
	s_xor_b32 s20, exec_lo, s21
	s_cbranch_execz .LBB26_15
; %bb.14:                               ;   in Loop: Header=BB26_13 Depth=1
	v_add_f32_e64 v0, |v6|, |v6|
	s_delay_alu instid0(VALU_DEP_1) | instskip(SKIP_1) | instid1(VALU_DEP_2)
	v_mul_f32_e32 v1, 0x3fb8aa3b, v0
	v_cmp_ngt_f32_e32 vcc_lo, 0xc2ce8ed0, v0
	v_rndne_f32_e32 v2, v1
	v_fma_f32 v3, 0x3fb8aa3b, v0, -v1
	s_delay_alu instid0(VALU_DEP_2) | instskip(NEXT) | instid1(VALU_DEP_2)
	v_sub_f32_e32 v1, v1, v2
	v_fmac_f32_e32 v3, 0x32a5705f, v0
	v_cvt_i32_f32_e32 v2, v2
	s_delay_alu instid0(VALU_DEP_2) | instskip(NEXT) | instid1(VALU_DEP_1)
	v_add_f32_e32 v1, v1, v3
	v_exp_f32_e32 v1, v1
	s_delay_alu instid0(TRANS32_DEP_1) | instskip(SKIP_1) | instid1(VALU_DEP_1)
	v_ldexp_f32 v1, v1, v2
	s_wait_alu 0xfffd
	v_cndmask_b32_e32 v1, 0, v1, vcc_lo
	v_cmp_nlt_f32_e32 vcc_lo, 0x42b17218, v0
	s_wait_alu 0xfffd
	s_delay_alu instid0(VALU_DEP_2) | instskip(NEXT) | instid1(VALU_DEP_1)
	v_cndmask_b32_e32 v0, 0x7f800000, v1, vcc_lo
	v_add_f32_e32 v0, 1.0, v0
	s_delay_alu instid0(VALU_DEP_1) | instskip(NEXT) | instid1(TRANS32_DEP_1)
	v_rcp_f32_e32 v0, v0
	v_fma_f32 v8, v0, -2.0, 1.0
.LBB26_15:                              ;   in Loop: Header=BB26_13 Depth=1
	s_wait_alu 0xfffe
	s_and_not1_saveexec_b32 s20, s20
	s_cbranch_execz .LBB26_17
; %bb.16:                               ;   in Loop: Header=BB26_13 Depth=1
	v_mul_f32_e32 v0, v6, v6
	s_delay_alu instid0(VALU_DEP_1) | instskip(NEXT) | instid1(VALU_DEP_1)
	v_fmaak_f32 v1, s3, v0, 0x3ca908c9
	v_fmaak_f32 v1, v0, v1, 0xbd5c1c4e
	s_delay_alu instid0(VALU_DEP_1) | instskip(NEXT) | instid1(VALU_DEP_1)
	v_fmaak_f32 v1, v0, v1, 0x3e088382
	v_fmaak_f32 v1, v0, v1, 0xbeaaaa99
	s_delay_alu instid0(VALU_DEP_1) | instskip(NEXT) | instid1(VALU_DEP_1)
	v_mul_f32_e64 v1, |v6|, v1
	v_fma_f32 v8, v0, v1, |v6|
.LBB26_17:                              ;   in Loop: Header=BB26_13 Depth=1
	s_wait_alu 0xfffe
	s_or_b32 exec_lo, exec_lo, s20
	v_add_nc_u32_e32 v0, s4, v94
	v_cmp_ngt_f32_e64 s20, 0x3f200000, |v7|
                                        ; implicit-def: $vgpr9
	s_delay_alu instid0(VALU_DEP_2) | instskip(NEXT) | instid1(VALU_DEP_1)
	v_ashrrev_i32_e32 v1, 31, v0
	v_lshlrev_b64_e32 v[0:1], 1, v[0:1]
	s_delay_alu instid0(VALU_DEP_1) | instskip(SKIP_1) | instid1(VALU_DEP_2)
	v_add_co_u32 v0, vcc_lo, s34, v0
	s_wait_alu 0xfffd
	v_add_co_ci_u32_e64 v1, null, s35, v1, vcc_lo
	global_load_u16 v2, v[0:1], off
	s_and_saveexec_b32 s21, s20
	s_wait_alu 0xfffe
	s_xor_b32 s20, exec_lo, s21
	s_cbranch_execz .LBB26_19
; %bb.18:                               ;   in Loop: Header=BB26_13 Depth=1
	v_add_f32_e64 v3, |v7|, |v7|
	s_delay_alu instid0(VALU_DEP_1) | instskip(SKIP_1) | instid1(VALU_DEP_2)
	v_mul_f32_e32 v9, 0x3fb8aa3b, v3
	v_cmp_ngt_f32_e32 vcc_lo, 0xc2ce8ed0, v3
	v_rndne_f32_e32 v10, v9
	v_fma_f32 v11, 0x3fb8aa3b, v3, -v9
	s_delay_alu instid0(VALU_DEP_2) | instskip(NEXT) | instid1(VALU_DEP_2)
	v_sub_f32_e32 v9, v9, v10
	v_fmac_f32_e32 v11, 0x32a5705f, v3
	v_cvt_i32_f32_e32 v10, v10
	s_delay_alu instid0(VALU_DEP_2) | instskip(NEXT) | instid1(VALU_DEP_1)
	v_add_f32_e32 v9, v9, v11
	v_exp_f32_e32 v9, v9
	s_delay_alu instid0(TRANS32_DEP_1) | instskip(SKIP_1) | instid1(VALU_DEP_1)
	v_ldexp_f32 v9, v9, v10
	s_wait_alu 0xfffd
	v_cndmask_b32_e32 v9, 0, v9, vcc_lo
	v_cmp_nlt_f32_e32 vcc_lo, 0x42b17218, v3
	s_wait_alu 0xfffd
	s_delay_alu instid0(VALU_DEP_2) | instskip(NEXT) | instid1(VALU_DEP_1)
	v_cndmask_b32_e32 v3, 0x7f800000, v9, vcc_lo
	v_add_f32_e32 v3, 1.0, v3
	s_delay_alu instid0(VALU_DEP_1) | instskip(NEXT) | instid1(TRANS32_DEP_1)
	v_rcp_f32_e32 v3, v3
	v_fma_f32 v9, v3, -2.0, 1.0
.LBB26_19:                              ;   in Loop: Header=BB26_13 Depth=1
	s_wait_alu 0xfffe
	s_and_not1_saveexec_b32 s20, s20
	s_cbranch_execz .LBB26_21
; %bb.20:                               ;   in Loop: Header=BB26_13 Depth=1
	v_mul_f32_e32 v3, v7, v7
	s_delay_alu instid0(VALU_DEP_1) | instskip(NEXT) | instid1(VALU_DEP_1)
	v_fmaak_f32 v9, s3, v3, 0x3ca908c9
	v_fmaak_f32 v9, v3, v9, 0xbd5c1c4e
	s_delay_alu instid0(VALU_DEP_1) | instskip(NEXT) | instid1(VALU_DEP_1)
	v_fmaak_f32 v9, v3, v9, 0x3e088382
	v_fmaak_f32 v9, v3, v9, 0xbeaaaa99
	s_delay_alu instid0(VALU_DEP_1) | instskip(NEXT) | instid1(VALU_DEP_1)
	v_mul_f32_e64 v9, |v7|, v9
	v_fma_f32 v9, v3, v9, |v7|
.LBB26_21:                              ;   in Loop: Header=BB26_13 Depth=1
	s_wait_alu 0xfffe
	s_or_b32 exec_lo, exec_lo, s20
	global_load_u16 v3, v[0:1], off offset:64
	v_bfi_b32 v0, 0x7fffffff, v8, v6
	v_bfi_b32 v6, 0x7fffffff, v9, v7
	v_xor_b32_e32 v142, 16, v106
	v_xor_b32_e32 v138, 8, v106
	;; [unrolled: 1-line block ×3, first 2 shown]
	s_wait_loadcnt 0x1
	v_fma_mix_f32 v1, s31, v0, v2 op_sel_hi:[0,0,1]
	v_xor_b32_e32 v140, 2, v106
	v_cmp_gt_i32_e32 vcc_lo, 32, v142
	v_xor_b32_e32 v141, 1, v106
	v_cmp_ngt_f32_e64 s20, 0x3f200000, |v4|
	v_add_f32_e32 v7, 0x40051340, v1
	s_wait_loadcnt 0x0
	v_fma_mix_f32 v0, s31, v6, v3 op_sel_hi:[0,0,1]
	s_wait_alu 0xfffd
	v_cndmask_b32_e32 v6, v106, v142, vcc_lo
	v_cmp_gt_i32_e32 vcc_lo, 32, v138
	s_delay_alu instid0(VALU_DEP_3) | instskip(NEXT) | instid1(VALU_DEP_3)
	v_add_f32_e32 v8, 0x40051340, v0
	v_lshlrev_b32_e32 v6, 2, v6
	s_wait_alu 0xfffd
	v_cndmask_b32_e32 v9, v106, v138, vcc_lo
	v_cmp_gt_i32_e32 vcc_lo, 32, v139
	v_max3_num_f32 v8, v136, v7, v8
	ds_bpermute_b32 v7, v6, v8
	s_wait_dscnt 0x0
	v_dual_max_num_f32 v10, v7, v7 :: v_dual_lshlrev_b32 v7, 2, v9
	s_wait_alu 0xfffd
	s_delay_alu instid0(VALU_DEP_1)
	v_dual_max_num_f32 v9, v8, v10 :: v_dual_cndmask_b32 v10, v106, v139
	v_cmp_gt_i32_e32 vcc_lo, 32, v140
	ds_bpermute_b32 v8, v7, v9
	s_wait_dscnt 0x0
	v_dual_max_num_f32 v11, v8, v8 :: v_dual_lshlrev_b32 v8, 2, v10
	s_wait_alu 0xfffd
	s_delay_alu instid0(VALU_DEP_1) | instskip(SKIP_4) | instid1(VALU_DEP_1)
	v_dual_max_num_f32 v10, v9, v11 :: v_dual_cndmask_b32 v11, v106, v140
	v_cmp_gt_i32_e32 vcc_lo, 32, v141
	ds_bpermute_b32 v9, v8, v10
	s_wait_dscnt 0x0
	v_dual_max_num_f32 v12, v9, v9 :: v_dual_lshlrev_b32 v9, 2, v11
	v_max_num_f32_e32 v10, v10, v12
	s_wait_alu 0xfffd
	v_cndmask_b32_e32 v12, v106, v141, vcc_lo
	ds_bpermute_b32 v11, v9, v10
	s_wait_dscnt 0x0
	v_max_num_f32_e32 v13, v11, v11
	s_delay_alu instid0(VALU_DEP_1)
	v_dual_max_num_f32 v10, v10, v13 :: v_dual_lshlrev_b32 v11, 2, v12
                                        ; implicit-def: $vgpr13
	ds_bpermute_b32 v12, v11, v10
	s_and_saveexec_b32 s21, s20
	s_wait_alu 0xfffe
	s_xor_b32 s20, exec_lo, s21
	s_cbranch_execz .LBB26_23
; %bb.22:                               ;   in Loop: Header=BB26_13 Depth=1
	v_add_f32_e64 v13, |v4|, |v4|
	s_delay_alu instid0(VALU_DEP_1) | instskip(SKIP_1) | instid1(VALU_DEP_2)
	v_mul_f32_e32 v14, 0x3fb8aa3b, v13
	v_cmp_ngt_f32_e32 vcc_lo, 0xc2ce8ed0, v13
	v_rndne_f32_e32 v15, v14
	v_fma_f32 v16, 0x3fb8aa3b, v13, -v14
	s_delay_alu instid0(VALU_DEP_2) | instskip(NEXT) | instid1(VALU_DEP_2)
	v_sub_f32_e32 v14, v14, v15
	v_fmac_f32_e32 v16, 0x32a5705f, v13
	v_cvt_i32_f32_e32 v15, v15
	s_delay_alu instid0(VALU_DEP_2) | instskip(NEXT) | instid1(VALU_DEP_1)
	v_add_f32_e32 v14, v14, v16
	v_exp_f32_e32 v14, v14
	s_delay_alu instid0(TRANS32_DEP_1) | instskip(SKIP_1) | instid1(VALU_DEP_1)
	v_ldexp_f32 v14, v14, v15
	s_wait_alu 0xfffd
	v_cndmask_b32_e32 v14, 0, v14, vcc_lo
	v_cmp_nlt_f32_e32 vcc_lo, 0x42b17218, v13
	s_wait_alu 0xfffd
	s_delay_alu instid0(VALU_DEP_2) | instskip(NEXT) | instid1(VALU_DEP_1)
	v_cndmask_b32_e32 v13, 0x7f800000, v14, vcc_lo
	v_add_f32_e32 v13, 1.0, v13
	s_delay_alu instid0(VALU_DEP_1) | instskip(NEXT) | instid1(TRANS32_DEP_1)
	v_rcp_f32_e32 v13, v13
	v_fma_f32 v13, v13, -2.0, 1.0
.LBB26_23:                              ;   in Loop: Header=BB26_13 Depth=1
	s_wait_alu 0xfffe
	s_and_not1_saveexec_b32 s20, s20
	s_cbranch_execz .LBB26_25
; %bb.24:                               ;   in Loop: Header=BB26_13 Depth=1
	v_mul_f32_e32 v13, v4, v4
	s_delay_alu instid0(VALU_DEP_1) | instskip(NEXT) | instid1(VALU_DEP_1)
	v_fmaak_f32 v14, s3, v13, 0x3ca908c9
	v_fmaak_f32 v14, v13, v14, 0xbd5c1c4e
	s_delay_alu instid0(VALU_DEP_1) | instskip(NEXT) | instid1(VALU_DEP_1)
	v_fmaak_f32 v14, v13, v14, 0x3e088382
	v_fmaak_f32 v14, v13, v14, 0xbeaaaa99
	s_delay_alu instid0(VALU_DEP_1) | instskip(NEXT) | instid1(VALU_DEP_1)
	v_mul_f32_e64 v14, |v4|, v14
	v_fma_f32 v13, v13, v14, |v4|
.LBB26_25:                              ;   in Loop: Header=BB26_13 Depth=1
	s_wait_alu 0xfffe
	s_or_b32 exec_lo, exec_lo, s20
	v_cmp_ngt_f32_e64 s20, 0x3f200000, |v5|
                                        ; implicit-def: $vgpr14
	s_and_saveexec_b32 s21, s20
	s_wait_alu 0xfffe
	s_xor_b32 s20, exec_lo, s21
	s_cbranch_execz .LBB26_27
; %bb.26:                               ;   in Loop: Header=BB26_13 Depth=1
	v_add_f32_e64 v14, |v5|, |v5|
	s_delay_alu instid0(VALU_DEP_1) | instskip(SKIP_1) | instid1(VALU_DEP_2)
	v_mul_f32_e32 v15, 0x3fb8aa3b, v14
	v_cmp_ngt_f32_e32 vcc_lo, 0xc2ce8ed0, v14
	v_rndne_f32_e32 v16, v15
	v_fma_f32 v17, 0x3fb8aa3b, v14, -v15
	s_delay_alu instid0(VALU_DEP_2) | instskip(NEXT) | instid1(VALU_DEP_2)
	v_sub_f32_e32 v15, v15, v16
	v_fmac_f32_e32 v17, 0x32a5705f, v14
	v_cvt_i32_f32_e32 v16, v16
	s_delay_alu instid0(VALU_DEP_2) | instskip(NEXT) | instid1(VALU_DEP_1)
	v_add_f32_e32 v15, v15, v17
	v_exp_f32_e32 v15, v15
	s_delay_alu instid0(TRANS32_DEP_1) | instskip(SKIP_1) | instid1(VALU_DEP_1)
	v_ldexp_f32 v15, v15, v16
	s_wait_alu 0xfffd
	v_cndmask_b32_e32 v15, 0, v15, vcc_lo
	v_cmp_nlt_f32_e32 vcc_lo, 0x42b17218, v14
	s_wait_alu 0xfffd
	s_delay_alu instid0(VALU_DEP_2) | instskip(NEXT) | instid1(VALU_DEP_1)
	v_cndmask_b32_e32 v14, 0x7f800000, v15, vcc_lo
	v_add_f32_e32 v14, 1.0, v14
	s_delay_alu instid0(VALU_DEP_1) | instskip(NEXT) | instid1(TRANS32_DEP_1)
	v_rcp_f32_e32 v14, v14
	v_fma_f32 v14, v14, -2.0, 1.0
.LBB26_27:                              ;   in Loop: Header=BB26_13 Depth=1
	s_wait_alu 0xfffe
	s_and_not1_saveexec_b32 s20, s20
	s_cbranch_execz .LBB26_29
; %bb.28:                               ;   in Loop: Header=BB26_13 Depth=1
	v_mul_f32_e32 v14, v5, v5
	s_delay_alu instid0(VALU_DEP_1) | instskip(NEXT) | instid1(VALU_DEP_1)
	v_fmaak_f32 v15, s3, v14, 0x3ca908c9
	v_fmaak_f32 v15, v14, v15, 0xbd5c1c4e
	s_delay_alu instid0(VALU_DEP_1) | instskip(NEXT) | instid1(VALU_DEP_1)
	v_fmaak_f32 v15, v14, v15, 0x3e088382
	v_fmaak_f32 v15, v14, v15, 0xbeaaaa99
	s_delay_alu instid0(VALU_DEP_1) | instskip(NEXT) | instid1(VALU_DEP_1)
	v_mul_f32_e64 v15, |v5|, v15
	v_fma_f32 v14, v14, v15, |v5|
.LBB26_29:                              ;   in Loop: Header=BB26_13 Depth=1
	s_wait_alu 0xfffe
	s_or_b32 exec_lo, exec_lo, s20
	s_mul_u64 s[20:21], s[4:5], s[10:11]
	s_wait_dscnt 0x0
	s_wait_alu 0xfffe
	s_lshl_b64 s[20:21], s[20:21], 2
	s_barrier_signal -1
	s_wait_alu 0xfffe
	v_add_co_u32 v19, vcc_lo, v115, s20
	s_wait_alu 0xfffd
	v_add_co_ci_u32_e64 v20, null, s21, v116, vcc_lo
	s_barrier_wait -1
	global_inv scope:SCOPE_SE
	v_cvt_f32_f16_e32 v2, v2
	s_clause 0x1
	global_load_b128 v[15:18], v[19:20], off
	global_load_b128 v[19:22], v[19:20], off offset:512
	v_cvt_f32_f16_e32 v3, v3
	v_bfi_b32 v4, 0x7fffffff, v13, v4
	v_bfi_b32 v5, 0x7fffffff, v14, v5
	s_or_b32 s20, s4, 8
	v_add_nc_u32_e32 v143, 0x800, v114
	s_wait_alu 0xfffe
	s_ashr_i32 s21, s20, 31
	v_dual_fmac_f32 v2, s31, v4 :: v_dual_fmac_f32 v3, s31, v5
	s_wait_alu 0xfffe
	s_mul_u64 s[20:21], s[20:21], s[10:11]
	v_add_nc_u32_e32 v145, 0x1000, v114
	s_wait_alu 0xfffe
	s_lshl_b64 s[20:21], s[20:21], 2
	v_dual_add_f32 v4, 0x40051340, v2 :: v_dual_add_f32 v5, 0x40051340, v3
	s_delay_alu instid0(VALU_DEP_1) | instskip(SKIP_3) | instid1(VALU_DEP_1)
	v_max3_num_f32 v4, v137, v4, v5
	ds_bpermute_b32 v5, v6, v4
	s_wait_dscnt 0x0
	v_dual_max_num_f32 v6, v12, v12 :: v_dual_max_num_f32 v5, v5, v5
	v_max_num_f32_e32 v4, v4, v5
	ds_bpermute_b32 v5, v7, v4
	v_max_num_f32_e32 v7, v10, v10
	s_delay_alu instid0(VALU_DEP_1) | instskip(NEXT) | instid1(VALU_DEP_1)
	v_max_num_f32_e32 v99, v7, v6
	v_dual_sub_f32 v0, v0, v99 :: v_dual_add_nc_u32 v7, v111, v104
	v_sub_f32_e32 v1, v1, v99
	s_delay_alu instid0(VALU_DEP_1) | instskip(SKIP_3) | instid1(VALU_DEP_1)
	v_mul_f32_e32 v6, 0x3fb8aa3b, v1
	v_cmp_ngt_f32_e32 vcc_lo, 0xc2ce8ed0, v1
	s_wait_dscnt 0x0
	v_max_num_f32_e32 v5, v5, v5
	v_max_num_f32_e32 v4, v4, v5
	ds_bpermute_b32 v5, v8, v4
	v_mul_f32_e32 v8, 0x3fb8aa3b, v0
	s_delay_alu instid0(VALU_DEP_1) | instskip(SKIP_2) | instid1(VALU_DEP_1)
	v_rndne_f32_e32 v10, v8
	s_wait_dscnt 0x0
	v_max_num_f32_e32 v5, v5, v5
	v_max_num_f32_e32 v4, v4, v5
	ds_bpermute_b32 v5, v9, v4
	v_fma_f32 v9, 0x3fb8aa3b, v0, -v8
	s_delay_alu instid0(VALU_DEP_1) | instskip(SKIP_2) | instid1(VALU_DEP_1)
	v_fmac_f32_e32 v9, 0x32a5705f, v0
	s_wait_dscnt 0x0
	v_max_num_f32_e32 v5, v5, v5
	v_max_num_f32_e32 v4, v4, v5
	ds_bpermute_b32 v5, v11, v4
	s_wait_dscnt 0x0
	v_max_num_f32_e32 v5, v5, v5
	s_delay_alu instid0(VALU_DEP_1) | instskip(SKIP_2) | instid1(VALU_DEP_3)
	v_max_num_f32_e32 v100, v4, v5
	v_fma_f32 v4, 0x3fb8aa3b, v1, -v6
	v_rndne_f32_e32 v5, v6
	v_sub_f32_e32 v2, v2, v100
	s_delay_alu instid0(VALU_DEP_3) | instskip(NEXT) | instid1(VALU_DEP_3)
	v_fmac_f32_e32 v4, 0x32a5705f, v1
	v_sub_f32_e32 v6, v6, v5
	v_cvt_i32_f32_e32 v5, v5
	s_delay_alu instid0(VALU_DEP_4) | instskip(SKIP_2) | instid1(VALU_DEP_3)
	v_mul_f32_e32 v11, 0x3fb8aa3b, v2
	v_dual_sub_f32 v3, v3, v100 :: v_dual_add_nc_u32 v144, 0x1800, v114
	v_sub_f32_e32 v137, v137, v100
	v_rndne_f32_e32 v13, v11
	s_delay_alu instid0(VALU_DEP_3) | instskip(SKIP_3) | instid1(VALU_DEP_4)
	v_mul_f32_e32 v12, 0x3fb8aa3b, v3
	v_sub_f32_e32 v8, v8, v10
	v_cvt_i32_f32_e32 v10, v10
	v_mul_f32_e32 v211, 0x3fb8aa3b, v137
	v_fma_f32 v14, 0x3fb8aa3b, v3, -v12
	v_rndne_f32_e32 v23, v12
	v_add_f32_e32 v4, v6, v4
	v_fma_f32 v6, 0x3fb8aa3b, v2, -v11
	v_rndne_f32_e32 v212, v211
	v_fmac_f32_e32 v14, 0x32a5705f, v3
	v_add_f32_e32 v8, v8, v9
	v_sub_f32_e32 v9, v11, v13
	v_sub_f32_e32 v11, v12, v23
	v_exp_f32_e32 v4, v4
	s_delay_alu instid0(TRANS32_DEP_1) | instskip(SKIP_1) | instid1(VALU_DEP_1)
	v_ldexp_f32 v4, v4, v5
	s_wait_alu 0xfffd
	v_cndmask_b32_e32 v4, 0, v4, vcc_lo
	v_cmp_ngt_f32_e32 vcc_lo, 0xc2ce8ed0, v0
	v_fmac_f32_e32 v6, 0x32a5705f, v2
	s_delay_alu instid0(VALU_DEP_1) | instskip(SKIP_2) | instid1(VALU_DEP_2)
	v_add_f32_e32 v6, v9, v6
	v_add_f32_e32 v9, v11, v14
	v_exp_f32_e32 v8, v8
	v_exp_f32_e32 v6, v6
	s_delay_alu instid0(VALU_DEP_1) | instskip(NEXT) | instid1(TRANS32_DEP_3)
	v_exp_f32_e32 v9, v9
	v_ldexp_f32 v5, v8, v10
	v_cvt_i32_f32_e32 v8, v13
	v_cvt_i32_f32_e32 v10, v23
	s_wait_alu 0xfffd
	s_delay_alu instid0(VALU_DEP_3) | instskip(SKIP_1) | instid1(TRANS32_DEP_2)
	v_cndmask_b32_e32 v5, 0, v5, vcc_lo
	v_cmp_nlt_f32_e32 vcc_lo, 0x42b17218, v1
	v_ldexp_f32 v6, v6, v8
	s_delay_alu instid0(TRANS32_DEP_1)
	v_ldexp_f32 v8, v9, v10
	s_wait_alu 0xfffd
	v_cndmask_b32_e32 v148, 0x7f800000, v4, vcc_lo
	v_cmp_ngt_f32_e32 vcc_lo, 0xc2ce8ed0, v2
	s_wait_alu 0xfffd
	v_cndmask_b32_e32 v1, 0, v6, vcc_lo
	v_cmp_ngt_f32_e32 vcc_lo, 0xc2ce8ed0, v3
	s_wait_alu 0xfffd
	v_cndmask_b32_e32 v4, 0, v8, vcc_lo
	v_cmp_nlt_f32_e32 vcc_lo, 0x42b17218, v0
	v_cvt_f16_f32_e64 v0, v148
	s_wait_alu 0xfffd
	v_cndmask_b32_e32 v149, 0x7f800000, v5, vcc_lo
	v_cmp_nlt_f32_e32 vcc_lo, 0x42b17218, v2
	s_wait_alu 0xfffd
	v_cndmask_b32_e32 v146, 0x7f800000, v1, vcc_lo
	v_cmp_nlt_f32_e32 vcc_lo, 0x42b17218, v3
	v_cvt_f16_f32_e64 v1, v149
	s_delay_alu instid0(VALU_DEP_3)
	v_cvt_f16_f32_e64 v2, v146
	s_wait_alu 0xfffd
	v_cndmask_b32_e32 v147, 0x7f800000, v4, vcc_lo
	s_wait_alu 0xfffe
	v_add_co_u32 v76, vcc_lo, v115, s20
	s_wait_alu 0xfffd
	v_add_co_ci_u32_e64 v77, null, s21, v116, vcc_lo
	v_cvt_f16_f32_e64 v3, v147
	v_pack_b32_f16 v0, v0, v2
	s_or_b32 s20, s4, 16
	s_wait_alu 0xfffe
	s_ashr_i32 s21, s20, 31
	v_pack_b32_f16 v1, v1, v3
	s_wait_alu 0xfffe
	s_mul_u64 s[20:21], s[20:21], s[10:11]
	ds_store_2addr_b32 v7, v0, v1 offset1:32
	s_wait_loadcnt 0x1
	ds_store_b128 v112, v[15:18]
	s_wait_loadcnt 0x0
	ds_store_b128 v113, v[19:22]
	s_wait_dscnt 0x0
	s_barrier_signal -1
	s_barrier_wait -1
	global_inv scope:SCOPE_SE
	ds_load_2addr_b64 v[60:63], v114 offset1:32
	ds_load_2addr_b64 v[56:59], v114 offset0:64 offset1:96
	ds_load_b128 v[68:71], v111
	ds_load_b128 v[64:67], v111 offset:16
	ds_load_2addr_b64 v[48:51], v114 offset0:128 offset1:160
	ds_load_2addr_b64 v[52:55], v114 offset0:192 offset1:224
	ds_load_2addr_b64 v[40:43], v143 offset1:32
	ds_load_2addr_b64 v[44:47], v143 offset0:64 offset1:96
	ds_load_2addr_b64 v[32:35], v143 offset0:128 offset1:160
	ds_load_2addr_b64 v[36:39], v143 offset0:192 offset1:224
	ds_load_2addr_b64 v[24:27], v145 offset1:32
	ds_load_2addr_b64 v[28:31], v145 offset0:64 offset1:96
	;; [unrolled: 4-line block ×3, first 2 shown]
	ds_load_2addr_b64 v[0:3], v144 offset0:128 offset1:160
	ds_load_2addr_b64 v[4:7], v144 offset0:192 offset1:224
	s_wait_loadcnt_dscnt 0x0
	s_barrier_signal -1
	s_barrier_wait -1
	global_inv scope:SCOPE_SE
	s_clause 0x1
	global_load_b128 v[72:75], v[76:77], off
	global_load_b128 v[76:79], v[76:77], off offset:512
	s_wait_alu 0xfffe
	s_lshl_b64 s[20:21], s[20:21], 2
	v_lshrrev_b32_e32 v214, 16, v65
	s_wait_alu 0xfffe
	v_add_co_u32 v101, vcc_lo, v115, s20
	s_wait_alu 0xfffd
	v_add_co_ci_u32_e64 v102, null, s21, v116, vcc_lo
	v_and_b32_e32 v65, 0xffff, v65
	v_lshrrev_b32_e32 v215, 16, v66
	v_and_b32_e32 v216, 0xffff, v66
	v_lshrrev_b32_e32 v217, 16, v67
	v_and_b32_e32 v218, 0xffff, v67
	v_mul_u32_u24_e32 v219, 0x10001, v65
	s_or_b32 s20, s4, 24
	v_lshrrev_b32_e32 v213, 16, v64
	v_and_b32_e32 v64, 0xffff, v64
	s_wait_alu 0xfffe
	s_ashr_i32 s21, s20, 31
	v_mul_u32_u24_e32 v214, 0x10001, v214
	s_wait_alu 0xfffe
	s_mul_u64 s[20:21], s[20:21], s[10:11]
	v_mul_u32_u24_e32 v216, 0x10001, v216
	v_mul_u32_u24_e32 v64, 0x10001, v64
	s_wait_alu 0xfffe
	s_lshl_b64 s[20:21], s[20:21], 2
	v_mul_u32_u24_e32 v215, 0x10001, v215
	v_mul_u32_u24_e32 v218, 0x10001, v218
	;; [unrolled: 1-line block ×3, first 2 shown]
	s_wait_loadcnt 0x1
	ds_store_b128 v112, v[72:75]
	s_wait_loadcnt 0x0
	ds_store_b128 v113, v[76:79]
	s_wait_dscnt 0x0
	s_barrier_signal -1
	s_barrier_wait -1
	global_inv scope:SCOPE_SE
	ds_load_2addr_b64 v[150:153], v114 offset1:32
	ds_load_2addr_b64 v[154:157], v114 offset0:64 offset1:96
	ds_load_b128 v[158:161], v111 offset:32
	ds_load_b128 v[162:165], v111 offset:48
	ds_load_2addr_b64 v[166:169], v114 offset0:128 offset1:160
	ds_load_2addr_b64 v[170:173], v114 offset0:192 offset1:224
	ds_load_2addr_b64 v[174:177], v143 offset1:32
	ds_load_2addr_b64 v[178:181], v143 offset0:64 offset1:96
	ds_load_2addr_b64 v[182:185], v143 offset0:128 offset1:160
	ds_load_2addr_b64 v[186:189], v143 offset0:192 offset1:224
	ds_load_2addr_b64 v[190:193], v145 offset1:32
	ds_load_2addr_b64 v[194:197], v145 offset0:64 offset1:96
	;; [unrolled: 4-line block ×3, first 2 shown]
	ds_load_2addr_b64 v[76:79], v144 offset0:128 offset1:160
	ds_load_2addr_b64 v[72:75], v144 offset0:192 offset1:224
	s_wait_loadcnt_dscnt 0x0
	s_barrier_signal -1
	s_barrier_wait -1
	global_inv scope:SCOPE_SE
	s_clause 0x1
	global_load_b128 v[202:205], v[101:102], off
	global_load_b128 v[206:209], v[101:102], off offset:512
	v_sub_f32_e32 v101, v136, v99
	s_wait_loadcnt 0x1
	ds_store_b128 v112, v[202:205]
	s_wait_loadcnt 0x0
	ds_store_b128 v113, v[206:209]
	v_mul_f32_e32 v102, 0x3fb8aa3b, v101
	v_cmp_ngt_f32_e32 vcc_lo, 0xc2ce8ed0, v101
	s_wait_dscnt 0x0
	s_barrier_signal -1
	s_barrier_wait -1
	v_fma_f32 v136, 0x3fb8aa3b, v101, -v102
	v_rndne_f32_e32 v210, v102
	global_inv scope:SCOPE_SE
	v_fmac_f32_e32 v136, 0x32a5705f, v101
	v_sub_f32_e32 v102, v102, v210
	v_cvt_i32_f32_e32 v210, v210
	s_delay_alu instid0(VALU_DEP_2) | instskip(SKIP_2) | instid1(VALU_DEP_3)
	v_add_f32_e32 v102, v102, v136
	v_fma_f32 v136, 0x3fb8aa3b, v137, -v211
	v_sub_f32_e32 v211, v211, v212
	v_exp_f32_e32 v102, v102
	s_delay_alu instid0(VALU_DEP_2) | instskip(NEXT) | instid1(TRANS32_DEP_1)
	v_fmac_f32_e32 v136, 0x32a5705f, v137
	v_ldexp_f32 v102, v102, v210
	v_cvt_i32_f32_e32 v210, v212
	v_lshrrev_b32_e32 v212, 16, v71
	s_wait_alu 0xfffd
	s_delay_alu instid0(VALU_DEP_3) | instskip(SKIP_2) | instid1(VALU_DEP_3)
	v_dual_cndmask_b32 v102, 0, v102 :: v_dual_and_b32 v71, 0xffff, v71
	v_cmp_nlt_f32_e32 vcc_lo, 0x42b17218, v101
	v_add_f32_e32 v136, v211, v136
	v_mul_u32_u24_e32 v71, 0x10001, v71
	s_wait_alu 0xfffd
	v_cndmask_b32_e32 v211, 0x7f800000, v102, vcc_lo
	s_delay_alu instid0(VALU_DEP_3) | instskip(SKIP_1) | instid1(VALU_DEP_2)
	v_exp_f32_e32 v136, v136
	v_cmp_ngt_f32_e32 vcc_lo, 0xc2ce8ed0, v137
	v_cvt_f16_f32_e64 v102, v211
	s_delay_alu instid0(TRANS32_DEP_1) | instskip(NEXT) | instid1(VALU_DEP_2)
	v_ldexp_f32 v101, v136, v210
	v_and_b32_e32 v136, 0xffff, v102
	v_lshrrev_b32_e32 v210, 16, v69
	s_wait_alu 0xfffd
	s_delay_alu instid0(VALU_DEP_3) | instskip(SKIP_2) | instid1(VALU_DEP_2)
	v_cndmask_b32_e32 v101, 0, v101, vcc_lo
	v_cmp_nlt_f32_e32 vcc_lo, 0x42b17218, v137
	s_wait_alu 0xfffd
	v_cndmask_b32_e32 v102, 0x7f800000, v101, vcc_lo
	v_add_f32_e32 v101, v148, v149
	v_mul_u32_u24_e32 v148, 0x10001, v136
	v_and_b32_e32 v69, 0xffff, v69
	s_wait_alu 0xfffe
	v_add_co_u32 v136, vcc_lo, v115, s20
	v_cvt_f16_f32_e64 v149, v102
	v_fmac_f32_e32 v101, v135, v211
	v_pk_mul_f16 v134, v134, v148
	v_pk_mul_f16 v132, v132, v148
	;; [unrolled: 1-line block ×3, first 2 shown]
	v_and_b32_e32 v149, 0xffff, v149
	v_pk_mul_f16 v130, v130, v148
	v_pk_mul_f16 v131, v131, v148
	;; [unrolled: 1-line block ×4, first 2 shown]
	v_mul_u32_u24_e32 v135, 0x10001, v149
	v_lshrrev_b32_e32 v149, 16, v68
	v_and_b32_e32 v68, 0xffff, v68
	v_lshrrev_b32_e32 v211, 16, v70
	v_and_b32_e32 v70, 0xffff, v70
	v_pk_mul_f16 v126, v126, v135
	v_pk_mul_f16 v124, v124, v135
	;; [unrolled: 1-line block ×7, first 2 shown]
	v_mul_u32_u24_e32 v66, 0x10001, v68
	v_mul_u32_u24_e32 v67, 0x10001, v149
	;; [unrolled: 1-line block ×5, first 2 shown]
	v_pk_mul_f16 v65, v60, v66
	v_pk_mul_f16 v60, v60, v67
	v_pk_fma_f16 v134, v61, v66, v134
	v_pk_fma_f16 v61, v61, v67, v126
	v_pk_fma_f16 v126, v62, v66, v132
	v_pk_fma_f16 v62, v62, v67, v124
	v_pk_fma_f16 v124, v63, v66, v133
	v_pk_fma_f16 v63, v63, v67, v125
	v_pk_fma_f16 v125, v56, v66, v130
	v_pk_fma_f16 v56, v56, v67, v121
	v_pk_fma_f16 v121, v57, v66, v131
	v_pk_fma_f16 v57, v57, v67, v123
	v_pk_fma_f16 v123, v58, v66, v127
	v_pk_fma_f16 v58, v58, v67, v120
	v_pk_fma_f16 v66, v59, v66, v128
	v_pk_fma_f16 v59, v59, v67, v119
	v_mul_u32_u24_e32 v149, 0x10001, v211
	v_pk_fma_f16 v67, v52, v68, v125
	v_pk_fma_f16 v52, v52, v69, v56
	v_pk_fma_f16 v56, v53, v68, v121
	v_pk_fma_f16 v53, v53, v69, v57
	v_pk_fma_f16 v57, v54, v68, v123
	v_pk_fma_f16 v54, v54, v69, v58
	v_pk_fma_f16 v58, v55, v68, v66
	v_pk_fma_f16 v55, v55, v69, v59
	v_pk_fma_f16 v59, v129, v148, v65
	v_pk_fma_f16 v60, v122, v135, v60
	v_pk_fma_f16 v65, v49, v68, v134
	v_pk_fma_f16 v49, v49, v69, v61
	v_pk_fma_f16 v61, v50, v68, v126
	v_pk_fma_f16 v50, v50, v69, v62
	v_pk_fma_f16 v62, v51, v68, v124
	v_pk_fma_f16 v51, v51, v69, v63
	v_mul_u32_u24_e32 v210, 0x10001, v212
	v_pk_fma_f16 v59, v48, v68, v59
	v_pk_fma_f16 v48, v48, v69, v60
	;; [unrolled: 17-line block ×3, first 2 shown]
	v_pk_fma_f16 v48, v33, v71, v60
	v_pk_fma_f16 v33, v33, v210, v41
	;; [unrolled: 1-line block ×14, first 2 shown]
	s_wait_alu 0xfffd
	v_add_co_ci_u32_e64 v137, null, s21, v116, vcc_lo
	v_pk_fma_f16 v47, v32, v71, v55
	v_pk_fma_f16 v32, v32, v210, v40
	;; [unrolled: 1-line block ×26, first 2 shown]
	ds_load_2addr_b64 v[44:47], v114 offset1:32
	ds_load_2addr_b64 v[48:51], v114 offset0:64 offset1:96
	ds_load_b128 v[52:55], v111 offset:64
	ds_load_b128 v[56:59], v111 offset:80
	ds_load_2addr_b64 v[60:63], v114 offset0:128 offset1:160
	ds_load_2addr_b64 v[64:67], v114 offset0:192 offset1:224
	ds_load_2addr_b64 v[68:71], v143 offset1:32
	ds_load_2addr_b64 v[119:122], v143 offset0:64 offset1:96
	ds_load_2addr_b64 v[123:126], v143 offset0:128 offset1:160
	ds_load_2addr_b64 v[127:130], v143 offset0:192 offset1:224
	ds_load_2addr_b64 v[131:134], v145 offset1:32
	ds_load_2addr_b64 v[202:205], v145 offset0:64 offset1:96
	;; [unrolled: 4-line block ×3, first 2 shown]
	ds_load_2addr_b64 v[24:27], v144 offset0:128 offset1:160
	ds_load_2addr_b64 v[20:23], v144 offset0:192 offset1:224
	s_wait_loadcnt_dscnt 0x0
	s_barrier_signal -1
	s_barrier_wait -1
	global_inv scope:SCOPE_SE
	s_clause 0x1
	global_load_b128 v[36:39], v[136:137], off
	global_load_b128 v[210:213], v[136:137], off offset:512
	v_pk_fma_f16 v137, v17, v219, v135
	v_pk_fma_f16 v149, v18, v219, v149
	;; [unrolled: 1-line block ×40, first 2 shown]
	v_and_b32_e32 v8, 0xffff, v158
	v_lshrrev_b32_e32 v17, 16, v158
	v_lshrrev_b32_e32 v18, 16, v159
	v_and_b32_e32 v19, 0xffff, v159
	v_lshrrev_b32_e32 v137, 16, v160
	v_mul_u32_u24_e32 v8, 0x10001, v8
	v_mul_u32_u24_e32 v17, 0x10001, v17
	v_and_b32_e32 v148, 0xffff, v160
	v_mul_u32_u24_e32 v19, 0x10001, v19
	v_mul_u32_u24_e32 v18, 0x10001, v18
	v_pk_fma_f16 v15, v150, v8, v15
	v_pk_fma_f16 v0, v150, v17, v0
	;; [unrolled: 1-line block ×8, first 2 shown]
	v_lshrrev_b32_e32 v149, 16, v161
	v_and_b32_e32 v158, 0xffff, v161
	v_mul_u32_u24_e32 v148, 0x10001, v148
	v_mul_u32_u24_e32 v137, 0x10001, v137
	v_pk_fma_f16 v11, v154, v8, v11
	v_pk_fma_f16 v12, v155, v8, v12
	;; [unrolled: 1-line block ×16, first 2 shown]
	s_or_b32 s20, s4, 32
	v_lshrrev_b32_e32 v159, 16, v162
	v_and_b32_e32 v160, 0xffff, v162
	v_mul_u32_u24_e32 v158, 0x10001, v158
	v_mul_u32_u24_e32 v149, 0x10001, v149
	v_pk_fma_f16 v11, v170, v19, v11
	v_pk_fma_f16 v4, v170, v18, v4
	;; [unrolled: 1-line block ×16, first 2 shown]
	s_wait_alu 0xfffe
	s_ashr_i32 s21, s20, 31
	v_lshrrev_b32_e32 v161, 16, v163
	s_wait_alu 0xfffe
	s_mul_u64 s[20:21], s[20:21], s[10:11]
	v_and_b32_e32 v162, 0xffff, v163
	v_mul_u32_u24_e32 v160, 0x10001, v160
	v_mul_u32_u24_e32 v159, 0x10001, v159
	v_pk_fma_f16 v11, v178, v148, v11
	v_pk_fma_f16 v4, v178, v137, v4
	;; [unrolled: 1-line block ×16, first 2 shown]
	s_wait_alu 0xfffe
	s_lshl_b64 s[20:21], s[20:21], 2
	v_mul_u32_u24_e32 v218, 0x10001, v162
	s_wait_alu 0xfffe
	v_add_co_u32 v135, vcc_lo, v115, s20
	s_wait_alu 0xfffd
	v_add_co_ci_u32_e64 v136, null, s21, v116, vcc_lo
	v_mul_u32_u24_e32 v219, 0x10001, v161
	v_pk_fma_f16 v11, v186, v158, v11
	v_pk_fma_f16 v4, v186, v149, v4
	;; [unrolled: 1-line block ×16, first 2 shown]
	v_lshrrev_b32_e32 v214, 16, v164
	v_and_b32_e32 v215, 0xffff, v164
	v_lshrrev_b32_e32 v216, 16, v165
	v_and_b32_e32 v217, 0xffff, v165
	v_pk_fma_f16 v137, v194, v160, v11
	v_pk_fma_f16 v220, v194, v159, v4
	;; [unrolled: 1-line block ×16, first 2 shown]
	s_wait_loadcnt 0x1
	ds_store_b128 v112, v[36:39]
	s_wait_loadcnt 0x0
	ds_store_b128 v113, v[210:213]
	s_wait_dscnt 0x0
	s_barrier_signal -1
	s_barrier_wait -1
	global_inv scope:SCOPE_SE
	ds_load_2addr_b64 v[148:151], v114 offset1:32
	ds_load_2addr_b64 v[152:155], v114 offset0:64 offset1:96
	ds_load_b128 v[156:159], v111 offset:96
	ds_load_b128 v[160:163], v111 offset:112
	ds_load_2addr_b64 v[164:167], v114 offset0:128 offset1:160
	ds_load_2addr_b64 v[168:171], v114 offset0:192 offset1:224
	ds_load_2addr_b64 v[172:175], v143 offset1:32
	ds_load_2addr_b64 v[176:179], v143 offset0:64 offset1:96
	ds_load_2addr_b64 v[180:183], v143 offset0:128 offset1:160
	ds_load_2addr_b64 v[184:187], v143 offset0:192 offset1:224
	ds_load_2addr_b64 v[188:191], v145 offset1:32
	ds_load_2addr_b64 v[192:195], v145 offset0:64 offset1:96
	;; [unrolled: 4-line block ×3, first 2 shown]
	ds_load_2addr_b64 v[4:7], v144 offset0:128 offset1:160
	ds_load_2addr_b64 v[0:3], v144 offset0:192 offset1:224
	s_wait_loadcnt_dscnt 0x0
	s_barrier_signal -1
	s_barrier_wait -1
	global_inv scope:SCOPE_SE
	s_clause 0x1
	global_load_b128 v[12:15], v[135:136], off
	global_load_b128 v[210:213], v[135:136], off offset:512
	v_pk_fma_f16 v137, v88, v218, v137
	v_pk_fma_f16 v221, v89, v218, v221
	;; [unrolled: 1-line block ×4, first 2 shown]
	v_mul_u32_u24_e32 v215, 0x10001, v215
	v_mul_u32_u24_e32 v214, 0x10001, v214
	v_pk_fma_f16 v88, v88, v219, v220
	v_pk_fma_f16 v89, v89, v219, v222
	;; [unrolled: 1-line block ×4, first 2 shown]
	v_mul_u32_u24_e32 v217, 0x10001, v217
	v_mul_u32_u24_e32 v216, 0x10001, v216
	v_pk_fma_f16 v219, v84, v215, v227
	v_pk_fma_f16 v84, v84, v214, v228
	;; [unrolled: 1-line block ×32, first 2 shown]
	v_and_b32_e32 v83, 0xffff, v52
	v_lshrrev_b32_e32 v52, 16, v52
	v_lshrrev_b32_e32 v88, 16, v53
	v_and_b32_e32 v53, 0xffff, v53
	v_lshrrev_b32_e32 v89, 16, v54
	v_lshrrev_b32_e32 v137, 16, v56
	;; [unrolled: 1-line block ×3, first 2 shown]
	v_and_b32_e32 v57, 0xffff, v57
	v_lshrrev_b32_e32 v214, 16, v58
	v_and_b32_e32 v215, 0xffff, v58
	v_mul_u32_u24_e32 v58, 0x10001, v83
	v_mul_u32_u24_e32 v52, 0x10001, v52
	v_and_b32_e32 v54, 0xffff, v54
	v_lshrrev_b32_e32 v216, 16, v59
	v_and_b32_e32 v217, 0xffff, v59
	v_mul_u32_u24_e32 v53, 0x10001, v53
	v_mul_u32_u24_e32 v59, 0x10001, v88
	;; [unrolled: 1-line block ×5, first 2 shown]
	v_pk_fma_f16 v57, v44, v58, v91
	v_pk_fma_f16 v44, v44, v52, v76
	;; [unrolled: 1-line block ×8, first 2 shown]
	v_lshrrev_b32_e32 v90, 16, v55
	v_and_b32_e32 v55, 0xffff, v55
	v_mul_u32_u24_e32 v54, 0x10001, v54
	v_pk_fma_f16 v79, v48, v58, v87
	v_pk_fma_f16 v80, v49, v58, v80
	;; [unrolled: 1-line block ×16, first 2 shown]
	s_or_b32 s20, s4, 40
	v_and_b32_e32 v56, 0xffff, v56
	v_mul_u32_u24_e32 v55, 0x10001, v55
	v_mul_u32_u24_e32 v88, 0x10001, v90
	v_pk_fma_f16 v62, v64, v53, v79
	v_pk_fma_f16 v48, v64, v59, v48
	;; [unrolled: 1-line block ×16, first 2 shown]
	s_wait_alu 0xfffe
	s_ashr_i32 s21, s20, 31
	v_mul_u32_u24_e32 v56, 0x10001, v56
	s_wait_alu 0xfffe
	s_mul_u64 s[20:21], s[20:21], s[10:11]
	v_pk_fma_f16 v60, v119, v54, v62
	v_pk_fma_f16 v48, v119, v83, v48
	;; [unrolled: 1-line block ×16, first 2 shown]
	s_wait_alu 0xfffe
	s_lshl_b64 s[20:21], s[20:21], 2
	v_mul_u32_u24_e32 v218, 0x10001, v200
	s_wait_alu 0xfffe
	v_add_co_u32 v135, vcc_lo, v115, s20
	s_wait_alu 0xfffd
	v_add_co_ci_u32_e64 v136, null, s21, v116, vcc_lo
	v_pk_fma_f16 v59, v127, v55, v60
	v_pk_fma_f16 v48, v127, v88, v48
	;; [unrolled: 1-line block ×32, first 2 shown]
	s_wait_loadcnt 0x1
	ds_store_b128 v112, v[12:15]
	s_wait_loadcnt 0x0
	ds_store_b128 v113, v[210:213]
	s_wait_dscnt 0x0
	s_barrier_signal -1
	s_barrier_wait -1
	global_inv scope:SCOPE_SE
	ds_load_2addr_b64 v[44:47], v114 offset1:32
	ds_load_2addr_b64 v[48:51], v114 offset0:64 offset1:96
	ds_load_b128 v[52:55], v111 offset:128
	ds_load_b128 v[56:59], v111 offset:144
	ds_load_2addr_b64 v[60:63], v114 offset0:128 offset1:160
	ds_load_2addr_b64 v[64:67], v114 offset0:192 offset1:224
	ds_load_2addr_b64 v[68:71], v143 offset1:32
	ds_load_2addr_b64 v[72:75], v143 offset0:64 offset1:96
	ds_load_2addr_b64 v[76:79], v143 offset0:128 offset1:160
	ds_load_2addr_b64 v[80:83], v143 offset0:192 offset1:224
	ds_load_2addr_b64 v[84:87], v145 offset1:32
	ds_load_2addr_b64 v[88:91], v145 offset0:64 offset1:96
	;; [unrolled: 4-line block ×3, first 2 shown]
	ds_load_2addr_b64 v[200:203], v144 offset0:128 offset1:160
	ds_load_2addr_b64 v[12:15], v144 offset0:192 offset1:224
	s_wait_loadcnt_dscnt 0x0
	s_barrier_signal -1
	s_barrier_wait -1
	global_inv scope:SCOPE_SE
	s_clause 0x1
	global_load_b128 v[204:207], v[135:136], off
	global_load_b128 v[208:211], v[135:136], off offset:512
	v_pk_fma_f16 v212, v40, v137, v219
	v_pk_fma_f16 v213, v41, v137, v221
	;; [unrolled: 1-line block ×4, first 2 shown]
	v_mul_u32_u24_e32 v215, 0x10001, v215
	v_mul_u32_u24_e32 v214, 0x10001, v214
	v_pk_fma_f16 v40, v40, v218, v220
	v_pk_fma_f16 v41, v41, v218, v222
	v_pk_fma_f16 v42, v42, v218, v224
	v_pk_fma_f16 v43, v43, v218, v226
	v_mul_u32_u24_e32 v217, 0x10001, v217
	v_mul_u32_u24_e32 v216, 0x10001, v216
	v_pk_fma_f16 v218, v32, v215, v227
	v_pk_fma_f16 v32, v32, v214, v228
	;; [unrolled: 1-line block ×32, first 2 shown]
	v_and_b32_e32 v31, 0xffff, v156
	v_lshrrev_b32_e32 v40, 16, v156
	v_lshrrev_b32_e32 v41, 16, v157
	v_and_b32_e32 v42, 0xffff, v157
	v_lshrrev_b32_e32 v137, 16, v158
	v_mul_u32_u24_e32 v31, 0x10001, v31
	v_mul_u32_u24_e32 v40, 0x10001, v40
	v_and_b32_e32 v156, 0xffff, v158
	v_mul_u32_u24_e32 v42, 0x10001, v42
	v_mul_u32_u24_e32 v41, 0x10001, v41
	v_pk_fma_f16 v43, v148, v31, v43
	v_pk_fma_f16 v24, v148, v40, v24
	;; [unrolled: 1-line block ×8, first 2 shown]
	v_lshrrev_b32_e32 v157, 16, v159
	v_and_b32_e32 v158, 0xffff, v159
	v_mul_u32_u24_e32 v156, 0x10001, v156
	v_mul_u32_u24_e32 v137, 0x10001, v137
	v_pk_fma_f16 v35, v152, v31, v35
	v_pk_fma_f16 v28, v153, v31, v28
	;; [unrolled: 1-line block ×16, first 2 shown]
	s_or_b32 s20, s4, 48
	v_lshrrev_b32_e32 v159, 16, v160
	v_and_b32_e32 v160, 0xffff, v160
	v_mul_u32_u24_e32 v158, 0x10001, v158
	v_mul_u32_u24_e32 v157, 0x10001, v157
	v_pk_fma_f16 v35, v168, v42, v35
	v_pk_fma_f16 v20, v168, v41, v20
	;; [unrolled: 1-line block ×16, first 2 shown]
	s_wait_alu 0xfffe
	s_ashr_i32 s21, s20, 31
	v_lshrrev_b32_e32 v212, 16, v161
	s_wait_alu 0xfffe
	s_mul_u64 s[20:21], s[20:21], s[10:11]
	v_and_b32_e32 v161, 0xffff, v161
	v_mul_u32_u24_e32 v160, 0x10001, v160
	v_mul_u32_u24_e32 v159, 0x10001, v159
	v_pk_fma_f16 v35, v176, v156, v35
	v_pk_fma_f16 v20, v176, v137, v20
	;; [unrolled: 1-line block ×16, first 2 shown]
	s_wait_alu 0xfffe
	s_lshl_b64 s[20:21], s[20:21], 2
	v_mul_u32_u24_e32 v220, 0x10001, v161
	s_wait_alu 0xfffe
	v_add_co_u32 v135, vcc_lo, v115, s20
	s_wait_alu 0xfffd
	v_add_co_ci_u32_e64 v136, null, s21, v116, vcc_lo
	v_mul_u32_u24_e32 v221, 0x10001, v212
	v_pk_fma_f16 v35, v184, v158, v35
	v_pk_fma_f16 v20, v184, v157, v20
	;; [unrolled: 1-line block ×16, first 2 shown]
	v_lshrrev_b32_e32 v216, 16, v162
	v_and_b32_e32 v217, 0xffff, v162
	v_lshrrev_b32_e32 v218, 16, v163
	v_and_b32_e32 v219, 0xffff, v163
	v_pk_fma_f16 v35, v192, v160, v35
	v_pk_fma_f16 v137, v192, v159, v20
	;; [unrolled: 1-line block ×16, first 2 shown]
	s_wait_loadcnt 0x1
	ds_store_b128 v112, v[204:207]
	s_wait_loadcnt 0x0
	ds_store_b128 v113, v[208:211]
	s_wait_dscnt 0x0
	s_barrier_signal -1
	s_barrier_wait -1
	global_inv scope:SCOPE_SE
	ds_load_2addr_b64 v[21:24], v114 offset1:32
	ds_load_2addr_b64 v[25:28], v114 offset0:64 offset1:96
	ds_load_b128 v[29:32], v111 offset:160
	ds_load_b128 v[40:43], v111 offset:176
	ds_load_2addr_b64 v[148:151], v114 offset0:128 offset1:160
	ds_load_2addr_b64 v[152:155], v114 offset0:192 offset1:224
	ds_load_2addr_b64 v[156:159], v143 offset1:32
	ds_load_2addr_b64 v[160:163], v143 offset0:64 offset1:96
	ds_load_2addr_b64 v[164:167], v143 offset0:128 offset1:160
	ds_load_2addr_b64 v[168:171], v143 offset0:192 offset1:224
	ds_load_2addr_b64 v[172:175], v145 offset1:32
	ds_load_2addr_b64 v[176:179], v145 offset0:64 offset1:96
	;; [unrolled: 4-line block ×3, first 2 shown]
	ds_load_2addr_b64 v[196:199], v144 offset0:128 offset1:160
	ds_load_2addr_b64 v[204:207], v144 offset0:192 offset1:224
	s_wait_loadcnt_dscnt 0x0
	s_barrier_signal -1
	s_barrier_wait -1
	global_inv scope:SCOPE_SE
	s_clause 0x1
	global_load_b128 v[208:211], v[135:136], off
	global_load_b128 v[212:215], v[135:136], off offset:512
	v_add_f32_e32 v20, v146, v147
	v_pk_fma_f16 v35, v36, v220, v35
	v_pk_fma_f16 v36, v36, v221, v137
	;; [unrolled: 1-line block ×4, first 2 shown]
	v_fmac_f32_e32 v20, v118, v102
	v_mul_u32_u24_e32 v102, 0x10001, v217
	v_mul_u32_u24_e32 v118, 0x10001, v216
	v_pk_fma_f16 v216, v38, v220, v224
	v_pk_fma_f16 v38, v38, v221, v225
	;; [unrolled: 1-line block ×4, first 2 shown]
	v_mul_u32_u24_e32 v146, 0x10001, v219
	v_mul_u32_u24_e32 v147, 0x10001, v218
	v_pk_fma_f16 v218, v16, v102, v228
	v_pk_fma_f16 v16, v16, v118, v229
	;; [unrolled: 1-line block ×32, first 2 shown]
	v_and_b32_e32 v11, 0xffff, v52
	v_lshrrev_b32_e32 v33, 16, v52
	v_lshrrev_b32_e32 v34, 16, v53
	v_and_b32_e32 v35, 0xffff, v53
	v_lshrrev_b32_e32 v36, 16, v54
	v_mul_u32_u24_e32 v11, 0x10001, v11
	v_mul_u32_u24_e32 v33, 0x10001, v33
	v_and_b32_e32 v37, 0xffff, v54
	v_mul_u32_u24_e32 v35, 0x10001, v35
	v_mul_u32_u24_e32 v34, 0x10001, v34
	v_pk_fma_f16 v39, v44, v11, v39
	v_pk_fma_f16 v4, v44, v33, v4
	v_pk_fma_f16 v16, v45, v11, v16
	v_pk_fma_f16 v5, v45, v33, v5
	v_pk_fma_f16 v17, v46, v11, v17
	v_pk_fma_f16 v6, v46, v33, v6
	v_pk_fma_f16 v18, v47, v11, v18
	v_pk_fma_f16 v7, v47, v33, v7
	v_pk_fma_f16 v19, v48, v11, v19
	v_pk_fma_f16 v8, v49, v11, v8
	v_pk_fma_f16 v9, v50, v11, v9
	v_pk_fma_f16 v10, v51, v11, v10
	v_pk_fma_f16 v0, v48, v33, v0
	v_pk_fma_f16 v1, v49, v33, v1
	v_pk_fma_f16 v2, v50, v33, v2
	v_lshrrev_b32_e32 v38, 16, v55
	v_and_b32_e32 v52, 0xffff, v55
	v_mul_u32_u24_e32 v37, 0x10001, v37
	v_mul_u32_u24_e32 v36, 0x10001, v36
	v_pk_fma_f16 v3, v51, v33, v3
	v_pk_fma_f16 v11, v60, v35, v39
	v_pk_fma_f16 v4, v60, v34, v4
	v_pk_fma_f16 v16, v61, v35, v16
	v_pk_fma_f16 v5, v61, v34, v5
	v_pk_fma_f16 v17, v62, v35, v17
	v_pk_fma_f16 v6, v62, v34, v6
	v_pk_fma_f16 v18, v63, v35, v18
	v_pk_fma_f16 v7, v63, v34, v7
	v_pk_fma_f16 v19, v64, v35, v19
	v_pk_fma_f16 v0, v64, v34, v0
	v_pk_fma_f16 v8, v65, v35, v8
	v_pk_fma_f16 v1, v65, v34, v1
	v_pk_fma_f16 v9, v66, v35, v9
	v_pk_fma_f16 v2, v66, v34, v2
	v_pk_fma_f16 v10, v67, v35, v10
	v_lshrrev_b32_e32 v53, 16, v56
	v_and_b32_e32 v54, 0xffff, v56
	v_mul_u32_u24_e32 v52, 0x10001, v52
	v_mul_u32_u24_e32 v38, 0x10001, v38
	v_pk_fma_f16 v3, v67, v34, v3
	;; [unrolled: 20-line block ×3, first 2 shown]
	v_pk_fma_f16 v11, v76, v52, v11
	v_pk_fma_f16 v4, v76, v38, v4
	;; [unrolled: 1-line block ×15, first 2 shown]
	s_or_b32 s20, s4, 56
	v_lshrrev_b32_e32 v57, 16, v58
	v_and_b32_e32 v58, 0xffff, v58
	v_mul_u32_u24_e32 v56, 0x10001, v56
	v_mul_u32_u24_e32 v55, 0x10001, v55
	v_pk_fma_f16 v3, v83, v38, v3
	v_pk_fma_f16 v11, v84, v54, v11
	;; [unrolled: 1-line block ×16, first 2 shown]
	s_wait_alu 0xfffe
	s_ashr_i32 s21, s20, 31
	v_lshrrev_b32_e32 v102, 16, v59
	s_wait_alu 0xfffe
	s_mul_u64 s[20:21], s[20:21], s[10:11]
	v_and_b32_e32 v59, 0xffff, v59
	v_mul_u32_u24_e32 v58, 0x10001, v58
	v_mul_u32_u24_e32 v57, 0x10001, v57
	v_pk_fma_f16 v3, v91, v53, v3
	v_pk_fma_f16 v11, v119, v56, v11
	v_pk_fma_f16 v4, v119, v55, v4
	v_pk_fma_f16 v16, v120, v56, v16
	v_pk_fma_f16 v5, v120, v55, v5
	v_pk_fma_f16 v17, v121, v56, v17
	v_pk_fma_f16 v6, v121, v55, v6
	v_pk_fma_f16 v18, v122, v56, v18
	v_pk_fma_f16 v7, v122, v55, v7
	v_pk_fma_f16 v19, v123, v56, v19
	v_pk_fma_f16 v0, v123, v55, v0
	v_pk_fma_f16 v8, v124, v56, v8
	v_pk_fma_f16 v1, v124, v55, v1
	v_pk_fma_f16 v9, v125, v56, v9
	v_pk_fma_f16 v2, v125, v55, v2
	v_pk_fma_f16 v10, v126, v56, v10
	s_wait_alu 0xfffe
	s_lshl_b64 s[20:21], s[20:21], 2
	v_mul_u32_u24_e32 v59, 0x10001, v59
	s_wait_alu 0xfffe
	v_add_co_u32 v135, vcc_lo, v115, s20
	s_wait_alu 0xfffd
	v_add_co_ci_u32_e64 v136, null, s21, v116, vcc_lo
	v_mul_u32_u24_e32 v102, 0x10001, v102
	v_pk_fma_f16 v3, v126, v55, v3
	v_pk_fma_f16 v11, v127, v58, v11
	;; [unrolled: 1-line block ×32, first 2 shown]
	s_wait_loadcnt 0x1
	ds_store_b128 v112, v[208:211]
	s_wait_loadcnt 0x0
	ds_store_b128 v113, v[212:215]
	s_wait_dscnt 0x0
	s_barrier_signal -1
	s_barrier_wait -1
	global_inv scope:SCOPE_SE
	ds_load_2addr_b64 v[4:7], v114 offset1:32
	ds_load_2addr_b64 v[8:11], v114 offset0:64 offset1:96
	ds_load_b128 v[16:19], v111 offset:192
	ds_load_b128 v[33:36], v111 offset:208
	ds_load_2addr_b64 v[44:47], v114 offset0:128 offset1:160
	ds_load_2addr_b64 v[48:51], v114 offset0:192 offset1:224
	ds_load_2addr_b64 v[52:55], v143 offset1:32
	ds_load_2addr_b64 v[56:59], v143 offset0:64 offset1:96
	ds_load_2addr_b64 v[60:63], v143 offset0:128 offset1:160
	ds_load_2addr_b64 v[64:67], v143 offset0:192 offset1:224
	ds_load_2addr_b64 v[68:71], v145 offset1:32
	ds_load_2addr_b64 v[72:75], v145 offset0:64 offset1:96
	;; [unrolled: 4-line block ×3, first 2 shown]
	ds_load_2addr_b64 v[118:121], v144 offset0:128 offset1:160
	ds_load_2addr_b64 v[0:3], v144 offset0:192 offset1:224
	s_wait_loadcnt_dscnt 0x0
	s_barrier_signal -1
	s_barrier_wait -1
	global_inv scope:SCOPE_SE
	s_clause 0x1
	global_load_b128 v[122:125], v[135:136], off
	global_load_b128 v[126:129], v[135:136], off offset:512
	v_pk_fma_f16 v15, v15, v102, v37
	v_lshrrev_b32_e32 v37, 16, v29
	v_and_b32_e32 v29, 0xffff, v29
	v_lshrrev_b32_e32 v102, 16, v30
	v_and_b32_e32 v30, 0xffff, v30
	v_lshrrev_b32_e32 v135, 16, v31
	v_mul_u32_u24_e32 v37, 0x10001, v37
	v_mul_u32_u24_e32 v29, 0x10001, v29
	v_and_b32_e32 v31, 0xffff, v31
	v_mul_u32_u24_e32 v30, 0x10001, v30
	v_mul_u32_u24_e32 v102, 0x10001, v102
	v_pk_fma_f16 v12, v25, v37, v12
	v_pk_fma_f16 v38, v21, v29, v38
	v_pk_fma_f16 v21, v21, v37, v39
	v_pk_fma_f16 v39, v22, v29, v130
	v_pk_fma_f16 v22, v22, v37, v131
	v_pk_fma_f16 v130, v23, v29, v132
	v_pk_fma_f16 v23, v23, v37, v133
	v_pk_fma_f16 v131, v24, v29, v134
	v_pk_fma_f16 v24, v24, v37, v137
	v_pk_fma_f16 v132, v25, v29, v146
	v_pk_fma_f16 v25, v26, v29, v147
	v_pk_fma_f16 v13, v26, v37, v13
	v_pk_fma_f16 v26, v27, v29, v200
	v_lshrrev_b32_e32 v136, 16, v32
	v_and_b32_e32 v32, 0xffff, v32
	v_mul_u32_u24_e32 v31, 0x10001, v31
	v_mul_u32_u24_e32 v135, 0x10001, v135
	v_pk_fma_f16 v14, v27, v37, v14
	v_pk_fma_f16 v27, v28, v29, v201
	v_pk_fma_f16 v15, v28, v37, v15
	v_pk_fma_f16 v28, v148, v30, v38
	v_pk_fma_f16 v21, v148, v102, v21
	v_pk_fma_f16 v29, v149, v30, v39
	v_pk_fma_f16 v22, v149, v102, v22
	v_pk_fma_f16 v37, v150, v30, v130
	v_pk_fma_f16 v23, v150, v102, v23
	v_pk_fma_f16 v38, v151, v30, v131
	v_pk_fma_f16 v24, v151, v102, v24
	v_pk_fma_f16 v39, v152, v30, v132
	v_pk_fma_f16 v12, v152, v102, v12
	v_pk_fma_f16 v25, v153, v30, v25
	v_pk_fma_f16 v13, v153, v102, v13
	v_pk_fma_f16 v26, v154, v30, v26
	v_lshrrev_b32_e32 v202, 16, v40
	v_and_b32_e32 v40, 0xffff, v40
	v_mul_u32_u24_e32 v32, 0x10001, v32
	v_mul_u32_u24_e32 v136, 0x10001, v136
	v_pk_fma_f16 v14, v154, v102, v14
	v_pk_fma_f16 v27, v155, v30, v27
	v_pk_fma_f16 v15, v155, v102, v15
	;; [unrolled: 20-line block ×5, first 2 shown]
	v_pk_fma_f16 v28, v180, v41, v28
	v_pk_fma_f16 v21, v180, v203, v21
	v_pk_fma_f16 v29, v181, v41, v29
	v_pk_fma_f16 v22, v181, v203, v22
	v_pk_fma_f16 v30, v182, v41, v30
	v_pk_fma_f16 v23, v182, v203, v23
	v_pk_fma_f16 v31, v183, v41, v31
	v_pk_fma_f16 v24, v183, v203, v24
	v_pk_fma_f16 v32, v184, v41, v32
	v_pk_fma_f16 v12, v184, v203, v12
	v_pk_fma_f16 v25, v185, v41, v25
	v_pk_fma_f16 v13, v185, v203, v13
	v_pk_fma_f16 v26, v186, v41, v26
	v_mul_u32_u24_e32 v43, 0x10001, v43
	v_mul_u32_u24_e32 v209, 0x10001, v209
	v_pk_fma_f16 v14, v186, v203, v14
	v_pk_fma_f16 v27, v187, v41, v27
	;; [unrolled: 1-line block ×16, first 2 shown]
	v_lshrrev_b32_e32 v37, 16, v16
	v_and_b32_e32 v16, 0xffff, v16
	v_pk_fma_f16 v14, v194, v208, v14
	v_pk_fma_f16 v27, v195, v42, v27
	;; [unrolled: 1-line block ×16, first 2 shown]
	v_lshrrev_b32_e32 v38, 16, v17
	v_and_b32_e32 v17, 0xffff, v17
	v_mul_u32_u24_e32 v16, 0x10001, v16
	v_mul_u32_u24_e32 v37, 0x10001, v37
	v_pk_fma_f16 v14, v206, v209, v14
	v_pk_fma_f16 v27, v207, v43, v27
	;; [unrolled: 1-line block ×3, first 2 shown]
	v_lshrrev_b32_e32 v39, 16, v18
	v_and_b32_e32 v18, 0xffff, v18
	v_mul_u32_u24_e32 v17, 0x10001, v17
	v_mul_u32_u24_e32 v38, 0x10001, v38
	v_pk_fma_f16 v28, v4, v16, v28
	v_pk_fma_f16 v4, v4, v37, v21
	v_pk_fma_f16 v21, v5, v16, v29
	v_pk_fma_f16 v5, v5, v37, v22
	v_pk_fma_f16 v22, v6, v16, v30
	v_pk_fma_f16 v6, v6, v37, v23
	v_pk_fma_f16 v23, v7, v16, v31
	v_pk_fma_f16 v7, v7, v37, v24
	v_pk_fma_f16 v24, v8, v16, v32
	v_pk_fma_f16 v8, v8, v37, v12
	v_pk_fma_f16 v12, v9, v16, v25
	v_pk_fma_f16 v9, v9, v37, v13
	v_pk_fma_f16 v13, v10, v16, v26
	v_lshrrev_b32_e32 v40, 16, v19
	v_and_b32_e32 v19, 0xffff, v19
	v_mul_u32_u24_e32 v18, 0x10001, v18
	v_mul_u32_u24_e32 v39, 0x10001, v39
	v_pk_fma_f16 v10, v10, v37, v14
	v_pk_fma_f16 v14, v11, v16, v27
	v_pk_fma_f16 v11, v11, v37, v15
	v_pk_fma_f16 v15, v44, v17, v28
	v_pk_fma_f16 v4, v44, v38, v4
	v_pk_fma_f16 v16, v45, v17, v21
	v_pk_fma_f16 v5, v45, v38, v5
	v_pk_fma_f16 v21, v46, v17, v22
	v_pk_fma_f16 v6, v46, v38, v6
	v_pk_fma_f16 v22, v47, v17, v23
	v_pk_fma_f16 v7, v47, v38, v7
	v_pk_fma_f16 v23, v48, v17, v24
	v_pk_fma_f16 v8, v48, v38, v8
	v_pk_fma_f16 v12, v49, v17, v12
	v_pk_fma_f16 v9, v49, v38, v9
	v_pk_fma_f16 v13, v50, v17, v13
	v_lshrrev_b32_e32 v41, 16, v33
	v_and_b32_e32 v33, 0xffff, v33
	v_mul_u32_u24_e32 v19, 0x10001, v19
	v_mul_u32_u24_e32 v40, 0x10001, v40
	v_pk_fma_f16 v10, v50, v38, v10
	v_pk_fma_f16 v14, v51, v17, v14
	v_pk_fma_f16 v11, v51, v38, v11
	;; [unrolled: 20-line block ×5, first 2 shown]
	v_pk_fma_f16 v15, v76, v34, v15
	v_pk_fma_f16 v4, v76, v42, v4
	;; [unrolled: 1-line block ×13, first 2 shown]
	v_mul_u32_u24_e32 v130, 0x10001, v36
	v_mul_u32_u24_e32 v102, 0x10001, v102
	v_pk_fma_f16 v10, v82, v42, v10
	v_pk_fma_f16 v14, v83, v34, v14
	;; [unrolled: 1-line block ×32, first 2 shown]
	s_wait_loadcnt 0x1
	ds_store_b128 v112, v[122:125]
	s_wait_loadcnt 0x0
	ds_store_b128 v113, v[126:129]
	s_wait_dscnt 0x0
	s_barrier_signal -1
	s_barrier_wait -1
	global_inv scope:SCOPE_SE
	ds_load_2addr_b64 v[4:7], v114 offset1:32
	ds_load_2addr_b64 v[8:11], v114 offset0:64 offset1:96
	ds_load_b128 v[12:15], v111 offset:224
	ds_load_b128 v[16:19], v111 offset:240
	ds_load_2addr_b64 v[21:24], v114 offset0:128 offset1:160
	ds_load_2addr_b64 v[25:28], v114 offset0:192 offset1:224
	ds_load_2addr_b64 v[29:32], v143 offset1:32
	ds_load_2addr_b64 v[33:36], v143 offset0:64 offset1:96
	ds_load_2addr_b64 v[37:40], v143 offset0:128 offset1:160
	ds_load_2addr_b64 v[41:44], v143 offset0:192 offset1:224
	ds_load_2addr_b64 v[45:48], v145 offset1:32
	ds_load_2addr_b64 v[49:52], v145 offset0:64 offset1:96
	ds_load_2addr_b64 v[53:56], v145 offset0:128 offset1:160
	ds_load_2addr_b64 v[57:60], v145 offset0:192 offset1:224
	ds_load_2addr_b64 v[61:64], v144 offset1:32
	ds_load_2addr_b64 v[65:68], v144 offset0:64 offset1:96
	ds_load_2addr_b64 v[69:72], v144 offset0:128 offset1:160
	ds_load_2addr_b64 v[73:76], v144 offset0:192 offset1:224
	v_pk_fma_f16 v2, v2, v102, v77
	v_pk_fma_f16 v77, v3, v130, v78
	;; [unrolled: 1-line block ×3, first 2 shown]
	s_wait_loadcnt_dscnt 0x0
	v_lshrrev_b32_e32 v78, 16, v12
	v_and_b32_e32 v12, 0xffff, v12
	v_lshrrev_b32_e32 v79, 16, v13
	v_and_b32_e32 v13, 0xffff, v13
	v_lshrrev_b32_e32 v91, 16, v14
	v_mul_u32_u24_e32 v78, 0x10001, v78
	v_mul_u32_u24_e32 v12, 0x10001, v12
	v_and_b32_e32 v14, 0xffff, v14
	v_mul_u32_u24_e32 v13, 0x10001, v13
	v_mul_u32_u24_e32 v79, 0x10001, v79
	v_pk_fma_f16 v0, v8, v78, v0
	v_pk_fma_f16 v80, v4, v12, v80
	;; [unrolled: 1-line block ×16, first 2 shown]
	v_lshrrev_b32_e32 v102, 16, v15
	v_and_b32_e32 v15, 0xffff, v15
	v_mul_u32_u24_e32 v14, 0x10001, v14
	v_mul_u32_u24_e32 v91, 0x10001, v91
	v_pk_fma_f16 v11, v21, v13, v80
	v_pk_fma_f16 v4, v21, v79, v4
	;; [unrolled: 1-line block ×16, first 2 shown]
	v_lshrrev_b32_e32 v118, 16, v16
	v_and_b32_e32 v16, 0xffff, v16
	v_mul_u32_u24_e32 v15, 0x10001, v15
	v_mul_u32_u24_e32 v102, 0x10001, v102
	v_pk_fma_f16 v11, v29, v14, v11
	v_pk_fma_f16 v4, v29, v91, v4
	v_pk_fma_f16 v12, v30, v14, v12
	v_pk_fma_f16 v5, v30, v91, v5
	v_pk_fma_f16 v13, v31, v14, v21
	v_pk_fma_f16 v6, v31, v91, v6
	v_pk_fma_f16 v21, v32, v14, v22
	v_pk_fma_f16 v7, v32, v91, v7
	v_pk_fma_f16 v22, v33, v14, v23
	v_pk_fma_f16 v0, v33, v91, v0
	v_pk_fma_f16 v8, v34, v14, v8
	v_pk_fma_f16 v1, v34, v91, v1
	v_pk_fma_f16 v9, v35, v14, v9
	v_pk_fma_f16 v2, v35, v91, v2
	v_pk_fma_f16 v10, v36, v14, v10
	v_pk_fma_f16 v3, v36, v91, v3
	s_barrier_signal -1
	s_barrier_wait -1
	global_inv scope:SCOPE_SE
	s_load_b32 s5, s[8:9], 0x4
	v_lshrrev_b32_e32 v119, 16, v17
	v_and_b32_e32 v17, 0xffff, v17
	v_mul_u32_u24_e32 v16, 0x10001, v16
	v_mul_u32_u24_e32 v118, 0x10001, v118
	v_pk_fma_f16 v11, v37, v15, v11
	v_pk_fma_f16 v4, v37, v102, v4
	v_pk_fma_f16 v12, v38, v15, v12
	v_pk_fma_f16 v5, v38, v102, v5
	v_pk_fma_f16 v13, v39, v15, v13
	v_pk_fma_f16 v6, v39, v102, v6
	v_pk_fma_f16 v14, v40, v15, v21
	v_pk_fma_f16 v7, v40, v102, v7
	v_pk_fma_f16 v21, v41, v15, v22
	v_pk_fma_f16 v0, v41, v102, v0
	v_pk_fma_f16 v8, v42, v15, v8
	v_pk_fma_f16 v1, v42, v102, v1
	v_pk_fma_f16 v9, v43, v15, v9
	v_pk_fma_f16 v2, v43, v102, v2
	v_pk_fma_f16 v10, v44, v15, v10
	v_pk_fma_f16 v3, v44, v102, v3
	v_lshrrev_b32_e32 v120, 16, v18
	v_and_b32_e32 v18, 0xffff, v18
	v_mul_u32_u24_e32 v17, 0x10001, v17
	v_mul_u32_u24_e32 v119, 0x10001, v119
	v_pk_fma_f16 v11, v45, v16, v11
	v_pk_fma_f16 v4, v45, v118, v4
	v_pk_fma_f16 v12, v46, v16, v12
	v_pk_fma_f16 v5, v46, v118, v5
	v_pk_fma_f16 v13, v47, v16, v13
	v_pk_fma_f16 v6, v47, v118, v6
	v_pk_fma_f16 v14, v48, v16, v14
	v_pk_fma_f16 v7, v48, v118, v7
	v_pk_fma_f16 v15, v49, v16, v21
	v_pk_fma_f16 v0, v49, v118, v0
	v_pk_fma_f16 v8, v50, v16, v8
	v_pk_fma_f16 v1, v50, v118, v1
	v_pk_fma_f16 v9, v51, v16, v9
	v_pk_fma_f16 v2, v51, v118, v2
	v_pk_fma_f16 v10, v52, v16, v10
	v_pk_fma_f16 v3, v52, v118, v3
	;; [unrolled: 20-line block ×3, first 2 shown]
	v_mul_u32_u24_e32 v19, 0x10001, v19
	v_mul_u32_u24_e32 v135, 0x10001, v121
	v_pk_fma_f16 v11, v61, v18, v11
	v_pk_fma_f16 v4, v61, v120, v4
	;; [unrolled: 1-line block ×16, first 2 shown]
	s_wait_kmcnt 0x0
	s_lshl_b32 s5, s5, 6
	v_pk_fma_f16 v129, v69, v19, v11
	v_pk_fma_f16 v122, v69, v135, v4
	v_pk_fma_f16 v134, v70, v19, v12
	v_pk_fma_f16 v126, v70, v135, v5
	v_pk_fma_f16 v132, v71, v19, v13
	v_pk_fma_f16 v124, v71, v135, v6
	v_pk_fma_f16 v133, v72, v19, v14
	v_pk_fma_f16 v125, v72, v135, v7
	v_pk_fma_f16 v130, v73, v19, v15
	v_pk_fma_f16 v121, v73, v135, v0
	v_pk_fma_f16 v131, v74, v19, v8
	v_pk_fma_f16 v123, v74, v135, v1
	v_pk_fma_f16 v127, v75, v19, v9
	v_pk_fma_f16 v120, v75, v135, v2
	v_pk_fma_f16 v128, v76, v19, v10
	v_pk_fma_f16 v119, v76, v135, v3
	s_wait_alu 0xfffe
	s_add_co_i32 s4, s5, s4
	s_wait_alu 0xfffe
	s_cmp_ge_i32 s4, s30
	s_cbranch_scc1 .LBB26_31
; %bb.30:                               ;   in Loop: Header=BB26_13 Depth=1
	v_dual_mov_b32 v136, v99 :: v_dual_mov_b32 v137, v100
	v_dual_mov_b32 v135, v101 :: v_dual_mov_b32 v118, v20
	s_branch .LBB26_13
.LBB26_31:
	v_mov_b32_e32 v0, v106
.LBB26_32:
	v_cmp_lt_i32_e32 vcc_lo, v142, v107
	s_cmp_lg_u64 s[12:13], 0
	s_cselect_b32 s3, -1, 0
	s_cmp_eq_u32 s2, 0
	s_wait_alu 0xfffd
	v_cndmask_b32_e32 v1, v0, v142, vcc_lo
	v_cmp_lt_i32_e32 vcc_lo, v138, v107
	s_cselect_b32 s4, -1, 0
	s_wait_alu 0xfffe
	s_and_b32 s3, s4, s3
	v_lshlrev_b32_e32 v1, 2, v1
	s_wait_alu 0xfffd
	v_cndmask_b32_e32 v3, v0, v138, vcc_lo
	v_cmp_lt_i32_e32 vcc_lo, v139, v107
	ds_bpermute_b32 v2, v1, v101
	v_lshlrev_b32_e32 v3, 2, v3
	s_wait_alu 0xfffd
	v_cndmask_b32_e32 v5, v0, v139, vcc_lo
	v_cmp_lt_i32_e32 vcc_lo, v140, v107
	s_wait_dscnt 0x0
	s_delay_alu instid0(VALU_DEP_2)
	v_dual_add_f32 v2, v101, v2 :: v_dual_lshlrev_b32 v5, 2, v5
	ds_bpermute_b32 v1, v1, v20
	ds_bpermute_b32 v4, v3, v2
	s_wait_dscnt 0x0
	v_dual_add_f32 v2, v2, v4 :: v_dual_add_f32 v1, v20, v1
	ds_bpermute_b32 v3, v3, v1
	s_wait_dscnt 0x0
	v_add_f32_e32 v1, v1, v3
	ds_bpermute_b32 v3, v5, v2
	ds_bpermute_b32 v4, v5, v1
	s_wait_alu 0xfffd
	v_cndmask_b32_e32 v5, v0, v140, vcc_lo
	v_cmp_lt_i32_e32 vcc_lo, v141, v107
	s_delay_alu instid0(VALU_DEP_2) | instskip(SKIP_4) | instid1(VALU_DEP_1)
	v_lshlrev_b32_e32 v5, 2, v5
	s_wait_alu 0xfffd
	v_cndmask_b32_e32 v0, v0, v141, vcc_lo
	s_wait_alu 0xfffe
	s_and_b32 vcc_lo, exec_lo, s3
	v_lshlrev_b32_e32 v0, 2, v0
	s_wait_dscnt 0x0
	v_dual_add_f32 v2, v2, v3 :: v_dual_add_f32 v1, v1, v4
	ds_bpermute_b32 v3, v5, v2
	ds_bpermute_b32 v4, v5, v1
	s_wait_dscnt 0x0
	v_dual_add_f32 v2, v2, v3 :: v_dual_add_f32 v1, v1, v4
	ds_bpermute_b32 v3, v0, v2
	ds_bpermute_b32 v0, v0, v1
	s_wait_dscnt 0x0
	v_dual_add_f32 v2, v2, v3 :: v_dual_add_f32 v3, v1, v0
	s_wait_alu 0xfffe
	s_cbranch_vccz .LBB26_35
; %bb.33:
	v_add_nc_u32_e32 v0, s33, v103
	s_delay_alu instid0(VALU_DEP_1) | instskip(NEXT) | instid1(VALU_DEP_1)
	v_ashrrev_i32_e32 v1, 31, v0
	v_lshlrev_b64_e32 v[0:1], 2, v[0:1]
	s_delay_alu instid0(VALU_DEP_1) | instskip(SKIP_1) | instid1(VALU_DEP_2)
	v_add_co_u32 v0, vcc_lo, s12, v0
	s_wait_alu 0xfffd
	v_add_co_ci_u32_e64 v1, null, s13, v1, vcc_lo
	global_load_b64 v[0:1], v[0:1], off
	v_max_num_f32_e32 v4, v99, v99
	v_max_num_f32_e32 v6, v100, v100
	s_wait_loadcnt 0x0
	v_max_num_f32_e32 v5, v0, v0
	v_max_num_f32_e32 v7, v1, v1
	s_delay_alu instid0(VALU_DEP_1) | instskip(NEXT) | instid1(VALU_DEP_1)
	v_dual_max_num_f32 v4, v4, v5 :: v_dual_max_num_f32 v5, v6, v7
	v_dual_sub_f32 v6, v99, v4 :: v_dual_sub_f32 v7, v100, v5
	v_dual_sub_f32 v1, v1, v5 :: v_dual_sub_f32 v0, v0, v4
	v_mov_b32_e32 v100, v5
	s_delay_alu instid0(VALU_DEP_3) | instskip(SKIP_1) | instid1(VALU_DEP_4)
	v_cmp_ngt_f32_e32 vcc_lo, 0xc2ce8ed0, v6
	v_mov_b32_e32 v99, v4
	v_dual_mul_f32 v11, 0x3fb8aa3b, v1 :: v_dual_mul_f32 v8, 0x3fb8aa3b, v6
	v_mul_f32_e32 v9, 0x3fb8aa3b, v0
	s_delay_alu instid0(VALU_DEP_2) | instskip(NEXT) | instid1(VALU_DEP_3)
	v_fma_f32 v18, 0x3fb8aa3b, v1, -v11
	v_rndne_f32_e32 v13, v8
	v_rndne_f32_e32 v19, v11
	v_fma_f32 v12, 0x3fb8aa3b, v6, -v8
	v_fma_f32 v14, 0x3fb8aa3b, v0, -v9
	v_rndne_f32_e32 v15, v9
	s_delay_alu instid0(VALU_DEP_4) | instskip(SKIP_1) | instid1(VALU_DEP_3)
	v_dual_sub_f32 v8, v8, v13 :: v_dual_sub_f32 v11, v11, v19
	v_fmac_f32_e32 v18, 0x32a5705f, v1
	v_dual_fmac_f32 v12, 0x32a5705f, v6 :: v_dual_sub_f32 v9, v9, v15
	s_delay_alu instid0(VALU_DEP_2) | instskip(SKIP_1) | instid1(VALU_DEP_2)
	v_dual_fmac_f32 v14, 0x32a5705f, v0 :: v_dual_add_f32 v11, v11, v18
	v_mul_f32_e32 v10, 0x3fb8aa3b, v7
	v_dual_add_f32 v8, v8, v12 :: v_dual_add_f32 v9, v9, v14
	v_cvt_i32_f32_e32 v12, v13
	v_cvt_i32_f32_e32 v13, v15
	s_delay_alu instid0(VALU_DEP_4)
	v_fma_f32 v16, 0x3fb8aa3b, v7, -v10
	v_rndne_f32_e32 v17, v10
	v_exp_f32_e32 v8, v8
	v_exp_f32_e32 v9, v9
	v_exp_f32_e32 v11, v11
	v_fmac_f32_e32 v16, 0x32a5705f, v7
	v_sub_f32_e32 v10, v10, v17
	v_cvt_i32_f32_e32 v14, v17
	s_delay_alu instid0(VALU_DEP_2) | instskip(NEXT) | instid1(TRANS32_DEP_3)
	v_add_f32_e32 v10, v10, v16
	v_ldexp_f32 v8, v8, v12
	s_delay_alu instid0(TRANS32_DEP_2) | instskip(SKIP_1) | instid1(VALU_DEP_4)
	v_ldexp_f32 v9, v9, v13
	v_cvt_i32_f32_e32 v12, v19
	v_exp_f32_e32 v10, v10
	s_wait_alu 0xfffd
	v_cndmask_b32_e32 v8, 0, v8, vcc_lo
	v_cmp_ngt_f32_e32 vcc_lo, 0xc2ce8ed0, v7
	v_ldexp_f32 v11, v11, v12
	s_delay_alu instid0(TRANS32_DEP_1) | instskip(SKIP_1) | instid1(VALU_DEP_1)
	v_ldexp_f32 v10, v10, v14
	s_wait_alu 0xfffd
	v_cndmask_b32_e32 v10, 0, v10, vcc_lo
	v_cmp_nlt_f32_e32 vcc_lo, 0x42b17218, v6
	s_wait_alu 0xfffd
	v_cndmask_b32_e32 v6, 0x7f800000, v8, vcc_lo
	v_cmp_ngt_f32_e32 vcc_lo, 0xc2ce8ed0, v0
	s_wait_alu 0xfffd
	v_cndmask_b32_e32 v8, 0, v9, vcc_lo
	v_cmp_nlt_f32_e32 vcc_lo, 0x42b17218, v7
	v_cvt_f16_f32_e32 v9, v6
	s_wait_alu 0xfffd
	v_cndmask_b32_e32 v7, 0x7f800000, v10, vcc_lo
	v_cmp_ngt_f32_e32 vcc_lo, 0xc2ce8ed0, v1
	s_wait_alu 0xfffd
	v_dual_cndmask_b32 v10, 0, v11 :: v_dual_and_b32 v9, 0xffff, v9
	v_cmp_nlt_f32_e32 vcc_lo, 0x42b17218, v0
	s_wait_alu 0xfffd
	v_cndmask_b32_e32 v0, 0x7f800000, v8, vcc_lo
	v_cvt_f16_f32_e32 v8, v7
	v_cmp_nlt_f32_e32 vcc_lo, 0x42b17218, v1
	s_delay_alu instid0(VALU_DEP_3) | instskip(NEXT) | instid1(VALU_DEP_3)
	v_fmac_f32_e32 v0, v2, v6
	v_and_b32_e32 v6, 0xffff, v8
	s_wait_alu 0xfffd
	v_cndmask_b32_e32 v1, 0x7f800000, v10, vcc_lo
	v_mul_u32_u24_e32 v8, 0x10001, v9
	s_delay_alu instid0(VALU_DEP_2) | instskip(SKIP_1) | instid1(VALU_DEP_3)
	v_dual_mov_b32 v2, v0 :: v_dual_fmac_f32 v1, v3, v7
	v_mul_u32_u24_e32 v3, 0x10001, v6
	v_pk_mul_f16 v129, v129, v8
	v_pk_mul_f16 v134, v134, v8
	v_pk_mul_f16 v132, v132, v8
	v_pk_mul_f16 v133, v133, v8
	v_pk_mul_f16 v130, v130, v8
	v_pk_mul_f16 v131, v131, v8
	v_pk_mul_f16 v127, v127, v8
	v_pk_mul_f16 v128, v128, v8
	v_pk_mul_f16 v122, v122, v3
	v_pk_mul_f16 v126, v126, v3
	v_pk_mul_f16 v124, v124, v3
	v_pk_mul_f16 v125, v125, v3
	v_pk_mul_f16 v121, v121, v3
	v_pk_mul_f16 v123, v123, v3
	v_pk_mul_f16 v120, v120, v3
	v_pk_mul_f16 v119, v119, v3
	v_mov_b32_e32 v3, v1
	s_mov_b32 s3, exec_lo
	v_cmpx_gt_i32_e64 s22, v92
	s_cbranch_execnz .LBB26_36
.LBB26_34:
	s_nop 0
	s_sendmsg sendmsg(MSG_DEALLOC_VGPRS)
	s_endpgm
.LBB26_35:
	s_delay_alu instid0(VALU_DEP_1)
	v_dual_mov_b32 v0, v2 :: v_dual_mov_b32 v1, v3
	s_mov_b32 s3, exec_lo
	v_cmpx_gt_i32_e64 s22, v92
	s_cbranch_execz .LBB26_34
.LBB26_36:
	s_load_b32 s1, s[0:1], 0xd4
	v_mov_b32_e32 v6, 1.0
	s_wait_kmcnt 0x0
	s_cmp_lg_u32 s1, 1
	s_cselect_b32 s4, -1, 0
	s_cmp_eq_u32 s1, 1
	s_cselect_b32 s3, -1, 0
	s_wait_alu 0xfffe
	s_and_b32 vcc_lo, exec_lo, s4
	s_wait_alu 0xfffe
	s_cbranch_vccnz .LBB26_38
; %bb.37:
	v_div_scale_f32 v4, null, v2, v2, 1.0
	s_delay_alu instid0(VALU_DEP_1) | instskip(NEXT) | instid1(TRANS32_DEP_1)
	v_rcp_f32_e32 v5, v4
	v_fma_f32 v6, -v4, v5, 1.0
	s_delay_alu instid0(VALU_DEP_1) | instskip(SKIP_1) | instid1(VALU_DEP_1)
	v_fmac_f32_e32 v5, v6, v5
	v_div_scale_f32 v6, vcc_lo, 1.0, v2, 1.0
	v_mul_f32_e32 v7, v6, v5
	s_delay_alu instid0(VALU_DEP_1) | instskip(NEXT) | instid1(VALU_DEP_1)
	v_fma_f32 v8, -v4, v7, v6
	v_fmac_f32_e32 v7, v8, v5
	s_delay_alu instid0(VALU_DEP_1) | instskip(SKIP_1) | instid1(VALU_DEP_1)
	v_fma_f32 v4, -v4, v7, v6
	s_wait_alu 0xfffd
	v_div_fmas_f32 v4, v4, v5, v7
	s_delay_alu instid0(VALU_DEP_1)
	v_div_fixup_f32 v6, v4, v2, 1.0
.LBB26_38:
	v_mad_co_u64_u32 v[4:5], null, s28, s22, v[92:93]
	v_lshrrev_b32_e32 v2, 16, v134
	v_cvt_f32_f16_e64 v7, v134
	v_cvt_f32_f16_e64 v10, v129
	v_mov_b32_e32 v20, 0
	v_lshrrev_b32_e32 v11, 16, v133
	v_cvt_f32_f16_e64 v15, v132
	v_mul_lo_u32 v4, v4, s23
	v_cvt_f32_f16_e32 v2, v2
	v_lshrrev_b32_e32 v8, 16, v129
	v_lshrrev_b32_e32 v17, 16, v131
	v_mul_f32_e32 v9, v6, v7
	v_dual_mul_f32 v7, v6, v10 :: v_dual_mov_b32 v16, v20
	v_cvt_f32_f16_e32 v21, v11
	v_add3_u32 v4, s33, v103, v4
	v_mul_f32_e32 v11, v6, v15
	v_cvt_f32_f16_e64 v12, v133
	v_lshrrev_b32_e32 v14, 16, v132
	v_lshrrev_b32_e32 v28, 16, v130
	v_mad_co_u64_u32 v[4:5], null, s1, v4, s[2:3]
	v_cvt_f32_f16_e32 v5, v8
	v_cvt_f32_f16_e32 v29, v17
	v_dual_mul_f32 v13, v6, v12 :: v_dual_mov_b32 v22, v20
	v_cvt_f32_f16_e32 v12, v14
	v_cvt_f32_f16_e64 v27, v131
	v_lshl_add_u32 v19, v4, 9, v104
	v_mul_f32_e32 v10, v6, v2
	v_mul_f32_e32 v8, v6, v5
	v_cvt_f32_f16_e64 v5, v130
	s_delay_alu instid0(VALU_DEP_4)
	v_dual_mul_f32 v14, v6, v21 :: v_dual_add_nc_u32 v15, 0x80, v19
	v_lshlrev_b64_e32 v[17:18], 2, v[19:20]
	v_add_nc_u32_e32 v21, 0x100, v19
	v_cvt_f32_f16_e32 v2, v28
	v_add_nc_u32_e32 v19, 0x180, v19
	v_lshlrev_b64_e32 v[15:16], 2, v[15:16]
	v_cmp_eq_u32_e32 vcc_lo, 0, v93
	v_add_co_u32 v23, s0, s16, v17
	s_wait_alu 0xf1ff
	v_add_co_ci_u32_e64 v24, null, s17, v18, s0
	s_delay_alu instid0(VALU_DEP_4)
	v_add_co_u32 v25, s0, s16, v15
	v_mul_f32_e32 v15, v6, v5
	v_lshrrev_b32_e32 v5, 16, v127
	v_lshlrev_b64_e32 v[21:22], 2, v[21:22]
	s_wait_alu 0xf1ff
	v_add_co_ci_u32_e64 v26, null, s17, v16, s0
	v_mul_f32_e32 v16, v6, v2
	v_lshrrev_b32_e32 v2, 16, v128
	v_mul_f32_e32 v18, v6, v29
	v_lshlrev_b64_e32 v[29:30], 2, v[19:20]
	v_cvt_f32_f16_e32 v5, v5
	v_mul_f32_e32 v17, v6, v27
	v_add_co_u32 v27, s0, s16, v21
	v_cvt_f32_f16_e32 v2, v2
	v_cvt_f32_f16_e64 v21, v128
	v_cvt_f32_f16_e32 v31, v127
	v_mul_f32_e32 v12, v6, v12
	s_wait_alu 0xf1ff
	v_add_co_ci_u32_e64 v28, null, s17, v22, s0
	v_mul_f32_e32 v20, v6, v5
	v_add_co_u32 v5, s0, s16, v29
	v_mul_f32_e32 v22, v6, v2
	v_mul_f32_e32 v21, v6, v21
	;; [unrolled: 1-line block ×3, first 2 shown]
	s_wait_alu 0xf1ff
	v_add_co_ci_u32_e64 v6, null, s17, v30, s0
	s_and_b32 s0, vcc_lo, s4
	s_clause 0x3
	global_store_b128 v[23:24], v[7:10], off
	global_store_b128 v[25:26], v[11:14], off
	;; [unrolled: 1-line block ×4, first 2 shown]
	s_wait_alu 0xfffe
	s_and_saveexec_b32 s2, s0
	s_cbranch_execz .LBB26_40
; %bb.39:
	v_ashrrev_i32_e32 v5, 31, v4
	v_dual_mov_b32 v7, v99 :: v_dual_mov_b32 v8, v0
	s_delay_alu instid0(VALU_DEP_2) | instskip(NEXT) | instid1(VALU_DEP_1)
	v_lshlrev_b64_e32 v[5:6], 3, v[4:5]
	v_add_co_u32 v5, vcc_lo, s18, v5
	s_wait_alu 0xfffd
	s_delay_alu instid0(VALU_DEP_2)
	v_add_co_ci_u32_e64 v6, null, s19, v6, vcc_lo
	global_store_b64 v[5:6], v[7:8], off
.LBB26_40:
	s_wait_alu 0xfffe
	s_or_b32 exec_lo, exec_lo, s2
	v_mov_b32_e32 v0, 1.0
	s_and_not1_b32 vcc_lo, exec_lo, s3
	s_wait_alu 0xfffe
	s_cbranch_vccnz .LBB26_42
; %bb.41:
	v_div_scale_f32 v0, null, v3, v3, 1.0
	s_delay_alu instid0(VALU_DEP_1) | instskip(NEXT) | instid1(TRANS32_DEP_1)
	v_rcp_f32_e32 v2, v0
	v_fma_f32 v5, -v0, v2, 1.0
	s_delay_alu instid0(VALU_DEP_1) | instskip(SKIP_1) | instid1(VALU_DEP_1)
	v_fmac_f32_e32 v2, v5, v2
	v_div_scale_f32 v5, vcc_lo, 1.0, v3, 1.0
	v_mul_f32_e32 v6, v5, v2
	s_delay_alu instid0(VALU_DEP_1) | instskip(NEXT) | instid1(VALU_DEP_1)
	v_fma_f32 v7, -v0, v6, v5
	v_fmac_f32_e32 v6, v7, v2
	s_delay_alu instid0(VALU_DEP_1) | instskip(SKIP_1) | instid1(VALU_DEP_1)
	v_fma_f32 v0, -v0, v6, v5
	s_wait_alu 0xfffd
	v_div_fmas_f32 v0, v0, v2, v6
	s_delay_alu instid0(VALU_DEP_1)
	v_div_fixup_f32 v0, v0, v3, 1.0
.LBB26_42:
	v_lshrrev_b32_e32 v3, 16, v126
	v_cvt_f32_f16_e32 v6, v122
	v_add_nc_u32_e32 v2, s1, v4
	v_cvt_f32_f16_e32 v4, v126
	v_lshrrev_b32_e32 v5, 16, v122
	v_mov_b32_e32 v16, 0
	v_cvt_f32_f16_e32 v10, v3
	v_mul_f32_e32 v3, v0, v6
	v_lshl_add_u32 v15, v2, 9, v104
	v_cvt_f32_f16_e32 v11, v5
	v_mul_f32_e32 v5, v0, v4
	v_lshrrev_b32_e32 v9, 16, v125
	v_mul_f32_e32 v6, v0, v10
	v_lshlrev_b64_e32 v[7:8], 2, v[15:16]
	v_lshrrev_b32_e32 v10, 16, v124
	v_cvt_f32_f16_e32 v13, v125
	v_cvt_f32_f16_e32 v9, v9
	v_mul_f32_e32 v4, v0, v11
	v_cvt_f32_f16_e32 v17, v124
	v_add_co_u32 v19, vcc_lo, s16, v7
	s_wait_alu 0xfffd
	v_add_co_ci_u32_e64 v20, null, s17, v8, vcc_lo
	v_dual_mov_b32 v8, v16 :: v_dual_add_nc_u32 v7, 0x80, v15
	v_cvt_f32_f16_e32 v14, v10
	v_mul_f32_e32 v10, v0, v9
	v_mul_f32_e32 v9, v0, v13
	v_lshrrev_b32_e32 v13, 16, v123
	v_lshlrev_b64_e32 v[11:12], 2, v[7:8]
	v_mul_f32_e32 v8, v0, v14
	v_mul_f32_e32 v7, v0, v17
	v_lshrrev_b32_e32 v14, 16, v121
	v_cvt_f32_f16_e32 v13, v13
	v_cvt_f32_f16_e32 v17, v123
	v_add_co_u32 v21, vcc_lo, s16, v11
	s_wait_alu 0xfffd
	v_add_co_ci_u32_e64 v22, null, s17, v12, vcc_lo
	v_dual_mov_b32 v12, v16 :: v_dual_add_nc_u32 v11, 0x100, v15
	v_cvt_f32_f16_e32 v23, v14
	v_mul_f32_e32 v14, v0, v13
	v_mul_f32_e32 v13, v0, v17
	v_lshrrev_b32_e32 v25, 16, v119
	v_lshlrev_b64_e32 v[17:18], 2, v[11:12]
	v_lshrrev_b32_e32 v26, 16, v120
	v_add_nc_u32_e32 v15, 0x180, v15
	v_mul_f32_e32 v12, v0, v23
	v_cvt_f32_f16_e32 v24, v121
	v_cvt_f32_f16_e32 v27, v119
	v_add_co_u32 v23, vcc_lo, s16, v17
	v_cvt_f32_f16_e32 v17, v25
	v_cvt_f32_f16_e32 v28, v26
	v_lshlrev_b64_e32 v[25:26], 2, v[15:16]
	v_cvt_f32_f16_e32 v29, v120
	v_mul_f32_e32 v11, v0, v24
	s_wait_alu 0xfffd
	v_add_co_ci_u32_e64 v24, null, s17, v18, vcc_lo
	v_mul_f32_e32 v18, v0, v17
	v_add_co_u32 v25, vcc_lo, s16, v25
	v_mul_f32_e32 v17, v0, v27
	v_mul_f32_e32 v16, v0, v28
	;; [unrolled: 1-line block ×3, first 2 shown]
	s_wait_alu 0xfffd
	v_add_co_ci_u32_e64 v26, null, s17, v26, vcc_lo
	s_clause 0x3
	global_store_b128 v[19:20], v[3:6], off
	global_store_b128 v[21:22], v[7:10], off
	;; [unrolled: 1-line block ×4, first 2 shown]
	s_and_b32 exec_lo, exec_lo, s0
	s_cbranch_execz .LBB26_34
; %bb.43:
	v_ashrrev_i32_e32 v3, 31, v2
	v_mov_b32_e32 v0, v100
	s_delay_alu instid0(VALU_DEP_2) | instskip(NEXT) | instid1(VALU_DEP_1)
	v_lshlrev_b64_e32 v[2:3], 3, v[2:3]
	v_add_co_u32 v2, vcc_lo, s18, v2
	s_wait_alu 0xfffd
	s_delay_alu instid0(VALU_DEP_2)
	v_add_co_ci_u32_e64 v3, null, s19, v3, vcc_lo
	global_store_b64 v[2:3], v[0:1], off
	s_nop 0
	s_sendmsg sendmsg(MSG_DEALLOC_VGPRS)
	s_endpgm
	.section	.rodata,"a",@progbits
	.p2align	6, 0x0
	.amdhsa_kernel _ZL15flash_attn_tileILi576ELi512ELi4ELi4ELb1EEvPKcS1_S1_S1_S1_PKiPfP15HIP_vector_typeIfLj2EEffffjfiS5_IjLj3EEiiiiiiiiiiiliiliiiiil
		.amdhsa_group_segment_fixed_size 29696
		.amdhsa_private_segment_fixed_size 0
		.amdhsa_kernarg_size 464
		.amdhsa_user_sgpr_count 2
		.amdhsa_user_sgpr_dispatch_ptr 0
		.amdhsa_user_sgpr_queue_ptr 0
		.amdhsa_user_sgpr_kernarg_segment_ptr 1
		.amdhsa_user_sgpr_dispatch_id 0
		.amdhsa_user_sgpr_private_segment_size 0
		.amdhsa_wavefront_size32 1
		.amdhsa_uses_dynamic_stack 0
		.amdhsa_enable_private_segment 0
		.amdhsa_system_sgpr_workgroup_id_x 1
		.amdhsa_system_sgpr_workgroup_id_y 1
		.amdhsa_system_sgpr_workgroup_id_z 1
		.amdhsa_system_sgpr_workgroup_info 0
		.amdhsa_system_vgpr_workitem_id 1
		.amdhsa_next_free_vgpr 235
		.amdhsa_next_free_sgpr 43
		.amdhsa_reserve_vcc 1
		.amdhsa_float_round_mode_32 0
		.amdhsa_float_round_mode_16_64 0
		.amdhsa_float_denorm_mode_32 3
		.amdhsa_float_denorm_mode_16_64 3
		.amdhsa_fp16_overflow 0
		.amdhsa_workgroup_processor_mode 1
		.amdhsa_memory_ordered 1
		.amdhsa_forward_progress 1
		.amdhsa_inst_pref_size 189
		.amdhsa_round_robin_scheduling 0
		.amdhsa_exception_fp_ieee_invalid_op 0
		.amdhsa_exception_fp_denorm_src 0
		.amdhsa_exception_fp_ieee_div_zero 0
		.amdhsa_exception_fp_ieee_overflow 0
		.amdhsa_exception_fp_ieee_underflow 0
		.amdhsa_exception_fp_ieee_inexact 0
		.amdhsa_exception_int_div_zero 0
	.end_amdhsa_kernel
	.section	.text._ZL15flash_attn_tileILi576ELi512ELi4ELi4ELb1EEvPKcS1_S1_S1_S1_PKiPfP15HIP_vector_typeIfLj2EEffffjfiS5_IjLj3EEiiiiiiiiiiiliiliiiiil,"axG",@progbits,_ZL15flash_attn_tileILi576ELi512ELi4ELi4ELb1EEvPKcS1_S1_S1_S1_PKiPfP15HIP_vector_typeIfLj2EEffffjfiS5_IjLj3EEiiiiiiiiiiiliiliiiiil,comdat
.Lfunc_end26:
	.size	_ZL15flash_attn_tileILi576ELi512ELi4ELi4ELb1EEvPKcS1_S1_S1_S1_PKiPfP15HIP_vector_typeIfLj2EEffffjfiS5_IjLj3EEiiiiiiiiiiiliiliiiiil, .Lfunc_end26-_ZL15flash_attn_tileILi576ELi512ELi4ELi4ELb1EEvPKcS1_S1_S1_S1_PKiPfP15HIP_vector_typeIfLj2EEffffjfiS5_IjLj3EEiiiiiiiiiiiliiliiiiil
                                        ; -- End function
	.set _ZL15flash_attn_tileILi576ELi512ELi4ELi4ELb1EEvPKcS1_S1_S1_S1_PKiPfP15HIP_vector_typeIfLj2EEffffjfiS5_IjLj3EEiiiiiiiiiiiliiliiiiil.num_vgpr, 235
	.set _ZL15flash_attn_tileILi576ELi512ELi4ELi4ELb1EEvPKcS1_S1_S1_S1_PKiPfP15HIP_vector_typeIfLj2EEffffjfiS5_IjLj3EEiiiiiiiiiiiliiliiiiil.num_agpr, 0
	.set _ZL15flash_attn_tileILi576ELi512ELi4ELi4ELb1EEvPKcS1_S1_S1_S1_PKiPfP15HIP_vector_typeIfLj2EEffffjfiS5_IjLj3EEiiiiiiiiiiiliiliiiiil.numbered_sgpr, 43
	.set _ZL15flash_attn_tileILi576ELi512ELi4ELi4ELb1EEvPKcS1_S1_S1_S1_PKiPfP15HIP_vector_typeIfLj2EEffffjfiS5_IjLj3EEiiiiiiiiiiiliiliiiiil.num_named_barrier, 0
	.set _ZL15flash_attn_tileILi576ELi512ELi4ELi4ELb1EEvPKcS1_S1_S1_S1_PKiPfP15HIP_vector_typeIfLj2EEffffjfiS5_IjLj3EEiiiiiiiiiiiliiliiiiil.private_seg_size, 0
	.set _ZL15flash_attn_tileILi576ELi512ELi4ELi4ELb1EEvPKcS1_S1_S1_S1_PKiPfP15HIP_vector_typeIfLj2EEffffjfiS5_IjLj3EEiiiiiiiiiiiliiliiiiil.uses_vcc, 1
	.set _ZL15flash_attn_tileILi576ELi512ELi4ELi4ELb1EEvPKcS1_S1_S1_S1_PKiPfP15HIP_vector_typeIfLj2EEffffjfiS5_IjLj3EEiiiiiiiiiiiliiliiiiil.uses_flat_scratch, 0
	.set _ZL15flash_attn_tileILi576ELi512ELi4ELi4ELb1EEvPKcS1_S1_S1_S1_PKiPfP15HIP_vector_typeIfLj2EEffffjfiS5_IjLj3EEiiiiiiiiiiiliiliiiiil.has_dyn_sized_stack, 0
	.set _ZL15flash_attn_tileILi576ELi512ELi4ELi4ELb1EEvPKcS1_S1_S1_S1_PKiPfP15HIP_vector_typeIfLj2EEffffjfiS5_IjLj3EEiiiiiiiiiiiliiliiiiil.has_recursion, 0
	.set _ZL15flash_attn_tileILi576ELi512ELi4ELi4ELb1EEvPKcS1_S1_S1_S1_PKiPfP15HIP_vector_typeIfLj2EEffffjfiS5_IjLj3EEiiiiiiiiiiiliiliiiiil.has_indirect_call, 0
	.section	.AMDGPU.csdata,"",@progbits
; Kernel info:
; codeLenInByte = 24132
; TotalNumSgprs: 45
; NumVgprs: 235
; ScratchSize: 0
; MemoryBound: 0
; FloatMode: 240
; IeeeMode: 1
; LDSByteSize: 29696 bytes/workgroup (compile time only)
; SGPRBlocks: 0
; VGPRBlocks: 29
; NumSGPRsForWavesPerEU: 45
; NumVGPRsForWavesPerEU: 235
; Occupancy: 6
; WaveLimiterHint : 1
; COMPUTE_PGM_RSRC2:SCRATCH_EN: 0
; COMPUTE_PGM_RSRC2:USER_SGPR: 2
; COMPUTE_PGM_RSRC2:TRAP_HANDLER: 0
; COMPUTE_PGM_RSRC2:TGID_X_EN: 1
; COMPUTE_PGM_RSRC2:TGID_Y_EN: 1
; COMPUTE_PGM_RSRC2:TGID_Z_EN: 1
; COMPUTE_PGM_RSRC2:TIDIG_COMP_CNT: 1
	.section	.text._ZL15flash_attn_tileILi576ELi512ELi2ELi4ELb1EEvPKcS1_S1_S1_S1_PKiPfP15HIP_vector_typeIfLj2EEffffjfiS5_IjLj3EEiiiiiiiiiiiliiliiiiil,"axG",@progbits,_ZL15flash_attn_tileILi576ELi512ELi2ELi4ELb1EEvPKcS1_S1_S1_S1_PKiPfP15HIP_vector_typeIfLj2EEffffjfiS5_IjLj3EEiiiiiiiiiiiliiliiiiil,comdat
	.globl	_ZL15flash_attn_tileILi576ELi512ELi2ELi4ELb1EEvPKcS1_S1_S1_S1_PKiPfP15HIP_vector_typeIfLj2EEffffjfiS5_IjLj3EEiiiiiiiiiiiliiliiiiil ; -- Begin function _ZL15flash_attn_tileILi576ELi512ELi2ELi4ELb1EEvPKcS1_S1_S1_S1_PKiPfP15HIP_vector_typeIfLj2EEffffjfiS5_IjLj3EEiiiiiiiiiiiliiliiiiil
	.p2align	8
	.type	_ZL15flash_attn_tileILi576ELi512ELi2ELi4ELb1EEvPKcS1_S1_S1_S1_PKiPfP15HIP_vector_typeIfLj2EEffffjfiS5_IjLj3EEiiiiiiiiiiiliiliiiiil,@function
_ZL15flash_attn_tileILi576ELi512ELi2ELi4ELb1EEvPKcS1_S1_S1_S1_PKiPfP15HIP_vector_typeIfLj2EEffffjfiS5_IjLj3EEiiiiiiiiiiiliiliiiiil: ; @_ZL15flash_attn_tileILi576ELi512ELi2ELi4ELb1EEvPKcS1_S1_S1_S1_PKiPfP15HIP_vector_typeIfLj2EEffffjfiS5_IjLj3EEiiiiiiiiiiiliiliiiiil
; %bb.0:
	s_clause 0x1
	s_load_b128 s[20:23], s[0:1], 0x5c
	s_load_b64 s[28:29], s[0:1], 0x80
	s_lshr_b32 s5, ttmp7, 16
	s_load_b64 s[36:37], s[0:1], 0xb8
	s_mov_b32 s35, 0
	s_mov_b64 s[30:31], 0
	s_wait_kmcnt 0x0
	s_ashr_i32 s2, s23, 31
	s_delay_alu instid0(SALU_CYCLE_1) | instskip(NEXT) | instid1(SALU_CYCLE_1)
	s_lshr_b32 s2, s2, 30
	s_add_co_i32 s2, s23, s2
	s_delay_alu instid0(SALU_CYCLE_1) | instskip(NEXT) | instid1(SALU_CYCLE_1)
	s_ashr_i32 s2, s2, 2
	s_cvt_f32_u32 s3, s2
	s_sub_co_i32 s4, 0, s2
	s_delay_alu instid0(SALU_CYCLE_2) | instskip(NEXT) | instid1(TRANS32_DEP_1)
	v_rcp_iflag_f32_e32 v1, s3
	v_readfirstlane_b32 s3, v1
	s_mul_f32 s3, s3, 0x4f7ffffe
	s_wait_alu 0xfffe
	s_delay_alu instid0(SALU_CYCLE_2) | instskip(SKIP_1) | instid1(SALU_CYCLE_2)
	s_cvt_u32_f32 s3, s3
	s_wait_alu 0xfffe
	s_mul_i32 s4, s4, s3
	s_delay_alu instid0(SALU_CYCLE_1) | instskip(NEXT) | instid1(SALU_CYCLE_1)
	s_mul_hi_u32 s4, s3, s4
	s_add_co_i32 s3, s3, s4
	s_wait_alu 0xfffe
	s_mul_hi_u32 s3, s5, s3
	s_wait_alu 0xfffe
	s_mul_i32 s4, s3, s2
	s_add_co_i32 s6, s3, 1
	s_sub_co_i32 s4, s5, s4
	s_delay_alu instid0(SALU_CYCLE_1)
	s_sub_co_i32 s7, s4, s2
	s_cmp_ge_u32 s4, s2
	s_cselect_b32 s3, s6, s3
	s_cselect_b32 s4, s7, s4
	s_wait_alu 0xfffe
	s_add_co_i32 s6, s3, 1
	s_cmp_ge_u32 s4, s2
	s_cselect_b32 s2, s6, s3
	s_abs_i32 s3, s29
	s_abs_i32 s8, s23
	s_wait_alu 0xfffe
	s_cvt_f32_u32 s4, s3
	s_sub_co_i32 s6, 0, s3
	s_lshl_b32 s5, s5, 2
	s_mul_i32 s7, s2, s23
	v_rcp_iflag_f32_e32 v1, s4
	s_sub_co_i32 s33, s5, s7
	s_xor_b32 s5, s23, s29
	s_wait_alu 0xfffe
	s_ashr_i32 s24, s5, 31
	s_delay_alu instid0(TRANS32_DEP_1) | instskip(SKIP_2) | instid1(SALU_CYCLE_2)
	v_readfirstlane_b32 s4, v1
	s_mul_f32 s4, s4, 0x4f7ffffe
	s_wait_alu 0xfffe
	s_cvt_u32_f32 s4, s4
	s_wait_alu 0xfffe
	s_delay_alu instid0(SALU_CYCLE_2) | instskip(NEXT) | instid1(SALU_CYCLE_1)
	s_mul_i32 s6, s6, s4
	s_mul_hi_u32 s6, s4, s6
	s_delay_alu instid0(SALU_CYCLE_1) | instskip(SKIP_4) | instid1(SALU_CYCLE_1)
	s_add_co_i32 s4, s4, s6
	s_wait_alu 0xfffe
	s_mul_hi_u32 s4, s8, s4
	s_wait_alu 0xfffe
	s_mul_i32 s6, s4, s3
	s_sub_co_i32 s5, s8, s6
	s_add_co_i32 s6, s4, 1
	s_wait_alu 0xfffe
	s_sub_co_i32 s7, s5, s3
	s_cmp_ge_u32 s5, s3
	s_cselect_b32 s4, s6, s4
	s_cselect_b32 s5, s7, s5
	s_wait_alu 0xfffe
	s_add_co_i32 s6, s4, 1
	s_cmp_ge_u32 s5, s3
	s_cselect_b32 s3, s6, s4
	s_load_b512 s[4:19], s[0:1], 0x0
	s_xor_b32 s3, s3, s24
	s_wait_alu 0xfffe
	s_sub_co_i32 s38, s3, s24
	s_delay_alu instid0(SALU_CYCLE_1) | instskip(NEXT) | instid1(SALU_CYCLE_1)
	s_abs_i32 s29, s38
	s_cvt_f32_u32 s3, s29
	s_wait_alu 0xfffe
	s_delay_alu instid0(SALU_CYCLE_2) | instskip(SKIP_2) | instid1(TRANS32_DEP_1)
	v_rcp_iflag_f32_e32 v1, s3
	s_wait_kmcnt 0x0
	s_cmp_eq_u64 s[10:11], 0
	v_readfirstlane_b32 s24, v1
	s_cbranch_scc1 .LBB27_2
; %bb.1:
	s_abs_i32 s3, s36
	s_wait_alu 0xfffe
	s_cvt_f32_u32 s25, s3
	s_sub_co_i32 s26, 0, s3
	s_delay_alu instid0(SALU_CYCLE_2) | instskip(NEXT) | instid1(TRANS32_DEP_1)
	v_rcp_iflag_f32_e32 v1, s25
	v_readfirstlane_b32 s25, v1
	s_mul_f32 s25, s25, 0x4f7ffffe
	s_wait_alu 0xfffe
	s_delay_alu instid0(SALU_CYCLE_2) | instskip(SKIP_1) | instid1(SALU_CYCLE_2)
	s_cvt_u32_f32 s25, s25
	s_wait_alu 0xfffe
	s_mul_i32 s26, s26, s25
	s_delay_alu instid0(SALU_CYCLE_1)
	s_mul_hi_u32 s30, s25, s26
	s_load_b64 s[26:27], s[0:1], 0xc8
	s_add_co_i32 s25, s25, s30
	s_wait_alu 0xfffe
	s_mul_hi_u32 s25, s2, s25
	s_wait_alu 0xfffe
	s_mul_i32 s25, s25, s3
	s_wait_alu 0xfffe
	s_sub_co_i32 s25, s2, s25
	s_wait_alu 0xfffe
	s_sub_co_i32 s30, s25, s3
	s_cmp_ge_u32 s25, s3
	s_cselect_b32 s25, s30, s25
	s_wait_alu 0xfffe
	s_sub_co_i32 s30, s25, s3
	s_cmp_ge_u32 s25, s3
	s_cselect_b32 s30, s30, s25
	s_delay_alu instid0(SALU_CYCLE_1) | instskip(SKIP_2) | instid1(SALU_CYCLE_1)
	s_ashr_i32 s31, s30, 31
	s_wait_kmcnt 0x0
	s_mul_u64 s[26:27], s[26:27], s[30:31]
	s_add_nc_u64 s[30:31], s[10:11], s[26:27]
.LBB27_2:
	v_lshrrev_b32_e32 v1, 10, v0
	s_load_b96 s[40:42], s[0:1], 0x70
	v_bfe_u32 v57, v0, 10, 2
	v_and_b32_e32 v49, 0x3ff, v0
	s_delay_alu instid0(VALU_DEP_3) | instskip(NEXT) | instid1(VALU_DEP_1)
	v_bfe_u32 v1, v1, 2, 8
	v_lshl_add_u32 v48, ttmp9, 1, v1
	s_delay_alu instid0(VALU_DEP_1) | instskip(SKIP_3) | instid1(VALU_DEP_1)
	v_mul_hi_u32 v1, s20, v48
	s_wait_kmcnt 0x0
	s_mov_b32 s20, s41
	s_mul_i32 s10, s33, s41
	v_add_nc_u32_e32 v1, v48, v1
	s_ashr_i32 s11, s10, 31
	s_delay_alu instid0(VALU_DEP_1)
	v_lshrrev_b32_e32 v1, s21, v1
	s_ashr_i32 s21, s41, 31
	s_ashr_i32 s41, s40, 31
	s_wait_alu 0xfffe
	s_lshr_b64 s[26:27], s[20:21], 2
	s_lshr_b32 s3, s21, 2
	v_mul_lo_u32 v1, v1, s22
	s_mul_i32 s20, s2, s42
	s_wait_alu 0xfffe
	s_ashr_i32 s21, s20, 31
	s_wait_alu 0xfffe
	s_add_nc_u64 s[4:5], s[4:5], s[20:21]
	s_wait_alu 0xfffe
	s_add_nc_u64 s[4:5], s[4:5], s[10:11]
	v_sub_nc_u32_e32 v3, v48, v1
	v_mad_co_u64_u32 v[1:2], null, s26, v57, 0
	s_lshr_b64 s[26:27], s[40:41], 2
	s_wait_alu 0xfffe
	v_mad_co_u64_u32 v[4:5], null, s26, v3, 0
	v_mad_co_u64_u32 v[6:7], null, s3, v57, v[2:3]
	s_lshr_b32 s3, s41, 2
	s_wait_alu 0xfffe
	v_mad_co_u64_u32 v[7:8], null, s3, v3, v[5:6]
	v_mov_b32_e32 v2, v6
	s_load_b32 s3, s[0:1], 0x40
	v_lshlrev_b32_e32 v6, 4, v49
	s_delay_alu instid0(VALU_DEP_2) | instskip(NEXT) | instid1(VALU_DEP_4)
	v_lshlrev_b64_e32 v[1:2], 2, v[1:2]
	v_mov_b32_e32 v5, v7
	s_delay_alu instid0(VALU_DEP_2) | instskip(NEXT) | instid1(VALU_DEP_2)
	v_add_co_u32 v1, vcc_lo, s4, v1
	v_lshlrev_b64_e32 v[4:5], 2, v[4:5]
	s_delay_alu instid0(VALU_DEP_4)
	v_add_co_ci_u32_e64 v2, null, s5, v2, vcc_lo
	s_mov_b32 s4, exec_lo
	v_add_co_u32 v1, vcc_lo, v1, v4
	s_wait_alu 0xfffd
	v_add_co_ci_u32_e64 v2, null, v2, v5, vcc_lo
	v_bfe_u32 v4, v0, 10, 10
	s_delay_alu instid0(VALU_DEP_3) | instskip(SKIP_1) | instid1(VALU_DEP_3)
	v_add_co_u32 v1, vcc_lo, v1, v6
	s_wait_alu 0xfffd
	v_add_co_ci_u32_e64 v2, null, 0, v2, vcc_lo
	s_clause 0x3
	global_load_b128 v[5:8], v[1:2], off
	global_load_b128 v[9:12], v[1:2], off offset:512
	global_load_b128 v[13:16], v[1:2], off offset:1024
	;; [unrolled: 1-line block ×3, first 2 shown]
	v_lshlrev_b32_e32 v0, 3, v49
	v_mul_u32_u24_e32 v56, 0x480, v4
	s_delay_alu instid0(VALU_DEP_2)
	v_mad_u32_u24 v21, 0x480, v4, v0
	s_wait_loadcnt 0x3
	s_wait_kmcnt 0x0
	v_fma_mixlo_f16 v5, s3, v5, 0
	v_fma_mixlo_f16 v6, s3, v6, 0
	v_fma_mixlo_f16 v7, s3, v7, 0
	v_fma_mixlo_f16 v8, s3, v8, 0
	s_wait_loadcnt 0x2
	v_fma_mixlo_f16 v9, s3, v9, 0
	v_fma_mixlo_f16 v10, s3, v10, 0
	;; [unrolled: 1-line block ×4, first 2 shown]
	s_wait_loadcnt 0x1
	v_fma_mixlo_f16 v13, s3, v13, 0
	v_fma_mixlo_f16 v14, s3, v14, 0
	s_wait_loadcnt 0x0
	v_fma_mixlo_f16 v17, s3, v17, 0
	v_fma_mixlo_f16 v18, s3, v18, 0
	v_lshlrev_b32_e32 v6, 16, v6
	v_and_b32_e32 v5, 0xffff, v5
	v_lshlrev_b32_e32 v8, 16, v8
	v_and_b32_e32 v7, 0xffff, v7
	;; [unrolled: 2-line block ×3, first 2 shown]
	v_fma_mixlo_f16 v15, s3, v15, 0
	v_fma_mixlo_f16 v16, s3, v16, 0
	;; [unrolled: 1-line block ×4, first 2 shown]
	v_lshlrev_b32_e32 v12, 16, v12
	v_and_b32_e32 v11, 0xffff, v11
	v_lshlrev_b32_e32 v14, 16, v14
	v_and_b32_e32 v13, 0xffff, v13
	v_lshlrev_b32_e32 v18, 16, v18
	v_and_b32_e32 v17, 0xffff, v17
	v_or_b32_e32 v5, v6, v5
	v_or3_b32 v6, v8, v7, 0
	v_or_b32_e32 v7, v10, v9
	v_lshlrev_b32_e32 v16, 16, v16
	v_and_b32_e32 v15, 0xffff, v15
	v_lshlrev_b32_e32 v20, 16, v20
	v_and_b32_e32 v19, 0xffff, v19
	v_or3_b32 v8, v12, v11, 0
	v_or_b32_e32 v9, v14, v13
	v_or_b32_e32 v11, v18, v17
	v_or3_b32 v5, 0, 0, v5
	v_or3_b32 v7, 0, 0, v7
	;; [unrolled: 1-line block ×6, first 2 shown]
	ds_store_2addr_b64 v21, v[5:6], v[7:8] offset1:32
	ds_store_2addr_b64 v21, v[9:10], v[11:12] offset0:64 offset1:96
	v_cmpx_gt_u32_e32 16, v49
	s_cbranch_execz .LBB27_4
; %bb.3:
	global_load_b128 v[5:8], v[1:2], off offset:2048
	s_wait_loadcnt 0x0
	v_fma_mixlo_f16 v1, s3, v6, 0
	v_fma_mixlo_f16 v2, s3, v5, 0
	;; [unrolled: 1-line block ×4, first 2 shown]
	s_delay_alu instid0(VALU_DEP_4) | instskip(NEXT) | instid1(VALU_DEP_4)
	v_lshlrev_b32_e32 v1, 16, v1
	v_and_b32_e32 v2, 0xffff, v2
	s_delay_alu instid0(VALU_DEP_4) | instskip(NEXT) | instid1(VALU_DEP_4)
	v_and_b32_e32 v5, 0xffff, v5
	v_lshlrev_b32_e32 v6, 16, v6
	s_delay_alu instid0(VALU_DEP_3) | instskip(NEXT) | instid1(VALU_DEP_2)
	v_or_b32_e32 v1, v1, v2
	v_or3_b32 v2, v6, v5, 0
	v_add_nc_u32_e32 v5, v56, v0
	s_delay_alu instid0(VALU_DEP_3)
	v_or3_b32 v1, 0, 0, v1
	ds_store_b64 v5, v[1:2] offset:1024
.LBB27_4:
	s_wait_alu 0xfffe
	s_or_b32 exec_lo, exec_lo, s4
	s_cmp_eq_u64 s[14:15], 0
	s_wait_dscnt 0x0
	s_barrier_signal -1
	s_barrier_wait -1
	global_inv scope:SCOPE_SE
	s_cbranch_scc1 .LBB27_6
; %bb.5:
	s_load_b32 s3, s[0:1], 0xd0
	s_mov_b32 s5, 0
	s_wait_kmcnt 0x0
	s_mul_i32 s3, s3, s2
	s_wait_alu 0xfffe
	s_add_co_i32 s4, s3, ttmp9
	s_wait_alu 0xfffe
	s_lshl_b64 s[4:5], s[4:5], 2
	s_wait_alu 0xfffe
	s_add_nc_u64 s[4:5], s[14:15], s[4:5]
	s_load_b32 s28, s[4:5], 0x0
.LBB27_6:
	s_and_b32 s4, ttmp7, 0xffff
	v_lshlrev_b32_e32 v58, 2, v49
	v_mbcnt_lo_u32_b32 v59, -1, 0
	s_wait_alu 0xfffe
	s_lshl_b32 s10, s4, 6
	s_wait_kmcnt 0x0
	s_cmp_lt_i32 s10, s28
	s_cbranch_scc1 .LBB27_9
; %bb.7:
	v_mbcnt_lo_u32_b32 v2, -1, 0
	v_mov_b32_e32 v1, 32
	s_delay_alu instid0(VALU_DEP_2)
	v_xor_b32_e32 v82, 16, v2
	v_xor_b32_e32 v81, 8, v2
	;; [unrolled: 1-line block ×5, first 2 shown]
	s_mov_b32 s3, 0
	s_cbranch_execz .LBB27_10
; %bb.8:
	v_dual_mov_b32 v72, 0 :: v_dual_mov_b32 v55, 0xfeffffff
	v_dual_mov_b32 v28, 0 :: v_dual_mov_b32 v73, 0
	;; [unrolled: 1-line block ×5, first 2 shown]
	s_branch .LBB27_22
.LBB27_9:
                                        ; implicit-def: $vgpr2
                                        ; implicit-def: $vgpr1
                                        ; implicit-def: $vgpr82
                                        ; implicit-def: $vgpr81
                                        ; implicit-def: $vgpr83
                                        ; implicit-def: $vgpr84
                                        ; implicit-def: $vgpr85
	s_mov_b32 s3, 0
.LBB27_10:
	s_mul_f32 s5, s24, 0x4f7ffffe
	s_clause 0x1
	s_load_b128 s[24:27], s[0:1], 0x98
	s_load_b64 s[20:21], s[0:1], 0x8c
	s_sub_co_i32 s14, 0, s29
	v_lshrrev_b32_e32 v1, 3, v49
	s_cvt_u32_f32 s11, s5
	v_dual_mov_b32 v74, 0 :: v_dual_and_b32 v9, 28, v58
	s_abs_i32 s34, s33
	s_delay_alu instid0(SALU_CYCLE_1)
	s_mul_i32 s14, s14, s11
	s_mov_b32 s15, s35
	s_mul_hi_u32 s14, s11, s14
	s_load_b32 s5, s[0:1], 0x54
	s_add_co_i32 s14, s11, s14
	s_ashr_i32 s11, s38, 31
	s_mul_u64 s[14:15], s[34:35], s[14:15]
	s_ashr_i32 s38, s37, 1
	s_load_b64 s[36:37], s[0:1], 0xa8
	s_mul_i32 s35, s15, s29
	v_lshl_add_u32 v2, v4, 2, v1
	v_dual_mov_b32 v80, 0xfeffffff :: v_dual_lshlrev_b32 v5, 2, v9
	s_ashr_i32 s39, s33, 31
	s_wait_kmcnt 0x0
	s_ashr_i32 s14, s26, 2
	s_sub_co_i32 s26, s34, s35
	s_xor_b32 s11, s39, s11
	s_add_co_i32 s39, s15, 1
	s_ashr_i32 s20, s20, 2
	s_wait_alu 0xfffe
	s_sub_co_i32 s34, s26, s29
	s_cmp_ge_u32 s26, s29
	v_mad_u32_u24 v6, 0x90, v2, v5
	v_mul_lo_u32 v5, s14, v4
	s_cselect_b32 s15, s39, s15
	s_cselect_b32 s26, s34, s26
	s_wait_alu 0xfffe
	s_add_co_i32 s34, s15, 1
	s_cmp_ge_u32 s26, s29
	v_mul_lo_u32 v1, s20, v2
	s_cselect_b32 s15, s34, s15
	v_dual_mov_b32 v75, 0 :: v_dual_add_nc_u32 v60, 0x2400, v6
	v_dual_mov_b32 v76, 0 :: v_dual_add_nc_u32 v61, 0x3600, v6
	v_dual_mov_b32 v77, 0 :: v_dual_lshlrev_b32 v10, 2, v58
	v_ashrrev_i32_e32 v6, 31, v5
	s_wait_alu 0xfffe
	s_xor_b32 s15, s15, s11
	s_mul_u64 s[24:25], s[24:25], s[2:3]
	s_wait_alu 0xfffe
	s_sub_co_i32 s11, s15, s11
	s_mul_u64 s[34:35], s[36:37], s[2:3]
	s_add_nc_u64 s[6:7], s[6:7], s[24:25]
	s_mul_i32 s24, s11, s27
	v_lshl_add_u32 v63, v4, 7, 0x4800
	v_lshl_add_u32 v11, v4, 10, v10
	v_lshlrev_b64_e32 v[4:5], 2, v[5:6]
	s_add_nc_u64 s[8:9], s[8:9], s[34:35]
	s_wait_alu 0xfffe
	s_ashr_i32 s25, s24, 31
	v_lshl_add_u32 v7, s20, 5, v1
	s_wait_alu 0xfffe
	s_add_nc_u64 s[8:9], s[8:9], s[24:25]
	v_mad_co_u64_u32 v[50:51], null, v3, s38, v[49:50]
	v_add_co_u32 v3, vcc_lo, s8, v4
	v_ashrrev_i32_e32 v2, 31, v1
	v_ashrrev_i32_e32 v8, 31, v7
	s_wait_alu 0xfffd
	v_add_co_ci_u32_e64 v4, null, s9, v5, vcc_lo
	s_movk_i32 s3, 0x2400
	v_add_co_u32 v68, vcc_lo, v3, v10
	s_mul_i32 s36, s11, s21
	v_lshlrev_b64_e32 v[51:52], 2, v[1:2]
	v_lshlrev_b64_e32 v[53:54], 2, v[7:8]
	s_wait_alu 0xfffe
	v_mad_u32_u24 v62, 0x90, v49, s3
	v_lshl_add_u32 v64, v49, 1, v63
	v_dual_mov_b32 v78, 0 :: v_dual_add_nc_u32 v65, 0x2400, v11
	v_dual_mov_b32 v79, 0 :: v_dual_add_nc_u32 v66, 0x2600, v11
	;; [unrolled: 1-line block ×3, first 2 shown]
	s_wait_alu 0xfffd
	v_add_co_ci_u32_e64 v69, null, 0, v4, vcc_lo
	v_dual_mov_b32 v73, 0 :: v_dual_lshlrev_b32 v70, 2, v9
	v_mov_b32_e32 v71, 0
	s_ashr_i32 s37, s36, 31
	s_ashr_i32 s21, s20, 31
	s_add_nc_u64 s[6:7], s[6:7], s[36:37]
	s_ashr_i32 s15, s14, 31
	s_add_nc_u64 s[8:9], s[0:1], 0xd0
	s_mov_b32 s3, 0xbbbac73d
.LBB27_11:                              ; =>This Inner Loop Header: Depth=1
	s_ashr_i32 s11, s10, 31
	s_wait_alu 0xfffe
	s_mul_u64 s[24:25], s[10:11], s[20:21]
	s_wait_alu 0xfffe
	s_lshl_b64 s[24:25], s[24:25], 2
	s_wait_alu 0xfffe
	s_add_nc_u64 s[24:25], s[6:7], s[24:25]
	s_wait_alu 0xfffe
	v_add_co_u32 v0, vcc_lo, s24, v51
	s_wait_alu 0xfffd
	v_add_co_ci_u32_e64 v1, null, s25, v52, vcc_lo
	v_add_co_u32 v2, vcc_lo, s24, v53
	s_wait_alu 0xfffd
	v_add_co_ci_u32_e64 v3, null, s25, v54, vcc_lo
	;; [unrolled: 3-line block ×4, first 2 shown]
	s_clause 0x1
	global_load_b128 v[4:7], v[0:1], off
	global_load_b128 v[8:11], v[2:3], off
	s_wait_loadcnt 0x1
	ds_store_b128 v60, v[4:7]
	s_wait_loadcnt 0x0
	ds_store_b128 v61, v[8:11]
	s_wait_dscnt 0x0
	s_barrier_signal -1
	s_barrier_wait -1
	global_inv scope:SCOPE_SE
	ds_load_b128 v[6:9], v62
	ds_load_b128 v[10:13], v56
	ds_load_b128 v[14:17], v62 offset:4608
	v_dual_mov_b32 v4, 0 :: v_dual_mov_b32 v5, 0
	s_wait_dscnt 0x1
	;;#ASMSTART
	v_dot2_f32_f16 v4, v6, v10, v4
	;;#ASMEND
	;;#ASMSTART
	v_dot2_f32_f16 v4, v7, v11, v4
	;;#ASMEND
	;;#ASMSTART
	v_dot2_f32_f16 v4, v8, v12, v4
	;;#ASMEND
	;;#ASMSTART
	v_dot2_f32_f16 v4, v9, v13, v4
	;;#ASMEND
	s_wait_dscnt 0x0
	;;#ASMSTART
	v_dot2_f32_f16 v5, v14, v10, v5
	;;#ASMEND
	;;#ASMSTART
	v_dot2_f32_f16 v5, v15, v11, v5
	;;#ASMEND
	;;#ASMSTART
	v_dot2_f32_f16 v5, v16, v12, v5
	;;#ASMEND
	;;#ASMSTART
	v_dot2_f32_f16 v5, v17, v13, v5
	;;#ASMEND
	ds_load_b128 v[6:9], v62 offset:16
	ds_load_b128 v[10:13], v56 offset:16
	ds_load_b128 v[14:17], v62 offset:4624
	s_wait_dscnt 0x1
	;;#ASMSTART
	v_dot2_f32_f16 v4, v6, v10, v4
	;;#ASMEND
	;;#ASMSTART
	v_dot2_f32_f16 v4, v7, v11, v4
	;;#ASMEND
	;;#ASMSTART
	v_dot2_f32_f16 v4, v8, v12, v4
	;;#ASMEND
	;;#ASMSTART
	v_dot2_f32_f16 v4, v9, v13, v4
	;;#ASMEND
	s_wait_dscnt 0x0
	;;#ASMSTART
	v_dot2_f32_f16 v5, v14, v10, v5
	;;#ASMEND
	;;#ASMSTART
	v_dot2_f32_f16 v5, v15, v11, v5
	;;#ASMEND
	;;#ASMSTART
	v_dot2_f32_f16 v5, v16, v12, v5
	;;#ASMEND
	;;#ASMSTART
	v_dot2_f32_f16 v5, v17, v13, v5
	;;#ASMEND
	ds_load_b128 v[6:9], v62 offset:32
	ds_load_b128 v[10:13], v56 offset:32
	ds_load_b128 v[14:17], v62 offset:4640
	s_wait_dscnt 0x1
	;;#ASMSTART
	v_dot2_f32_f16 v4, v6, v10, v4
	;;#ASMEND
	;;#ASMSTART
	v_dot2_f32_f16 v4, v7, v11, v4
	;;#ASMEND
	;;#ASMSTART
	v_dot2_f32_f16 v4, v8, v12, v4
	;;#ASMEND
	;;#ASMSTART
	v_dot2_f32_f16 v4, v9, v13, v4
	;;#ASMEND
	s_wait_dscnt 0x0
	;;#ASMSTART
	v_dot2_f32_f16 v5, v14, v10, v5
	;;#ASMEND
	;;#ASMSTART
	v_dot2_f32_f16 v5, v15, v11, v5
	;;#ASMEND
	;;#ASMSTART
	v_dot2_f32_f16 v5, v16, v12, v5
	;;#ASMEND
	;;#ASMSTART
	v_dot2_f32_f16 v5, v17, v13, v5
	;;#ASMEND
	ds_load_b128 v[6:9], v62 offset:48
	ds_load_b128 v[10:13], v56 offset:48
	ds_load_b128 v[14:17], v62 offset:4656
	s_wait_dscnt 0x1
	;;#ASMSTART
	v_dot2_f32_f16 v4, v6, v10, v4
	;;#ASMEND
	;;#ASMSTART
	v_dot2_f32_f16 v4, v7, v11, v4
	;;#ASMEND
	;;#ASMSTART
	v_dot2_f32_f16 v4, v8, v12, v4
	;;#ASMEND
	;;#ASMSTART
	v_dot2_f32_f16 v4, v9, v13, v4
	;;#ASMEND
	s_wait_dscnt 0x0
	;;#ASMSTART
	v_dot2_f32_f16 v5, v14, v10, v5
	;;#ASMEND
	;;#ASMSTART
	v_dot2_f32_f16 v5, v15, v11, v5
	;;#ASMEND
	;;#ASMSTART
	v_dot2_f32_f16 v5, v16, v12, v5
	;;#ASMEND
	;;#ASMSTART
	v_dot2_f32_f16 v5, v17, v13, v5
	;;#ASMEND
	ds_load_b128 v[6:9], v62 offset:64
	ds_load_b128 v[10:13], v56 offset:64
	ds_load_b128 v[14:17], v62 offset:4672
	s_wait_dscnt 0x1
	;;#ASMSTART
	v_dot2_f32_f16 v4, v6, v10, v4
	;;#ASMEND
	;;#ASMSTART
	v_dot2_f32_f16 v4, v7, v11, v4
	;;#ASMEND
	;;#ASMSTART
	v_dot2_f32_f16 v4, v8, v12, v4
	;;#ASMEND
	;;#ASMSTART
	v_dot2_f32_f16 v4, v9, v13, v4
	;;#ASMEND
	s_wait_dscnt 0x0
	;;#ASMSTART
	v_dot2_f32_f16 v5, v14, v10, v5
	;;#ASMEND
	;;#ASMSTART
	v_dot2_f32_f16 v5, v15, v11, v5
	;;#ASMEND
	;;#ASMSTART
	v_dot2_f32_f16 v5, v16, v12, v5
	;;#ASMEND
	;;#ASMSTART
	v_dot2_f32_f16 v5, v17, v13, v5
	;;#ASMEND
	ds_load_b128 v[6:9], v62 offset:80
	ds_load_b128 v[10:13], v56 offset:80
	ds_load_b128 v[14:17], v62 offset:4688
	s_wait_dscnt 0x1
	;;#ASMSTART
	v_dot2_f32_f16 v4, v6, v10, v4
	;;#ASMEND
	;;#ASMSTART
	v_dot2_f32_f16 v4, v7, v11, v4
	;;#ASMEND
	;;#ASMSTART
	v_dot2_f32_f16 v4, v8, v12, v4
	;;#ASMEND
	;;#ASMSTART
	v_dot2_f32_f16 v4, v9, v13, v4
	;;#ASMEND
	s_wait_dscnt 0x0
	;;#ASMSTART
	v_dot2_f32_f16 v5, v14, v10, v5
	;;#ASMEND
	;;#ASMSTART
	v_dot2_f32_f16 v5, v15, v11, v5
	;;#ASMEND
	;;#ASMSTART
	v_dot2_f32_f16 v5, v16, v12, v5
	;;#ASMEND
	;;#ASMSTART
	v_dot2_f32_f16 v5, v17, v13, v5
	;;#ASMEND
	ds_load_b128 v[6:9], v62 offset:96
	ds_load_b128 v[10:13], v56 offset:96
	ds_load_b128 v[14:17], v62 offset:4704
	s_wait_dscnt 0x1
	;;#ASMSTART
	v_dot2_f32_f16 v4, v6, v10, v4
	;;#ASMEND
	;;#ASMSTART
	v_dot2_f32_f16 v4, v7, v11, v4
	;;#ASMEND
	;;#ASMSTART
	v_dot2_f32_f16 v4, v8, v12, v4
	;;#ASMEND
	;;#ASMSTART
	v_dot2_f32_f16 v4, v9, v13, v4
	;;#ASMEND
	s_wait_dscnt 0x0
	;;#ASMSTART
	v_dot2_f32_f16 v5, v14, v10, v5
	;;#ASMEND
	;;#ASMSTART
	v_dot2_f32_f16 v5, v15, v11, v5
	;;#ASMEND
	;;#ASMSTART
	v_dot2_f32_f16 v5, v16, v12, v5
	;;#ASMEND
	;;#ASMSTART
	v_dot2_f32_f16 v5, v17, v13, v5
	;;#ASMEND
	ds_load_b128 v[6:9], v62 offset:112
	ds_load_b128 v[10:13], v56 offset:112
	ds_load_b128 v[14:17], v62 offset:4720
	s_wait_dscnt 0x1
	;;#ASMSTART
	v_dot2_f32_f16 v4, v6, v10, v4
	;;#ASMEND
	;;#ASMSTART
	v_dot2_f32_f16 v4, v7, v11, v4
	;;#ASMEND
	;; [unrolled: 3-line block ×4, first 2 shown]
	s_wait_dscnt 0x0
	;;#ASMSTART
	v_dot2_f32_f16 v5, v14, v10, v5
	;;#ASMEND
	;;#ASMSTART
	v_dot2_f32_f16 v5, v15, v11, v5
	;;#ASMEND
	;; [unrolled: 3-line block ×4, first 2 shown]
	s_wait_loadcnt 0x0
	s_barrier_signal -1
	s_barrier_wait -1
	global_inv scope:SCOPE_SE
	s_clause 0x1
	global_load_b128 v[6:9], v[0:1], off offset:128
	global_load_b128 v[10:13], v[2:3], off offset:128
	s_wait_loadcnt 0x1
	ds_store_b128 v60, v[6:9]
	s_wait_loadcnt 0x0
	ds_store_b128 v61, v[10:13]
	s_wait_dscnt 0x0
	s_barrier_signal -1
	s_barrier_wait -1
	global_inv scope:SCOPE_SE
	ds_load_b128 v[6:9], v62
	ds_load_b128 v[10:13], v56 offset:128
	ds_load_b128 v[14:17], v62 offset:4608
	s_wait_dscnt 0x1
	;;#ASMSTART
	v_dot2_f32_f16 v4, v6, v10, v4
	;;#ASMEND
	;;#ASMSTART
	v_dot2_f32_f16 v4, v7, v11, v4
	;;#ASMEND
	;;#ASMSTART
	v_dot2_f32_f16 v4, v8, v12, v4
	;;#ASMEND
	;;#ASMSTART
	v_dot2_f32_f16 v4, v9, v13, v4
	;;#ASMEND
	s_wait_dscnt 0x0
	;;#ASMSTART
	v_dot2_f32_f16 v5, v14, v10, v5
	;;#ASMEND
	;;#ASMSTART
	v_dot2_f32_f16 v5, v15, v11, v5
	;;#ASMEND
	;;#ASMSTART
	v_dot2_f32_f16 v5, v16, v12, v5
	;;#ASMEND
	;;#ASMSTART
	v_dot2_f32_f16 v5, v17, v13, v5
	;;#ASMEND
	ds_load_b128 v[6:9], v62 offset:16
	ds_load_b128 v[10:13], v56 offset:144
	ds_load_b128 v[14:17], v62 offset:4624
	s_wait_dscnt 0x1
	;;#ASMSTART
	v_dot2_f32_f16 v4, v6, v10, v4
	;;#ASMEND
	;;#ASMSTART
	v_dot2_f32_f16 v4, v7, v11, v4
	;;#ASMEND
	;;#ASMSTART
	v_dot2_f32_f16 v4, v8, v12, v4
	;;#ASMEND
	;;#ASMSTART
	v_dot2_f32_f16 v4, v9, v13, v4
	;;#ASMEND
	s_wait_dscnt 0x0
	;;#ASMSTART
	v_dot2_f32_f16 v5, v14, v10, v5
	;;#ASMEND
	;;#ASMSTART
	v_dot2_f32_f16 v5, v15, v11, v5
	;;#ASMEND
	;;#ASMSTART
	v_dot2_f32_f16 v5, v16, v12, v5
	;;#ASMEND
	;;#ASMSTART
	v_dot2_f32_f16 v5, v17, v13, v5
	;;#ASMEND
	ds_load_b128 v[6:9], v62 offset:32
	;; [unrolled: 29-line block ×7, first 2 shown]
	ds_load_b128 v[10:13], v56 offset:240
	ds_load_b128 v[14:17], v62 offset:4720
	s_wait_dscnt 0x1
	;;#ASMSTART
	v_dot2_f32_f16 v4, v6, v10, v4
	;;#ASMEND
	;;#ASMSTART
	v_dot2_f32_f16 v4, v7, v11, v4
	;;#ASMEND
	;;#ASMSTART
	v_dot2_f32_f16 v4, v8, v12, v4
	;;#ASMEND
	;;#ASMSTART
	v_dot2_f32_f16 v4, v9, v13, v4
	;;#ASMEND
	s_wait_dscnt 0x0
	;;#ASMSTART
	v_dot2_f32_f16 v5, v14, v10, v5
	;;#ASMEND
	;;#ASMSTART
	v_dot2_f32_f16 v5, v15, v11, v5
	;;#ASMEND
	;; [unrolled: 3-line block ×4, first 2 shown]
	s_wait_loadcnt 0x0
	s_barrier_signal -1
	s_barrier_wait -1
	global_inv scope:SCOPE_SE
	s_clause 0x1
	global_load_b128 v[6:9], v[0:1], off offset:256
	global_load_b128 v[10:13], v[2:3], off offset:256
	s_wait_loadcnt 0x1
	ds_store_b128 v60, v[6:9]
	s_wait_loadcnt 0x0
	ds_store_b128 v61, v[10:13]
	s_wait_dscnt 0x0
	s_barrier_signal -1
	s_barrier_wait -1
	global_inv scope:SCOPE_SE
	ds_load_b128 v[6:9], v62
	ds_load_b128 v[10:13], v56 offset:256
	ds_load_b128 v[14:17], v62 offset:4608
	s_wait_dscnt 0x1
	;;#ASMSTART
	v_dot2_f32_f16 v4, v6, v10, v4
	;;#ASMEND
	;;#ASMSTART
	v_dot2_f32_f16 v4, v7, v11, v4
	;;#ASMEND
	;;#ASMSTART
	v_dot2_f32_f16 v4, v8, v12, v4
	;;#ASMEND
	;;#ASMSTART
	v_dot2_f32_f16 v4, v9, v13, v4
	;;#ASMEND
	s_wait_dscnt 0x0
	;;#ASMSTART
	v_dot2_f32_f16 v5, v14, v10, v5
	;;#ASMEND
	;;#ASMSTART
	v_dot2_f32_f16 v5, v15, v11, v5
	;;#ASMEND
	;;#ASMSTART
	v_dot2_f32_f16 v5, v16, v12, v5
	;;#ASMEND
	;;#ASMSTART
	v_dot2_f32_f16 v5, v17, v13, v5
	;;#ASMEND
	ds_load_b128 v[6:9], v62 offset:16
	ds_load_b128 v[10:13], v56 offset:272
	ds_load_b128 v[14:17], v62 offset:4624
	s_wait_dscnt 0x1
	;;#ASMSTART
	v_dot2_f32_f16 v4, v6, v10, v4
	;;#ASMEND
	;;#ASMSTART
	v_dot2_f32_f16 v4, v7, v11, v4
	;;#ASMEND
	;;#ASMSTART
	v_dot2_f32_f16 v4, v8, v12, v4
	;;#ASMEND
	;;#ASMSTART
	v_dot2_f32_f16 v4, v9, v13, v4
	;;#ASMEND
	s_wait_dscnt 0x0
	;;#ASMSTART
	v_dot2_f32_f16 v5, v14, v10, v5
	;;#ASMEND
	;;#ASMSTART
	v_dot2_f32_f16 v5, v15, v11, v5
	;;#ASMEND
	;;#ASMSTART
	v_dot2_f32_f16 v5, v16, v12, v5
	;;#ASMEND
	;;#ASMSTART
	v_dot2_f32_f16 v5, v17, v13, v5
	;;#ASMEND
	ds_load_b128 v[6:9], v62 offset:32
	;; [unrolled: 29-line block ×7, first 2 shown]
	ds_load_b128 v[10:13], v56 offset:368
	ds_load_b128 v[14:17], v62 offset:4720
	s_wait_dscnt 0x1
	;;#ASMSTART
	v_dot2_f32_f16 v4, v6, v10, v4
	;;#ASMEND
	;;#ASMSTART
	v_dot2_f32_f16 v4, v7, v11, v4
	;;#ASMEND
	;; [unrolled: 3-line block ×4, first 2 shown]
	s_wait_dscnt 0x0
	;;#ASMSTART
	v_dot2_f32_f16 v5, v14, v10, v5
	;;#ASMEND
	;;#ASMSTART
	v_dot2_f32_f16 v5, v15, v11, v5
	;;#ASMEND
	;; [unrolled: 3-line block ×4, first 2 shown]
	s_wait_loadcnt 0x0
	s_barrier_signal -1
	s_barrier_wait -1
	global_inv scope:SCOPE_SE
	s_clause 0x1
	global_load_b128 v[6:9], v[0:1], off offset:384
	global_load_b128 v[10:13], v[2:3], off offset:384
	s_wait_loadcnt 0x1
	ds_store_b128 v60, v[6:9]
	s_wait_loadcnt 0x0
	ds_store_b128 v61, v[10:13]
	s_wait_dscnt 0x0
	s_barrier_signal -1
	s_barrier_wait -1
	global_inv scope:SCOPE_SE
	ds_load_b128 v[6:9], v62
	ds_load_b128 v[10:13], v56 offset:384
	ds_load_b128 v[14:17], v62 offset:4608
	s_wait_dscnt 0x1
	;;#ASMSTART
	v_dot2_f32_f16 v4, v6, v10, v4
	;;#ASMEND
	;;#ASMSTART
	v_dot2_f32_f16 v4, v7, v11, v4
	;;#ASMEND
	;;#ASMSTART
	v_dot2_f32_f16 v4, v8, v12, v4
	;;#ASMEND
	;;#ASMSTART
	v_dot2_f32_f16 v4, v9, v13, v4
	;;#ASMEND
	s_wait_dscnt 0x0
	;;#ASMSTART
	v_dot2_f32_f16 v5, v14, v10, v5
	;;#ASMEND
	;;#ASMSTART
	v_dot2_f32_f16 v5, v15, v11, v5
	;;#ASMEND
	;;#ASMSTART
	v_dot2_f32_f16 v5, v16, v12, v5
	;;#ASMEND
	;;#ASMSTART
	v_dot2_f32_f16 v5, v17, v13, v5
	;;#ASMEND
	ds_load_b128 v[6:9], v62 offset:16
	ds_load_b128 v[10:13], v56 offset:400
	ds_load_b128 v[14:17], v62 offset:4624
	s_wait_dscnt 0x1
	;;#ASMSTART
	v_dot2_f32_f16 v4, v6, v10, v4
	;;#ASMEND
	;;#ASMSTART
	v_dot2_f32_f16 v4, v7, v11, v4
	;;#ASMEND
	;;#ASMSTART
	v_dot2_f32_f16 v4, v8, v12, v4
	;;#ASMEND
	;;#ASMSTART
	v_dot2_f32_f16 v4, v9, v13, v4
	;;#ASMEND
	s_wait_dscnt 0x0
	;;#ASMSTART
	v_dot2_f32_f16 v5, v14, v10, v5
	;;#ASMEND
	;;#ASMSTART
	v_dot2_f32_f16 v5, v15, v11, v5
	;;#ASMEND
	;;#ASMSTART
	v_dot2_f32_f16 v5, v16, v12, v5
	;;#ASMEND
	;;#ASMSTART
	v_dot2_f32_f16 v5, v17, v13, v5
	;;#ASMEND
	ds_load_b128 v[6:9], v62 offset:32
	;; [unrolled: 29-line block ×7, first 2 shown]
	ds_load_b128 v[10:13], v56 offset:496
	ds_load_b128 v[14:17], v62 offset:4720
	s_wait_dscnt 0x1
	;;#ASMSTART
	v_dot2_f32_f16 v4, v6, v10, v4
	;;#ASMEND
	;;#ASMSTART
	v_dot2_f32_f16 v4, v7, v11, v4
	;;#ASMEND
	;; [unrolled: 3-line block ×4, first 2 shown]
	s_wait_dscnt 0x0
	;;#ASMSTART
	v_dot2_f32_f16 v5, v14, v10, v5
	;;#ASMEND
	;;#ASMSTART
	v_dot2_f32_f16 v5, v15, v11, v5
	;;#ASMEND
	;; [unrolled: 3-line block ×4, first 2 shown]
	s_wait_loadcnt 0x0
	s_barrier_signal -1
	s_barrier_wait -1
	global_inv scope:SCOPE_SE
	s_clause 0x1
	global_load_b128 v[6:9], v[0:1], off offset:512
	global_load_b128 v[10:13], v[2:3], off offset:512
	s_wait_loadcnt 0x1
	ds_store_b128 v60, v[6:9]
	s_wait_loadcnt 0x0
	ds_store_b128 v61, v[10:13]
	s_wait_dscnt 0x0
	s_barrier_signal -1
	s_barrier_wait -1
	global_inv scope:SCOPE_SE
	ds_load_b128 v[6:9], v62
	ds_load_b128 v[10:13], v56 offset:512
	ds_load_b128 v[14:17], v62 offset:4608
	s_wait_dscnt 0x1
	;;#ASMSTART
	v_dot2_f32_f16 v4, v6, v10, v4
	;;#ASMEND
	;;#ASMSTART
	v_dot2_f32_f16 v4, v7, v11, v4
	;;#ASMEND
	;;#ASMSTART
	v_dot2_f32_f16 v4, v8, v12, v4
	;;#ASMEND
	;;#ASMSTART
	v_dot2_f32_f16 v4, v9, v13, v4
	;;#ASMEND
	s_wait_dscnt 0x0
	;;#ASMSTART
	v_dot2_f32_f16 v5, v14, v10, v5
	;;#ASMEND
	;;#ASMSTART
	v_dot2_f32_f16 v5, v15, v11, v5
	;;#ASMEND
	;;#ASMSTART
	v_dot2_f32_f16 v5, v16, v12, v5
	;;#ASMEND
	;;#ASMSTART
	v_dot2_f32_f16 v5, v17, v13, v5
	;;#ASMEND
	ds_load_b128 v[6:9], v62 offset:16
	ds_load_b128 v[10:13], v56 offset:528
	ds_load_b128 v[14:17], v62 offset:4624
	s_wait_dscnt 0x1
	;;#ASMSTART
	v_dot2_f32_f16 v4, v6, v10, v4
	;;#ASMEND
	;;#ASMSTART
	v_dot2_f32_f16 v4, v7, v11, v4
	;;#ASMEND
	;;#ASMSTART
	v_dot2_f32_f16 v4, v8, v12, v4
	;;#ASMEND
	;;#ASMSTART
	v_dot2_f32_f16 v4, v9, v13, v4
	;;#ASMEND
	s_wait_dscnt 0x0
	;;#ASMSTART
	v_dot2_f32_f16 v5, v14, v10, v5
	;;#ASMEND
	;;#ASMSTART
	v_dot2_f32_f16 v5, v15, v11, v5
	;;#ASMEND
	;;#ASMSTART
	v_dot2_f32_f16 v5, v16, v12, v5
	;;#ASMEND
	;;#ASMSTART
	v_dot2_f32_f16 v5, v17, v13, v5
	;;#ASMEND
	ds_load_b128 v[6:9], v62 offset:32
	;; [unrolled: 29-line block ×7, first 2 shown]
	ds_load_b128 v[10:13], v56 offset:624
	ds_load_b128 v[14:17], v62 offset:4720
	s_wait_dscnt 0x1
	;;#ASMSTART
	v_dot2_f32_f16 v4, v6, v10, v4
	;;#ASMEND
	;;#ASMSTART
	v_dot2_f32_f16 v4, v7, v11, v4
	;;#ASMEND
	;;#ASMSTART
	v_dot2_f32_f16 v4, v8, v12, v4
	;;#ASMEND
	;;#ASMSTART
	v_dot2_f32_f16 v4, v9, v13, v4
	;;#ASMEND
	s_wait_dscnt 0x0
	;;#ASMSTART
	v_dot2_f32_f16 v5, v14, v10, v5
	;;#ASMEND
	;;#ASMSTART
	v_dot2_f32_f16 v5, v15, v11, v5
	;;#ASMEND
	;; [unrolled: 3-line block ×4, first 2 shown]
	s_wait_loadcnt 0x0
	s_barrier_signal -1
	s_barrier_wait -1
	global_inv scope:SCOPE_SE
	s_clause 0x1
	global_load_b128 v[6:9], v[0:1], off offset:640
	global_load_b128 v[10:13], v[2:3], off offset:640
	s_wait_loadcnt 0x1
	ds_store_b128 v60, v[6:9]
	s_wait_loadcnt 0x0
	ds_store_b128 v61, v[10:13]
	s_wait_dscnt 0x0
	s_barrier_signal -1
	s_barrier_wait -1
	global_inv scope:SCOPE_SE
	ds_load_b128 v[6:9], v62
	ds_load_b128 v[10:13], v56 offset:640
	ds_load_b128 v[14:17], v62 offset:4608
	s_wait_dscnt 0x1
	;;#ASMSTART
	v_dot2_f32_f16 v4, v6, v10, v4
	;;#ASMEND
	;;#ASMSTART
	v_dot2_f32_f16 v4, v7, v11, v4
	;;#ASMEND
	;;#ASMSTART
	v_dot2_f32_f16 v4, v8, v12, v4
	;;#ASMEND
	;;#ASMSTART
	v_dot2_f32_f16 v4, v9, v13, v4
	;;#ASMEND
	s_wait_dscnt 0x0
	;;#ASMSTART
	v_dot2_f32_f16 v5, v14, v10, v5
	;;#ASMEND
	;;#ASMSTART
	v_dot2_f32_f16 v5, v15, v11, v5
	;;#ASMEND
	;;#ASMSTART
	v_dot2_f32_f16 v5, v16, v12, v5
	;;#ASMEND
	;;#ASMSTART
	v_dot2_f32_f16 v5, v17, v13, v5
	;;#ASMEND
	ds_load_b128 v[6:9], v62 offset:16
	ds_load_b128 v[10:13], v56 offset:656
	ds_load_b128 v[14:17], v62 offset:4624
	s_wait_dscnt 0x1
	;;#ASMSTART
	v_dot2_f32_f16 v4, v6, v10, v4
	;;#ASMEND
	;;#ASMSTART
	v_dot2_f32_f16 v4, v7, v11, v4
	;;#ASMEND
	;;#ASMSTART
	v_dot2_f32_f16 v4, v8, v12, v4
	;;#ASMEND
	;;#ASMSTART
	v_dot2_f32_f16 v4, v9, v13, v4
	;;#ASMEND
	s_wait_dscnt 0x0
	;;#ASMSTART
	v_dot2_f32_f16 v5, v14, v10, v5
	;;#ASMEND
	;;#ASMSTART
	v_dot2_f32_f16 v5, v15, v11, v5
	;;#ASMEND
	;;#ASMSTART
	v_dot2_f32_f16 v5, v16, v12, v5
	;;#ASMEND
	;;#ASMSTART
	v_dot2_f32_f16 v5, v17, v13, v5
	;;#ASMEND
	ds_load_b128 v[6:9], v62 offset:32
	;; [unrolled: 29-line block ×7, first 2 shown]
	ds_load_b128 v[10:13], v56 offset:752
	ds_load_b128 v[14:17], v62 offset:4720
	s_wait_dscnt 0x1
	;;#ASMSTART
	v_dot2_f32_f16 v4, v6, v10, v4
	;;#ASMEND
	;;#ASMSTART
	v_dot2_f32_f16 v4, v7, v11, v4
	;;#ASMEND
	;; [unrolled: 3-line block ×4, first 2 shown]
	s_wait_dscnt 0x0
	;;#ASMSTART
	v_dot2_f32_f16 v5, v14, v10, v5
	;;#ASMEND
	;;#ASMSTART
	v_dot2_f32_f16 v5, v15, v11, v5
	;;#ASMEND
	;; [unrolled: 3-line block ×4, first 2 shown]
	s_wait_loadcnt 0x0
	s_barrier_signal -1
	s_barrier_wait -1
	global_inv scope:SCOPE_SE
	s_clause 0x1
	global_load_b128 v[6:9], v[0:1], off offset:768
	global_load_b128 v[10:13], v[2:3], off offset:768
	s_wait_loadcnt 0x1
	ds_store_b128 v60, v[6:9]
	s_wait_loadcnt 0x0
	ds_store_b128 v61, v[10:13]
	s_wait_dscnt 0x0
	s_barrier_signal -1
	s_barrier_wait -1
	global_inv scope:SCOPE_SE
	ds_load_b128 v[6:9], v62
	ds_load_b128 v[10:13], v56 offset:768
	ds_load_b128 v[14:17], v62 offset:4608
	s_wait_dscnt 0x1
	;;#ASMSTART
	v_dot2_f32_f16 v4, v6, v10, v4
	;;#ASMEND
	;;#ASMSTART
	v_dot2_f32_f16 v4, v7, v11, v4
	;;#ASMEND
	;;#ASMSTART
	v_dot2_f32_f16 v4, v8, v12, v4
	;;#ASMEND
	;;#ASMSTART
	v_dot2_f32_f16 v4, v9, v13, v4
	;;#ASMEND
	s_wait_dscnt 0x0
	;;#ASMSTART
	v_dot2_f32_f16 v5, v14, v10, v5
	;;#ASMEND
	;;#ASMSTART
	v_dot2_f32_f16 v5, v15, v11, v5
	;;#ASMEND
	;;#ASMSTART
	v_dot2_f32_f16 v5, v16, v12, v5
	;;#ASMEND
	;;#ASMSTART
	v_dot2_f32_f16 v5, v17, v13, v5
	;;#ASMEND
	ds_load_b128 v[6:9], v62 offset:16
	ds_load_b128 v[10:13], v56 offset:784
	ds_load_b128 v[14:17], v62 offset:4624
	s_wait_dscnt 0x1
	;;#ASMSTART
	v_dot2_f32_f16 v4, v6, v10, v4
	;;#ASMEND
	;;#ASMSTART
	v_dot2_f32_f16 v4, v7, v11, v4
	;;#ASMEND
	;;#ASMSTART
	v_dot2_f32_f16 v4, v8, v12, v4
	;;#ASMEND
	;;#ASMSTART
	v_dot2_f32_f16 v4, v9, v13, v4
	;;#ASMEND
	s_wait_dscnt 0x0
	;;#ASMSTART
	v_dot2_f32_f16 v5, v14, v10, v5
	;;#ASMEND
	;;#ASMSTART
	v_dot2_f32_f16 v5, v15, v11, v5
	;;#ASMEND
	;;#ASMSTART
	v_dot2_f32_f16 v5, v16, v12, v5
	;;#ASMEND
	;;#ASMSTART
	v_dot2_f32_f16 v5, v17, v13, v5
	;;#ASMEND
	ds_load_b128 v[6:9], v62 offset:32
	ds_load_b128 v[10:13], v56 offset:800
	ds_load_b128 v[14:17], v62 offset:4640
	s_wait_dscnt 0x1
	;;#ASMSTART
	v_dot2_f32_f16 v4, v6, v10, v4
	;;#ASMEND
	;;#ASMSTART
	v_dot2_f32_f16 v4, v7, v11, v4
	;;#ASMEND
	;;#ASMSTART
	v_dot2_f32_f16 v4, v8, v12, v4
	;;#ASMEND
	;;#ASMSTART
	v_dot2_f32_f16 v4, v9, v13, v4
	;;#ASMEND
	s_wait_dscnt 0x0
	;;#ASMSTART
	v_dot2_f32_f16 v5, v14, v10, v5
	;;#ASMEND
	;;#ASMSTART
	v_dot2_f32_f16 v5, v15, v11, v5
	;;#ASMEND
	;;#ASMSTART
	v_dot2_f32_f16 v5, v16, v12, v5
	;;#ASMEND
	;;#ASMSTART
	v_dot2_f32_f16 v5, v17, v13, v5
	;;#ASMEND
	ds_load_b128 v[6:9], v62 offset:48
	ds_load_b128 v[10:13], v56 offset:816
	ds_load_b128 v[14:17], v62 offset:4656
	s_wait_dscnt 0x1
	;;#ASMSTART
	v_dot2_f32_f16 v4, v6, v10, v4
	;;#ASMEND
	;;#ASMSTART
	v_dot2_f32_f16 v4, v7, v11, v4
	;;#ASMEND
	;;#ASMSTART
	v_dot2_f32_f16 v4, v8, v12, v4
	;;#ASMEND
	;;#ASMSTART
	v_dot2_f32_f16 v4, v9, v13, v4
	;;#ASMEND
	s_wait_dscnt 0x0
	;;#ASMSTART
	v_dot2_f32_f16 v5, v14, v10, v5
	;;#ASMEND
	;;#ASMSTART
	v_dot2_f32_f16 v5, v15, v11, v5
	;;#ASMEND
	;;#ASMSTART
	v_dot2_f32_f16 v5, v16, v12, v5
	;;#ASMEND
	;;#ASMSTART
	v_dot2_f32_f16 v5, v17, v13, v5
	;;#ASMEND
	ds_load_b128 v[6:9], v62 offset:64
	ds_load_b128 v[10:13], v56 offset:832
	ds_load_b128 v[14:17], v62 offset:4672
	s_wait_dscnt 0x1
	;;#ASMSTART
	v_dot2_f32_f16 v4, v6, v10, v4
	;;#ASMEND
	;;#ASMSTART
	v_dot2_f32_f16 v4, v7, v11, v4
	;;#ASMEND
	;;#ASMSTART
	v_dot2_f32_f16 v4, v8, v12, v4
	;;#ASMEND
	;;#ASMSTART
	v_dot2_f32_f16 v4, v9, v13, v4
	;;#ASMEND
	s_wait_dscnt 0x0
	;;#ASMSTART
	v_dot2_f32_f16 v5, v14, v10, v5
	;;#ASMEND
	;;#ASMSTART
	v_dot2_f32_f16 v5, v15, v11, v5
	;;#ASMEND
	;;#ASMSTART
	v_dot2_f32_f16 v5, v16, v12, v5
	;;#ASMEND
	;;#ASMSTART
	v_dot2_f32_f16 v5, v17, v13, v5
	;;#ASMEND
	ds_load_b128 v[6:9], v62 offset:80
	ds_load_b128 v[10:13], v56 offset:848
	ds_load_b128 v[14:17], v62 offset:4688
	s_wait_dscnt 0x1
	;;#ASMSTART
	v_dot2_f32_f16 v4, v6, v10, v4
	;;#ASMEND
	;;#ASMSTART
	v_dot2_f32_f16 v4, v7, v11, v4
	;;#ASMEND
	;;#ASMSTART
	v_dot2_f32_f16 v4, v8, v12, v4
	;;#ASMEND
	;;#ASMSTART
	v_dot2_f32_f16 v4, v9, v13, v4
	;;#ASMEND
	s_wait_dscnt 0x0
	;;#ASMSTART
	v_dot2_f32_f16 v5, v14, v10, v5
	;;#ASMEND
	;;#ASMSTART
	v_dot2_f32_f16 v5, v15, v11, v5
	;;#ASMEND
	;;#ASMSTART
	v_dot2_f32_f16 v5, v16, v12, v5
	;;#ASMEND
	;;#ASMSTART
	v_dot2_f32_f16 v5, v17, v13, v5
	;;#ASMEND
	ds_load_b128 v[6:9], v62 offset:96
	ds_load_b128 v[10:13], v56 offset:864
	ds_load_b128 v[14:17], v62 offset:4704
	s_wait_dscnt 0x1
	;;#ASMSTART
	v_dot2_f32_f16 v4, v6, v10, v4
	;;#ASMEND
	;;#ASMSTART
	v_dot2_f32_f16 v4, v7, v11, v4
	;;#ASMEND
	;;#ASMSTART
	v_dot2_f32_f16 v4, v8, v12, v4
	;;#ASMEND
	;;#ASMSTART
	v_dot2_f32_f16 v4, v9, v13, v4
	;;#ASMEND
	s_wait_dscnt 0x0
	;;#ASMSTART
	v_dot2_f32_f16 v5, v14, v10, v5
	;;#ASMEND
	;;#ASMSTART
	v_dot2_f32_f16 v5, v15, v11, v5
	;;#ASMEND
	;;#ASMSTART
	v_dot2_f32_f16 v5, v16, v12, v5
	;;#ASMEND
	;;#ASMSTART
	v_dot2_f32_f16 v5, v17, v13, v5
	;;#ASMEND
	ds_load_b128 v[6:9], v62 offset:112
	ds_load_b128 v[10:13], v56 offset:880
	ds_load_b128 v[14:17], v62 offset:4720
	s_wait_dscnt 0x1
	;;#ASMSTART
	v_dot2_f32_f16 v4, v6, v10, v4
	;;#ASMEND
	;;#ASMSTART
	v_dot2_f32_f16 v4, v7, v11, v4
	;;#ASMEND
	;; [unrolled: 3-line block ×4, first 2 shown]
	s_wait_dscnt 0x0
	;;#ASMSTART
	v_dot2_f32_f16 v5, v14, v10, v5
	;;#ASMEND
	;;#ASMSTART
	v_dot2_f32_f16 v5, v15, v11, v5
	;;#ASMEND
	;; [unrolled: 3-line block ×4, first 2 shown]
	s_wait_loadcnt 0x0
	s_barrier_signal -1
	s_barrier_wait -1
	global_inv scope:SCOPE_SE
	s_clause 0x1
	global_load_b128 v[6:9], v[0:1], off offset:896
	global_load_b128 v[10:13], v[2:3], off offset:896
	s_wait_loadcnt 0x1
	ds_store_b128 v60, v[6:9]
	s_wait_loadcnt 0x0
	ds_store_b128 v61, v[10:13]
	s_wait_dscnt 0x0
	s_barrier_signal -1
	s_barrier_wait -1
	global_inv scope:SCOPE_SE
	ds_load_b128 v[6:9], v62
	ds_load_b128 v[10:13], v56 offset:896
	ds_load_b128 v[14:17], v62 offset:4608
	s_wait_dscnt 0x1
	;;#ASMSTART
	v_dot2_f32_f16 v4, v6, v10, v4
	;;#ASMEND
	;;#ASMSTART
	v_dot2_f32_f16 v4, v7, v11, v4
	;;#ASMEND
	;;#ASMSTART
	v_dot2_f32_f16 v4, v8, v12, v4
	;;#ASMEND
	;;#ASMSTART
	v_dot2_f32_f16 v4, v9, v13, v4
	;;#ASMEND
	s_wait_dscnt 0x0
	;;#ASMSTART
	v_dot2_f32_f16 v5, v14, v10, v5
	;;#ASMEND
	;;#ASMSTART
	v_dot2_f32_f16 v5, v15, v11, v5
	;;#ASMEND
	;;#ASMSTART
	v_dot2_f32_f16 v5, v16, v12, v5
	;;#ASMEND
	;;#ASMSTART
	v_dot2_f32_f16 v5, v17, v13, v5
	;;#ASMEND
	ds_load_b128 v[6:9], v62 offset:16
	ds_load_b128 v[10:13], v56 offset:912
	ds_load_b128 v[14:17], v62 offset:4624
	s_wait_dscnt 0x1
	;;#ASMSTART
	v_dot2_f32_f16 v4, v6, v10, v4
	;;#ASMEND
	;;#ASMSTART
	v_dot2_f32_f16 v4, v7, v11, v4
	;;#ASMEND
	;;#ASMSTART
	v_dot2_f32_f16 v4, v8, v12, v4
	;;#ASMEND
	;;#ASMSTART
	v_dot2_f32_f16 v4, v9, v13, v4
	;;#ASMEND
	s_wait_dscnt 0x0
	;;#ASMSTART
	v_dot2_f32_f16 v5, v14, v10, v5
	;;#ASMEND
	;;#ASMSTART
	v_dot2_f32_f16 v5, v15, v11, v5
	;;#ASMEND
	;;#ASMSTART
	v_dot2_f32_f16 v5, v16, v12, v5
	;;#ASMEND
	;;#ASMSTART
	v_dot2_f32_f16 v5, v17, v13, v5
	;;#ASMEND
	ds_load_b128 v[6:9], v62 offset:32
	;; [unrolled: 29-line block ×7, first 2 shown]
	ds_load_b128 v[10:13], v56 offset:1008
	ds_load_b128 v[14:17], v62 offset:4720
	s_wait_dscnt 0x1
	;;#ASMSTART
	v_dot2_f32_f16 v4, v6, v10, v4
	;;#ASMEND
	;;#ASMSTART
	v_dot2_f32_f16 v4, v7, v11, v4
	;;#ASMEND
	;; [unrolled: 3-line block ×4, first 2 shown]
	s_wait_dscnt 0x0
	;;#ASMSTART
	v_dot2_f32_f16 v5, v14, v10, v5
	;;#ASMEND
	;;#ASMSTART
	v_dot2_f32_f16 v5, v15, v11, v5
	;;#ASMEND
	;; [unrolled: 3-line block ×4, first 2 shown]
	s_wait_loadcnt 0x0
	s_barrier_signal -1
	s_barrier_wait -1
	global_inv scope:SCOPE_SE
	s_clause 0x1
	global_load_b128 v[6:9], v[0:1], off offset:1024
	global_load_b128 v[0:3], v[2:3], off offset:1024
	s_wait_loadcnt 0x1
	ds_store_b128 v60, v[6:9]
	s_wait_loadcnt 0x0
	ds_store_b128 v61, v[0:3]
	s_wait_dscnt 0x0
	s_barrier_signal -1
	s_barrier_wait -1
	global_inv scope:SCOPE_SE
	ds_load_b128 v[0:3], v62
	ds_load_b128 v[6:9], v56 offset:1024
	ds_load_b128 v[10:13], v62 offset:4608
	s_wait_dscnt 0x1
	;;#ASMSTART
	v_dot2_f32_f16 v4, v0, v6, v4
	;;#ASMEND
	;;#ASMSTART
	v_dot2_f32_f16 v4, v1, v7, v4
	;;#ASMEND
	;;#ASMSTART
	v_dot2_f32_f16 v4, v2, v8, v4
	;;#ASMEND
	;;#ASMSTART
	v_dot2_f32_f16 v4, v3, v9, v4
	;;#ASMEND
	s_wait_dscnt 0x0
	;;#ASMSTART
	v_dot2_f32_f16 v5, v10, v6, v5
	;;#ASMEND
	;;#ASMSTART
	v_dot2_f32_f16 v5, v11, v7, v5
	;;#ASMEND
	;;#ASMSTART
	v_dot2_f32_f16 v5, v12, v8, v5
	;;#ASMEND
	;;#ASMSTART
	v_dot2_f32_f16 v5, v13, v9, v5
	;;#ASMEND
	ds_load_b128 v[0:3], v62 offset:16
	ds_load_b128 v[6:9], v56 offset:1040
	ds_load_b128 v[10:13], v62 offset:4624
	s_wait_dscnt 0x1
	;;#ASMSTART
	v_dot2_f32_f16 v4, v0, v6, v4
	;;#ASMEND
	;;#ASMSTART
	v_dot2_f32_f16 v4, v1, v7, v4
	;;#ASMEND
	;;#ASMSTART
	v_dot2_f32_f16 v4, v2, v8, v4
	;;#ASMEND
	;;#ASMSTART
	v_dot2_f32_f16 v4, v3, v9, v4
	;;#ASMEND
	s_wait_dscnt 0x0
	;;#ASMSTART
	v_dot2_f32_f16 v5, v10, v6, v5
	;;#ASMEND
	;;#ASMSTART
	v_dot2_f32_f16 v5, v11, v7, v5
	;;#ASMEND
	;;#ASMSTART
	v_dot2_f32_f16 v5, v12, v8, v5
	;;#ASMEND
	;;#ASMSTART
	v_dot2_f32_f16 v5, v13, v9, v5
	;;#ASMEND
	ds_load_b128 v[0:3], v62 offset:32
	;; [unrolled: 29-line block ×7, first 2 shown]
	ds_load_b128 v[6:9], v56 offset:1136
	ds_load_b128 v[10:13], v62 offset:4720
	s_wait_dscnt 0x1
	;;#ASMSTART
	v_dot2_f32_f16 v4, v0, v6, v4
	;;#ASMEND
	;;#ASMSTART
	v_dot2_f32_f16 v4, v1, v7, v4
	;;#ASMEND
	;; [unrolled: 3-line block ×4, first 2 shown]
	v_cmp_ngt_f32_e64 s24, 0x3f200000, |v4|
	s_wait_dscnt 0x0
	;;#ASMSTART
	v_dot2_f32_f16 v5, v10, v6, v5
	;;#ASMEND
	;;#ASMSTART
	v_dot2_f32_f16 v5, v11, v7, v5
	;;#ASMEND
	;; [unrolled: 3-line block ×4, first 2 shown]
                                        ; implicit-def: $vgpr2
	s_and_saveexec_b32 s25, s24
	s_wait_alu 0xfffe
	s_xor_b32 s24, exec_lo, s25
	s_cbranch_execz .LBB27_13
; %bb.12:                               ;   in Loop: Header=BB27_11 Depth=1
	v_add_f32_e64 v0, |v4|, |v4|
	s_delay_alu instid0(VALU_DEP_1) | instskip(SKIP_1) | instid1(VALU_DEP_2)
	v_mul_f32_e32 v1, 0x3fb8aa3b, v0
	v_cmp_ngt_f32_e32 vcc_lo, 0xc2ce8ed0, v0
	v_rndne_f32_e32 v2, v1
	v_fma_f32 v3, 0x3fb8aa3b, v0, -v1
	s_delay_alu instid0(VALU_DEP_2) | instskip(NEXT) | instid1(VALU_DEP_2)
	v_sub_f32_e32 v1, v1, v2
	v_fmac_f32_e32 v3, 0x32a5705f, v0
	v_cvt_i32_f32_e32 v2, v2
	s_delay_alu instid0(VALU_DEP_2) | instskip(NEXT) | instid1(VALU_DEP_1)
	v_add_f32_e32 v1, v1, v3
	v_exp_f32_e32 v1, v1
	s_delay_alu instid0(TRANS32_DEP_1) | instskip(SKIP_1) | instid1(VALU_DEP_1)
	v_ldexp_f32 v1, v1, v2
	s_wait_alu 0xfffd
	v_cndmask_b32_e32 v1, 0, v1, vcc_lo
	v_cmp_nlt_f32_e32 vcc_lo, 0x42b17218, v0
	s_wait_alu 0xfffd
	s_delay_alu instid0(VALU_DEP_2) | instskip(NEXT) | instid1(VALU_DEP_1)
	v_cndmask_b32_e32 v0, 0x7f800000, v1, vcc_lo
	v_add_f32_e32 v0, 1.0, v0
	s_delay_alu instid0(VALU_DEP_1) | instskip(NEXT) | instid1(TRANS32_DEP_1)
	v_rcp_f32_e32 v0, v0
	v_fma_f32 v2, v0, -2.0, 1.0
.LBB27_13:                              ;   in Loop: Header=BB27_11 Depth=1
	s_wait_alu 0xfffe
	s_and_not1_saveexec_b32 s24, s24
	s_cbranch_execz .LBB27_15
; %bb.14:                               ;   in Loop: Header=BB27_11 Depth=1
	v_mul_f32_e32 v0, v4, v4
	s_delay_alu instid0(VALU_DEP_1) | instskip(NEXT) | instid1(VALU_DEP_1)
	v_fmaak_f32 v1, s3, v0, 0x3ca908c9
	v_fmaak_f32 v1, v0, v1, 0xbd5c1c4e
	s_delay_alu instid0(VALU_DEP_1) | instskip(NEXT) | instid1(VALU_DEP_1)
	v_fmaak_f32 v1, v0, v1, 0x3e088382
	v_fmaak_f32 v1, v0, v1, 0xbeaaaa99
	s_delay_alu instid0(VALU_DEP_1) | instskip(NEXT) | instid1(VALU_DEP_1)
	v_mul_f32_e64 v1, |v4|, v1
	v_fma_f32 v2, v0, v1, |v4|
.LBB27_15:                              ;   in Loop: Header=BB27_11 Depth=1
	s_wait_alu 0xfffe
	s_or_b32 exec_lo, exec_lo, s24
	v_add_nc_u32_e32 v0, s10, v50
	v_cmp_ngt_f32_e64 s24, 0x3f200000, |v5|
                                        ; implicit-def: $vgpr6
	s_delay_alu instid0(VALU_DEP_2) | instskip(NEXT) | instid1(VALU_DEP_1)
	v_ashrrev_i32_e32 v1, 31, v0
	v_lshlrev_b64_e32 v[0:1], 1, v[0:1]
	s_delay_alu instid0(VALU_DEP_1) | instskip(SKIP_1) | instid1(VALU_DEP_2)
	v_add_co_u32 v0, vcc_lo, s30, v0
	s_wait_alu 0xfffd
	v_add_co_ci_u32_e64 v1, null, s31, v1, vcc_lo
	global_load_u16 v3, v[0:1], off
	s_and_saveexec_b32 s25, s24
	s_wait_alu 0xfffe
	s_xor_b32 s24, exec_lo, s25
	s_cbranch_execz .LBB27_17
; %bb.16:                               ;   in Loop: Header=BB27_11 Depth=1
	v_add_f32_e64 v6, |v5|, |v5|
	s_delay_alu instid0(VALU_DEP_1) | instskip(SKIP_1) | instid1(VALU_DEP_2)
	v_mul_f32_e32 v7, 0x3fb8aa3b, v6
	v_cmp_ngt_f32_e32 vcc_lo, 0xc2ce8ed0, v6
	v_rndne_f32_e32 v8, v7
	v_fma_f32 v9, 0x3fb8aa3b, v6, -v7
	s_delay_alu instid0(VALU_DEP_2) | instskip(NEXT) | instid1(VALU_DEP_2)
	v_sub_f32_e32 v7, v7, v8
	v_fmac_f32_e32 v9, 0x32a5705f, v6
	v_cvt_i32_f32_e32 v8, v8
	s_delay_alu instid0(VALU_DEP_2) | instskip(NEXT) | instid1(VALU_DEP_1)
	v_add_f32_e32 v7, v7, v9
	v_exp_f32_e32 v7, v7
	s_delay_alu instid0(TRANS32_DEP_1) | instskip(SKIP_1) | instid1(VALU_DEP_1)
	v_ldexp_f32 v7, v7, v8
	s_wait_alu 0xfffd
	v_cndmask_b32_e32 v7, 0, v7, vcc_lo
	v_cmp_nlt_f32_e32 vcc_lo, 0x42b17218, v6
	s_wait_alu 0xfffd
	s_delay_alu instid0(VALU_DEP_2) | instskip(NEXT) | instid1(VALU_DEP_1)
	v_cndmask_b32_e32 v6, 0x7f800000, v7, vcc_lo
	v_add_f32_e32 v6, 1.0, v6
	s_delay_alu instid0(VALU_DEP_1) | instskip(NEXT) | instid1(TRANS32_DEP_1)
	v_rcp_f32_e32 v6, v6
	v_fma_f32 v6, v6, -2.0, 1.0
.LBB27_17:                              ;   in Loop: Header=BB27_11 Depth=1
	s_wait_alu 0xfffe
	s_and_not1_saveexec_b32 s24, s24
	s_cbranch_execz .LBB27_19
; %bb.18:                               ;   in Loop: Header=BB27_11 Depth=1
	v_mul_f32_e32 v6, v5, v5
	s_delay_alu instid0(VALU_DEP_1) | instskip(NEXT) | instid1(VALU_DEP_1)
	v_fmaak_f32 v7, s3, v6, 0x3ca908c9
	v_fmaak_f32 v7, v6, v7, 0xbd5c1c4e
	s_delay_alu instid0(VALU_DEP_1) | instskip(NEXT) | instid1(VALU_DEP_1)
	v_fmaak_f32 v7, v6, v7, 0x3e088382
	v_fmaak_f32 v7, v6, v7, 0xbeaaaa99
	s_delay_alu instid0(VALU_DEP_1) | instskip(NEXT) | instid1(VALU_DEP_1)
	v_mul_f32_e64 v7, |v5|, v7
	v_fma_f32 v6, v6, v7, |v5|
.LBB27_19:                              ;   in Loop: Header=BB27_11 Depth=1
	s_wait_alu 0xfffe
	s_or_b32 exec_lo, exec_lo, s24
	global_load_u16 v15, v[0:1], off offset:64
	s_mul_u64 s[24:25], s[10:11], s[14:15]
	s_wait_loadcnt 0x0
	s_wait_alu 0xfffe
	s_lshl_b64 s[24:25], s[24:25], 2
	s_barrier_signal -1
	s_wait_alu 0xfffe
	v_add_co_u32 v0, vcc_lo, v68, s24
	s_wait_alu 0xfffd
	v_add_co_ci_u32_e64 v1, null, s25, v69, vcc_lo
	s_barrier_wait -1
	global_inv scope:SCOPE_SE
	s_clause 0x1
	global_load_b128 v[7:10], v[0:1], off
	global_load_b128 v[11:14], v[0:1], off offset:512
	v_bfi_b32 v0, 0x7fffffff, v2, v4
	v_bfi_b32 v1, 0x7fffffff, v6, v5
	v_xor_b32_e32 v82, 16, v59
	v_xor_b32_e32 v81, 8, v59
	;; [unrolled: 1-line block ×3, first 2 shown]
	v_fma_mix_f32 v0, s5, v0, v3 op_sel_hi:[0,0,1]
	v_xor_b32_e32 v84, 2, v59
	v_cmp_gt_i32_e32 vcc_lo, 32, v82
	v_xor_b32_e32 v85, 1, v59
	s_or_b32 s24, s10, 8
	v_add_f32_e32 v3, 0x40051340, v0
	s_wait_alu 0xfffe
	s_ashr_i32 s25, s24, 31
	s_wait_alu 0xfffd
	v_cndmask_b32_e32 v2, v59, v82, vcc_lo
	v_cmp_gt_i32_e32 vcc_lo, 32, v81
	s_wait_alu 0xfffe
	s_mul_u64 s[24:25], s[24:25], s[14:15]
	v_add_nc_u32_e32 v88, 0x800, v67
	s_wait_alu 0xfffe
	s_lshl_b64 s[24:25], s[24:25], 2
	v_lshlrev_b32_e32 v2, 2, v2
	v_add_nc_u32_e32 v86, 0x1800, v67
	v_add_nc_u32_e32 v87, 0x1000, v67
	v_fma_mix_f32 v1, s5, v1, v15 op_sel_hi:[0,0,1]
	s_delay_alu instid0(VALU_DEP_1) | instskip(NEXT) | instid1(VALU_DEP_1)
	v_add_f32_e32 v4, 0x40051340, v1
	v_max3_num_f32 v3, v80, v3, v4
	s_wait_alu 0xfffd
	v_cndmask_b32_e32 v4, v59, v81, vcc_lo
	v_cmp_gt_i32_e32 vcc_lo, 32, v83
	ds_bpermute_b32 v2, v2, v3
	v_lshlrev_b32_e32 v4, 2, v4
	s_wait_dscnt 0x0
	v_max_num_f32_e32 v2, v2, v2
	s_delay_alu instid0(VALU_DEP_1)
	v_max_num_f32_e32 v2, v3, v2
	ds_bpermute_b32 v3, v4, v2
	s_wait_alu 0xfffd
	v_cndmask_b32_e32 v4, v59, v83, vcc_lo
	v_cmp_gt_i32_e32 vcc_lo, 32, v84
	s_wait_dscnt 0x0
	s_delay_alu instid0(VALU_DEP_2) | instskip(NEXT) | instid1(VALU_DEP_1)
	v_dual_max_num_f32 v3, v3, v3 :: v_dual_lshlrev_b32 v4, 2, v4
	v_max_num_f32_e32 v2, v2, v3
	ds_bpermute_b32 v3, v4, v2
	s_wait_alu 0xfffd
	v_cndmask_b32_e32 v4, v59, v84, vcc_lo
	v_cmp_gt_i32_e32 vcc_lo, 32, v85
	s_wait_dscnt 0x0
	s_delay_alu instid0(VALU_DEP_2) | instskip(NEXT) | instid1(VALU_DEP_1)
	v_dual_max_num_f32 v3, v3, v3 :: v_dual_lshlrev_b32 v4, 2, v4
	v_max_num_f32_e32 v2, v2, v3
	ds_bpermute_b32 v3, v4, v2
	s_wait_alu 0xfffd
	v_cndmask_b32_e32 v4, v59, v85, vcc_lo
	s_wait_dscnt 0x0
	s_delay_alu instid0(VALU_DEP_1) | instskip(NEXT) | instid1(VALU_DEP_1)
	v_dual_max_num_f32 v3, v3, v3 :: v_dual_lshlrev_b32 v4, 2, v4
	v_max_num_f32_e32 v2, v2, v3
	ds_bpermute_b32 v3, v4, v2
	s_wait_dscnt 0x0
	v_max_num_f32_e32 v3, v3, v3
	s_delay_alu instid0(VALU_DEP_1) | instskip(NEXT) | instid1(VALU_DEP_1)
	v_max_num_f32_e32 v55, v2, v3
	v_sub_f32_e32 v80, v80, v55
	v_sub_f32_e32 v0, v0, v55
	;; [unrolled: 1-line block ×3, first 2 shown]
	s_delay_alu instid0(VALU_DEP_3) | instskip(NEXT) | instid1(VALU_DEP_3)
	v_mul_f32_e32 v119, 0x3fb8aa3b, v80
	v_cmp_ngt_f32_e32 vcc_lo, 0xc2ce8ed0, v0
	s_delay_alu instid0(VALU_DEP_3) | instskip(NEXT) | instid1(VALU_DEP_3)
	v_mul_f32_e32 v3, 0x3fb8aa3b, v1
	v_fma_f32 v120, 0x3fb8aa3b, v80, -v119
	v_rndne_f32_e32 v121, v119
	s_delay_alu instid0(VALU_DEP_3) | instskip(SKIP_1) | instid1(VALU_DEP_3)
	v_fma_f32 v6, 0x3fb8aa3b, v1, -v3
	v_rndne_f32_e32 v15, v3
	v_dual_fmac_f32 v120, 0x32a5705f, v80 :: v_dual_sub_f32 v119, v119, v121
	s_delay_alu instid0(VALU_DEP_2) | instskip(NEXT) | instid1(VALU_DEP_2)
	v_dual_fmac_f32 v6, 0x32a5705f, v1 :: v_dual_sub_f32 v3, v3, v15
	v_add_f32_e32 v119, v119, v120
	v_cvt_i32_f32_e32 v120, v121
	s_delay_alu instid0(VALU_DEP_3) | instskip(NEXT) | instid1(VALU_DEP_3)
	v_add_f32_e32 v3, v3, v6
	v_exp_f32_e32 v119, v119
	s_delay_alu instid0(VALU_DEP_1) | instskip(NEXT) | instid1(TRANS32_DEP_2)
	v_exp_f32_e32 v3, v3
	v_ldexp_f32 v119, v119, v120
	v_mul_f32_e32 v2, 0x3fb8aa3b, v0
	s_delay_alu instid0(VALU_DEP_1) | instskip(SKIP_1) | instid1(VALU_DEP_2)
	v_fma_f32 v4, 0x3fb8aa3b, v0, -v2
	v_rndne_f32_e32 v5, v2
	v_fmac_f32_e32 v4, 0x32a5705f, v0
	s_delay_alu instid0(VALU_DEP_2) | instskip(NEXT) | instid1(VALU_DEP_1)
	v_sub_f32_e32 v2, v2, v5
	v_add_f32_e32 v2, v2, v4
	v_cvt_i32_f32_e32 v4, v5
	v_cvt_i32_f32_e32 v5, v15
	s_delay_alu instid0(VALU_DEP_3) | instskip(NEXT) | instid1(VALU_DEP_1)
	v_exp_f32_e32 v2, v2
	v_ldexp_f32 v3, v3, v5
	s_delay_alu instid0(TRANS32_DEP_1) | instskip(SKIP_1) | instid1(VALU_DEP_1)
	v_ldexp_f32 v2, v2, v4
	s_wait_alu 0xfffd
	v_cndmask_b32_e32 v2, 0, v2, vcc_lo
	v_cmp_ngt_f32_e32 vcc_lo, 0xc2ce8ed0, v1
	s_wait_alu 0xfffd
	v_cndmask_b32_e32 v3, 0, v3, vcc_lo
	v_cmp_nlt_f32_e32 vcc_lo, 0x42b17218, v0
	s_wait_alu 0xfffd
	v_cndmask_b32_e32 v89, 0x7f800000, v2, vcc_lo
	v_cmp_nlt_f32_e32 vcc_lo, 0x42b17218, v1
	s_delay_alu instid0(VALU_DEP_2)
	v_cvt_f16_f32_e32 v0, v89
	s_wait_alu 0xfffd
	v_cndmask_b32_e32 v90, 0x7f800000, v3, vcc_lo
	s_wait_alu 0xfffe
	v_add_co_u32 v32, vcc_lo, v68, s24
	s_wait_alu 0xfffd
	v_add_co_ci_u32_e64 v33, null, s25, v69, vcc_lo
	v_cvt_f16_f32_e32 v1, v90
	ds_store_b16 v64, v0
	ds_store_b16 v64, v1 offset:64
	s_wait_loadcnt 0x1
	ds_store_b128 v65, v[7:10]
	s_wait_loadcnt 0x0
	ds_store_b128 v66, v[11:14]
	s_wait_dscnt 0x0
	s_barrier_signal -1
	s_barrier_wait -1
	global_inv scope:SCOPE_SE
	ds_load_2addr_b64 v[91:94], v67 offset1:32
	ds_load_2addr_b64 v[95:98], v67 offset0:64 offset1:96
	ds_load_b128 v[99:102], v63
	ds_load_2addr_b64 v[103:106], v67 offset0:128 offset1:160
	ds_load_2addr_b64 v[107:110], v67 offset0:192 offset1:224
	ds_load_2addr_b64 v[111:114], v88 offset1:32
	ds_load_2addr_b64 v[115:118], v88 offset0:64 offset1:96
	ds_load_2addr_b64 v[40:43], v88 offset0:128 offset1:160
	ds_load_2addr_b64 v[44:47], v88 offset0:192 offset1:224
	ds_load_2addr_b64 v[24:27], v87 offset1:32
	ds_load_2addr_b64 v[36:39], v87 offset0:64 offset1:96
	;; [unrolled: 4-line block ×3, first 2 shown]
	ds_load_2addr_b64 v[0:3], v86 offset0:128 offset1:160
	ds_load_2addr_b64 v[4:7], v86 offset0:192 offset1:224
	s_wait_loadcnt_dscnt 0x0
	s_barrier_signal -1
	s_barrier_wait -1
	global_inv scope:SCOPE_SE
	s_clause 0x1
	global_load_b128 v[28:31], v[32:33], off
	global_load_b128 v[32:35], v[32:33], off offset:512
	v_cmp_ngt_f32_e32 vcc_lo, 0xc2ce8ed0, v80
	v_and_b32_e32 v120, 0xffff, v99
	v_lshrrev_b32_e32 v99, 16, v99
	v_lshrrev_b32_e32 v142, 16, v102
	v_and_b32_e32 v143, 0xffff, v102
	s_wait_alu 0xfffd
	v_cndmask_b32_e32 v119, 0, v119, vcc_lo
	v_cmp_nlt_f32_e32 vcc_lo, 0x42b17218, v80
	v_mul_u32_u24_e32 v102, 0x10001, v120
	v_lshrrev_b32_e32 v121, 16, v100
	v_and_b32_e32 v100, 0xffff, v100
	v_mul_u32_u24_e32 v99, 0x10001, v99
	s_wait_alu 0xfffd
	v_cndmask_b32_e32 v80, 0x7f800000, v119, vcc_lo
	v_pk_mul_f16 v91, v91, v102
	v_pk_mul_f16 v92, v92, v102
	s_or_b32 s24, s10, 16
	v_mul_u32_u24_e32 v100, 0x10001, v100
	v_cvt_f16_f32_e32 v119, v80
	s_wait_alu 0xfffe
	s_ashr_i32 s25, s24, 31
	v_lshrrev_b32_e32 v141, 16, v101
	s_wait_alu 0xfffe
	s_mul_u64 s[24:25], s[24:25], s[14:15]
	v_and_b32_e32 v101, 0xffff, v101
	v_and_b32_e32 v119, 0xffff, v119
	v_mul_u32_u24_e32 v120, 0x10001, v121
	s_wait_alu 0xfffe
	s_lshl_b64 s[24:25], s[24:25], 2
	v_mul_u32_u24_e32 v141, 0x10001, v141
	s_wait_alu 0xfffe
	v_add_co_u32 v135, vcc_lo, v68, s24
	v_mul_u32_u24_e32 v119, 0x10001, v119
	s_wait_alu 0xfffd
	v_add_co_ci_u32_e64 v136, null, s25, v69, vcc_lo
	v_mul_u32_u24_e32 v144, 0x10001, v101
	v_mul_u32_u24_e32 v143, 0x10001, v143
	v_pk_mul_f16 v76, v76, v119
	v_pk_mul_f16 v77, v77, v119
	;; [unrolled: 1-line block ×6, first 2 shown]
	v_pk_fma_f16 v76, v95, v102, v76
	v_pk_fma_f16 v77, v96, v102, v77
	;; [unrolled: 1-line block ×40, first 2 shown]
	v_mul_u32_u24_e32 v142, 0x10001, v142
	v_pk_fma_f16 v16, v16, v141, v24
	v_pk_fma_f16 v18, v18, v141, v26
	;; [unrolled: 1-line block ×24, first 2 shown]
	s_or_b32 s24, s10, 24
	s_wait_loadcnt 0x1
	ds_store_b128 v65, v[28:31]
	s_wait_loadcnt 0x0
	ds_store_b128 v66, v[32:35]
	s_wait_dscnt 0x0
	s_barrier_signal -1
	s_barrier_wait -1
	global_inv scope:SCOPE_SE
	ds_load_2addr_b64 v[28:31], v67 offset1:32
	ds_load_2addr_b64 v[32:35], v67 offset0:64 offset1:96
	ds_load_b128 v[36:39], v63 offset:16
	ds_load_2addr_b64 v[40:43], v67 offset0:128 offset1:160
	ds_load_2addr_b64 v[44:47], v67 offset0:192 offset1:224
	ds_load_2addr_b64 v[72:75], v88 offset1:32
	ds_load_2addr_b64 v[76:79], v88 offset0:64 offset1:96
	ds_load_2addr_b64 v[91:94], v88 offset0:128 offset1:160
	ds_load_2addr_b64 v[95:98], v88 offset0:192 offset1:224
	ds_load_2addr_b64 v[99:102], v87 offset1:32
	ds_load_2addr_b64 v[103:106], v87 offset0:64 offset1:96
	;; [unrolled: 4-line block ×3, first 2 shown]
	ds_load_2addr_b64 v[123:126], v86 offset0:128 offset1:160
	ds_load_2addr_b64 v[127:130], v86 offset0:192 offset1:224
	s_wait_loadcnt_dscnt 0x0
	s_barrier_signal -1
	s_barrier_wait -1
	global_inv scope:SCOPE_SE
	s_clause 0x1
	global_load_b128 v[131:134], v[135:136], off
	global_load_b128 v[135:138], v[135:136], off offset:512
	v_and_b32_e32 v8, 0xffff, v36
	v_lshrrev_b32_e32 v9, 16, v36
	v_and_b32_e32 v11, 0xffff, v37
	v_lshrrev_b32_e32 v10, 16, v37
	s_wait_alu 0xfffe
	s_ashr_i32 s25, s24, 31
	v_mul_u32_u24_e32 v8, 0x10001, v8
	v_mul_u32_u24_e32 v9, 0x10001, v9
	;; [unrolled: 1-line block ×3, first 2 shown]
	s_wait_alu 0xfffe
	s_mul_u64 s[24:25], s[24:25], s[14:15]
	v_and_b32_e32 v12, 0xffff, v38
	v_pk_fma_f16 v0, v28, v8, v0
	v_pk_fma_f16 v1, v29, v8, v1
	;; [unrolled: 1-line block ×12, first 2 shown]
	v_mul_u32_u24_e32 v10, 0x10001, v10
	v_pk_fma_f16 v4, v44, v9, v4
	v_pk_fma_f16 v5, v45, v9, v5
	;; [unrolled: 1-line block ×8, first 2 shown]
	s_wait_alu 0xfffe
	s_lshl_b64 s[24:25], s[24:25], 2
	v_mul_u32_u24_e32 v144, 0x10001, v12
	s_wait_alu 0xfffe
	v_add_co_u32 v139, vcc_lo, v68, s24
	s_wait_alu 0xfffd
	v_add_co_ci_u32_e64 v140, null, s25, v69, vcc_lo
	v_pk_fma_f16 v4, v76, v11, v4
	v_pk_fma_f16 v5, v77, v11, v5
	;; [unrolled: 1-line block ×8, first 2 shown]
	v_lshrrev_b32_e32 v141, 16, v38
	v_lshrrev_b32_e32 v142, 16, v39
	v_and_b32_e32 v143, 0xffff, v39
	v_pk_fma_f16 v145, v95, v10, v4
	v_pk_fma_f16 v146, v96, v10, v5
	;; [unrolled: 1-line block ×8, first 2 shown]
	v_mul_u32_u24_e32 v141, 0x10001, v141
	v_pk_fma_f16 v103, v103, v144, v145
	v_pk_fma_f16 v104, v104, v144, v146
	;; [unrolled: 1-line block ×4, first 2 shown]
	v_mul_u32_u24_e32 v143, 0x10001, v143
	v_pk_fma_f16 v107, v107, v141, v149
	v_pk_fma_f16 v108, v108, v141, v150
	;; [unrolled: 1-line block ×8, first 2 shown]
	v_mul_u32_u24_e32 v142, 0x10001, v142
	v_pk_fma_f16 v107, v115, v143, v107
	v_pk_fma_f16 v108, v116, v143, v108
	;; [unrolled: 1-line block ×16, first 2 shown]
	s_or_b32 s24, s10, 32
	s_wait_loadcnt 0x1
	ds_store_b128 v65, v[131:134]
	s_wait_loadcnt 0x0
	ds_store_b128 v66, v[135:138]
	s_wait_dscnt 0x0
	s_barrier_signal -1
	s_barrier_wait -1
	global_inv scope:SCOPE_SE
	ds_load_2addr_b64 v[0:3], v67 offset1:32
	ds_load_2addr_b64 v[4:7], v67 offset0:64 offset1:96
	ds_load_b128 v[8:11], v63 offset:32
	ds_load_2addr_b64 v[12:15], v67 offset0:128 offset1:160
	ds_load_2addr_b64 v[16:19], v67 offset0:192 offset1:224
	ds_load_2addr_b64 v[20:23], v88 offset1:32
	ds_load_2addr_b64 v[24:27], v88 offset0:64 offset1:96
	ds_load_2addr_b64 v[28:31], v88 offset0:128 offset1:160
	ds_load_2addr_b64 v[32:35], v88 offset0:192 offset1:224
	ds_load_2addr_b64 v[36:39], v87 offset1:32
	ds_load_2addr_b64 v[40:43], v87 offset0:64 offset1:96
	;; [unrolled: 4-line block ×3, first 2 shown]
	ds_load_2addr_b64 v[95:98], v86 offset0:128 offset1:160
	ds_load_2addr_b64 v[99:102], v86 offset0:192 offset1:224
	s_wait_loadcnt_dscnt 0x0
	s_barrier_signal -1
	s_barrier_wait -1
	global_inv scope:SCOPE_SE
	s_clause 0x1
	global_load_b128 v[131:134], v[139:140], off
	global_load_b128 v[135:138], v[139:140], off offset:512
	v_and_b32_e32 v111, 0xffff, v8
	v_lshrrev_b32_e32 v8, 16, v8
	v_lshrrev_b32_e32 v142, 16, v11
	v_and_b32_e32 v143, 0xffff, v11
	v_lshrrev_b32_e32 v112, 16, v9
	v_mul_u32_u24_e32 v11, 0x10001, v111
	v_and_b32_e32 v9, 0xffff, v9
	v_mul_u32_u24_e32 v8, 0x10001, v8
	s_wait_alu 0xfffe
	s_ashr_i32 s25, s24, 31
	v_lshrrev_b32_e32 v141, 16, v10
	v_pk_fma_f16 v0, v0, v11, v107
	v_pk_fma_f16 v1, v1, v11, v108
	;; [unrolled: 1-line block ×4, first 2 shown]
	v_mul_u32_u24_e32 v9, 0x10001, v9
	v_pk_fma_f16 v4, v4, v11, v103
	v_pk_fma_f16 v5, v5, v11, v104
	;; [unrolled: 1-line block ×8, first 2 shown]
	s_wait_alu 0xfffe
	s_mul_u64 s[24:25], s[24:25], s[14:15]
	v_and_b32_e32 v10, 0xffff, v10
	v_mul_u32_u24_e32 v111, 0x10001, v112
	v_pk_fma_f16 v4, v16, v8, v4
	v_pk_fma_f16 v5, v17, v8, v5
	v_pk_fma_f16 v6, v18, v8, v6
	v_pk_fma_f16 v7, v19, v8, v7
	v_pk_fma_f16 v0, v20, v9, v0
	v_pk_fma_f16 v1, v21, v9, v1
	v_pk_fma_f16 v2, v22, v9, v2
	v_pk_fma_f16 v3, v23, v9, v3
	s_wait_alu 0xfffe
	s_lshl_b64 s[24:25], s[24:25], 2
	v_mul_u32_u24_e32 v144, 0x10001, v10
	s_wait_alu 0xfffe
	v_add_co_u32 v139, vcc_lo, v68, s24
	s_wait_alu 0xfffd
	v_add_co_ci_u32_e64 v140, null, s25, v69, vcc_lo
	v_pk_fma_f16 v4, v24, v9, v4
	v_pk_fma_f16 v5, v25, v9, v5
	;; [unrolled: 1-line block ×16, first 2 shown]
	v_mul_u32_u24_e32 v141, 0x10001, v141
	v_pk_fma_f16 v40, v40, v144, v145
	v_pk_fma_f16 v41, v41, v144, v146
	;; [unrolled: 1-line block ×4, first 2 shown]
	v_mul_u32_u24_e32 v143, 0x10001, v143
	v_pk_fma_f16 v44, v44, v141, v149
	v_pk_fma_f16 v45, v45, v141, v150
	;; [unrolled: 1-line block ×8, first 2 shown]
	v_mul_u32_u24_e32 v142, 0x10001, v142
	v_pk_fma_f16 v44, v76, v143, v44
	v_pk_fma_f16 v45, v77, v143, v45
	;; [unrolled: 1-line block ×16, first 2 shown]
	s_or_b32 s24, s10, 40
	s_wait_loadcnt 0x1
	ds_store_b128 v65, v[131:134]
	s_wait_loadcnt 0x0
	ds_store_b128 v66, v[135:138]
	s_wait_dscnt 0x0
	s_barrier_signal -1
	s_barrier_wait -1
	global_inv scope:SCOPE_SE
	ds_load_2addr_b64 v[0:3], v67 offset1:32
	ds_load_2addr_b64 v[4:7], v67 offset0:64 offset1:96
	ds_load_b128 v[8:11], v63 offset:48
	ds_load_2addr_b64 v[12:15], v67 offset0:128 offset1:160
	ds_load_2addr_b64 v[16:19], v67 offset0:192 offset1:224
	ds_load_2addr_b64 v[20:23], v88 offset1:32
	ds_load_2addr_b64 v[24:27], v88 offset0:64 offset1:96
	ds_load_2addr_b64 v[28:31], v88 offset0:128 offset1:160
	ds_load_2addr_b64 v[32:35], v88 offset0:192 offset1:224
	ds_load_2addr_b64 v[36:39], v87 offset1:32
	ds_load_2addr_b64 v[103:106], v87 offset0:64 offset1:96
	;; [unrolled: 4-line block ×3, first 2 shown]
	ds_load_2addr_b64 v[123:126], v86 offset0:128 offset1:160
	ds_load_2addr_b64 v[127:130], v86 offset0:192 offset1:224
	s_wait_loadcnt_dscnt 0x0
	s_barrier_signal -1
	s_barrier_wait -1
	global_inv scope:SCOPE_SE
	s_clause 0x1
	global_load_b128 v[131:134], v[139:140], off
	global_load_b128 v[135:138], v[139:140], off offset:512
	v_and_b32_e32 v72, 0xffff, v8
	v_lshrrev_b32_e32 v8, 16, v8
	v_lshrrev_b32_e32 v142, 16, v11
	v_and_b32_e32 v143, 0xffff, v11
	v_lshrrev_b32_e32 v73, 16, v9
	v_mul_u32_u24_e32 v11, 0x10001, v72
	v_and_b32_e32 v9, 0xffff, v9
	v_mul_u32_u24_e32 v8, 0x10001, v8
	s_wait_alu 0xfffe
	s_ashr_i32 s25, s24, 31
	v_lshrrev_b32_e32 v141, 16, v10
	v_pk_fma_f16 v0, v0, v11, v44
	v_pk_fma_f16 v1, v1, v11, v45
	;; [unrolled: 1-line block ×4, first 2 shown]
	v_mul_u32_u24_e32 v9, 0x10001, v9
	v_pk_fma_f16 v4, v4, v11, v40
	v_pk_fma_f16 v5, v5, v11, v41
	;; [unrolled: 1-line block ×8, first 2 shown]
	s_wait_alu 0xfffe
	s_mul_u64 s[24:25], s[24:25], s[14:15]
	v_and_b32_e32 v10, 0xffff, v10
	v_mul_u32_u24_e32 v72, 0x10001, v73
	v_pk_fma_f16 v4, v16, v8, v4
	v_pk_fma_f16 v5, v17, v8, v5
	;; [unrolled: 1-line block ×8, first 2 shown]
	s_wait_alu 0xfffe
	s_lshl_b64 s[24:25], s[24:25], 2
	v_mul_u32_u24_e32 v144, 0x10001, v10
	s_wait_alu 0xfffe
	v_add_co_u32 v139, vcc_lo, v68, s24
	s_wait_alu 0xfffd
	v_add_co_ci_u32_e64 v140, null, s25, v69, vcc_lo
	v_pk_fma_f16 v4, v24, v9, v4
	v_pk_fma_f16 v5, v25, v9, v5
	;; [unrolled: 1-line block ×16, first 2 shown]
	v_mul_u32_u24_e32 v141, 0x10001, v141
	v_mul_u32_u24_e32 v143, 0x10001, v143
	v_pk_fma_f16 v103, v103, v144, v145
	v_pk_fma_f16 v104, v104, v144, v146
	;; [unrolled: 1-line block ×8, first 2 shown]
	v_mul_u32_u24_e32 v142, 0x10001, v142
	v_pk_fma_f16 v103, v111, v141, v103
	v_pk_fma_f16 v104, v112, v141, v104
	;; [unrolled: 1-line block ×20, first 2 shown]
	s_or_b32 s24, s10, 48
	s_wait_loadcnt 0x1
	ds_store_b128 v65, v[131:134]
	s_wait_loadcnt 0x0
	ds_store_b128 v66, v[135:138]
	s_wait_dscnt 0x0
	s_barrier_signal -1
	s_barrier_wait -1
	global_inv scope:SCOPE_SE
	ds_load_2addr_b64 v[32:35], v67 offset1:32
	ds_load_2addr_b64 v[36:39], v67 offset0:64 offset1:96
	ds_load_b128 v[28:31], v63 offset:64
	ds_load_2addr_b64 v[40:43], v67 offset0:128 offset1:160
	ds_load_2addr_b64 v[44:47], v67 offset0:192 offset1:224
	ds_load_2addr_b64 v[72:75], v88 offset1:32
	ds_load_2addr_b64 v[76:79], v88 offset0:64 offset1:96
	ds_load_2addr_b64 v[91:94], v88 offset0:128 offset1:160
	ds_load_2addr_b64 v[95:98], v88 offset0:192 offset1:224
	ds_load_2addr_b64 v[99:102], v87 offset1:32
	ds_load_2addr_b64 v[24:27], v87 offset0:64 offset1:96
	;; [unrolled: 4-line block ×3, first 2 shown]
	ds_load_2addr_b64 v[4:7], v86 offset0:128 offset1:160
	ds_load_2addr_b64 v[0:3], v86 offset0:192 offset1:224
	s_wait_loadcnt_dscnt 0x0
	s_barrier_signal -1
	s_barrier_wait -1
	global_inv scope:SCOPE_SE
	s_clause 0x1
	global_load_b128 v[131:134], v[139:140], off
	global_load_b128 v[135:138], v[139:140], off offset:512
	v_and_b32_e32 v111, 0xffff, v28
	v_lshrrev_b32_e32 v28, 16, v28
	v_and_b32_e32 v112, 0xffff, v29
	v_lshrrev_b32_e32 v29, 16, v29
	s_wait_alu 0xfffe
	s_ashr_i32 s25, s24, 31
	v_mul_u32_u24_e32 v111, 0x10001, v111
	v_mul_u32_u24_e32 v28, 0x10001, v28
	;; [unrolled: 1-line block ×3, first 2 shown]
	s_wait_alu 0xfffe
	s_mul_u64 s[24:25], s[24:25], s[14:15]
	v_and_b32_e32 v113, 0xffff, v30
	v_pk_fma_f16 v32, v32, v111, v107
	v_pk_fma_f16 v33, v33, v111, v108
	;; [unrolled: 1-line block ×12, first 2 shown]
	v_mul_u32_u24_e32 v114, 0x10001, v29
	v_pk_fma_f16 v36, v44, v28, v36
	v_pk_fma_f16 v37, v45, v28, v37
	;; [unrolled: 1-line block ×8, first 2 shown]
	s_wait_alu 0xfffe
	s_lshl_b64 s[24:25], s[24:25], 2
	v_mul_u32_u24_e32 v29, 0x10001, v113
	s_wait_alu 0xfffe
	v_add_co_u32 v139, vcc_lo, v68, s24
	s_wait_alu 0xfffd
	v_add_co_ci_u32_e64 v140, null, s25, v69, vcc_lo
	v_pk_fma_f16 v36, v76, v112, v36
	v_pk_fma_f16 v37, v77, v112, v37
	;; [unrolled: 1-line block ×16, first 2 shown]
	v_lshrrev_b32_e32 v30, 16, v30
	v_add_f32_e32 v28, v89, v90
	v_lshrrev_b32_e32 v89, 16, v31
	v_and_b32_e32 v31, 0xffff, v31
	v_pk_fma_f16 v24, v24, v29, v145
	v_mul_u32_u24_e32 v30, 0x10001, v30
	v_pk_fma_f16 v25, v25, v29, v146
	v_pk_fma_f16 v26, v26, v29, v147
	v_mul_u32_u24_e32 v31, 0x10001, v31
	v_pk_fma_f16 v27, v27, v29, v148
	v_pk_fma_f16 v16, v16, v30, v24
	v_fmac_f32_e32 v28, v71, v80
	v_mul_u32_u24_e32 v71, 0x10001, v89
	v_pk_fma_f16 v20, v20, v30, v149
	v_pk_fma_f16 v21, v21, v30, v150
	;; [unrolled: 1-line block ×23, first 2 shown]
	s_or_b32 s24, s10, 56
	s_wait_loadcnt 0x1
	ds_store_b128 v65, v[131:134]
	s_wait_loadcnt 0x0
	ds_store_b128 v66, v[135:138]
	s_wait_dscnt 0x0
	s_barrier_signal -1
	s_barrier_wait -1
	global_inv scope:SCOPE_SE
	ds_load_2addr_b64 v[32:35], v67 offset1:32
	ds_load_2addr_b64 v[36:39], v67 offset0:64 offset1:96
	ds_load_b128 v[40:43], v63 offset:80
	ds_load_2addr_b64 v[44:47], v67 offset0:128 offset1:160
	ds_load_2addr_b64 v[72:75], v67 offset0:192 offset1:224
	ds_load_2addr_b64 v[76:79], v88 offset1:32
	ds_load_2addr_b64 v[91:94], v88 offset0:64 offset1:96
	ds_load_2addr_b64 v[95:98], v88 offset0:128 offset1:160
	ds_load_2addr_b64 v[99:102], v88 offset0:192 offset1:224
	ds_load_2addr_b64 v[103:106], v87 offset1:32
	ds_load_2addr_b64 v[107:110], v87 offset0:64 offset1:96
	ds_load_2addr_b64 v[111:114], v87 offset0:128 offset1:160
	ds_load_2addr_b64 v[115:118], v87 offset0:192 offset1:224
	ds_load_2addr_b64 v[119:122], v86 offset1:32
	ds_load_2addr_b64 v[123:126], v86 offset0:64 offset1:96
	ds_load_2addr_b64 v[127:130], v86 offset0:128 offset1:160
	ds_load_2addr_b64 v[131:134], v86 offset0:192 offset1:224
	s_wait_loadcnt_dscnt 0x0
	s_barrier_signal -1
	s_barrier_wait -1
	global_inv scope:SCOPE_SE
	s_clause 0x1
	global_load_b128 v[135:138], v[139:140], off
	global_load_b128 v[139:142], v[139:140], off offset:512
	v_and_b32_e32 v8, 0xffff, v40
	v_lshrrev_b32_e32 v9, 16, v40
	v_and_b32_e32 v11, 0xffff, v41
	s_wait_alu 0xfffe
	s_ashr_i32 s25, s24, 31
	v_lshrrev_b32_e32 v10, 16, v41
	v_mul_u32_u24_e32 v8, 0x10001, v8
	v_mul_u32_u24_e32 v9, 0x10001, v9
	s_wait_alu 0xfffe
	s_mul_u64 s[24:25], s[24:25], s[14:15]
	v_mul_u32_u24_e32 v11, 0x10001, v11
	s_wait_alu 0xfffe
	s_lshl_b64 s[24:25], s[24:25], 2
	v_pk_fma_f16 v4, v32, v8, v4
	v_pk_fma_f16 v5, v33, v8, v5
	;; [unrolled: 1-line block ×16, first 2 shown]
	s_wait_alu 0xfffe
	v_add_co_u32 v143, vcc_lo, v68, s24
	s_wait_alu 0xfffd
	v_add_co_ci_u32_e64 v144, null, s25, v69, vcc_lo
	v_mul_u32_u24_e32 v10, 0x10001, v10
	v_pk_fma_f16 v4, v76, v11, v4
	v_pk_fma_f16 v5, v77, v11, v5
	;; [unrolled: 1-line block ×8, first 2 shown]
	v_lshrrev_b32_e32 v80, 16, v42
	v_lshrrev_b32_e32 v147, 16, v43
	v_and_b32_e32 v148, 0xffff, v42
	v_and_b32_e32 v149, 0xffff, v43
	v_pk_fma_f16 v45, v95, v10, v4
	v_pk_fma_f16 v46, v96, v10, v5
	;; [unrolled: 1-line block ×8, first 2 shown]
	v_mul_u32_u24_e32 v148, 0x10001, v148
	v_mul_u32_u24_e32 v80, 0x10001, v80
	;; [unrolled: 1-line block ×4, first 2 shown]
	s_wait_loadcnt 0x1
	ds_store_b128 v65, v[135:138]
	s_wait_loadcnt 0x0
	ds_store_b128 v66, v[139:142]
	s_wait_dscnt 0x0
	s_barrier_signal -1
	s_barrier_wait -1
	global_inv scope:SCOPE_SE
	ds_load_2addr_b64 v[0:3], v67 offset1:32
	ds_load_b128 v[4:7], v63 offset:96
	ds_load_2addr_b64 v[8:11], v67 offset0:64 offset1:96
	ds_load_2addr_b64 v[12:15], v67 offset0:128 offset1:160
	ds_load_2addr_b64 v[16:19], v67 offset0:192 offset1:224
	ds_load_2addr_b64 v[20:23], v88 offset1:32
	ds_load_2addr_b64 v[24:27], v88 offset0:64 offset1:96
	ds_load_2addr_b64 v[29:32], v88 offset0:128 offset1:160
	ds_load_2addr_b64 v[33:36], v88 offset0:192 offset1:224
	ds_load_2addr_b64 v[37:40], v87 offset1:32
	;; [unrolled: 4-line block ×3, first 2 shown]
	ds_load_2addr_b64 v[93:96], v86 offset0:64 offset1:96
	ds_load_2addr_b64 v[97:100], v86 offset0:128 offset1:160
	;; [unrolled: 1-line block ×3, first 2 shown]
	s_wait_loadcnt_dscnt 0x0
	s_barrier_signal -1
	s_barrier_wait -1
	global_inv scope:SCOPE_SE
	s_clause 0x1
	global_load_b128 v[139:142], v[143:144], off
	global_load_b128 v[143:146], v[143:144], off offset:512
	v_pk_fma_f16 v45, v103, v148, v45
	v_pk_fma_f16 v46, v104, v148, v46
	;; [unrolled: 1-line block ×22, first 2 shown]
	v_lshrrev_b32_e32 v104, 16, v4
	v_and_b32_e32 v4, 0xffff, v4
	v_pk_fma_f16 v101, v125, v149, v101
	v_pk_fma_f16 v80, v126, v149, v80
	;; [unrolled: 1-line block ×7, first 2 shown]
	v_lshrrev_b32_e32 v107, 16, v7
	v_and_b32_e32 v7, 0xffff, v7
	v_mul_u32_u24_e32 v4, 0x10001, v4
	v_pk_fma_f16 v103, v132, v147, v103
	v_pk_fma_f16 v101, v133, v147, v101
	;; [unrolled: 1-line block ×3, first 2 shown]
	v_lshrrev_b32_e32 v105, 16, v5
	v_and_b32_e32 v5, 0xffff, v5
	v_mul_u32_u24_e32 v104, 0x10001, v104
	v_mul_u32_u24_e32 v113, 0x10001, v7
	v_pk_fma_f16 v0, v0, v4, v45
	v_pk_fma_f16 v1, v1, v4, v46
	;; [unrolled: 1-line block ×5, first 2 shown]
	v_mul_u32_u24_e32 v5, 0x10001, v5
	v_pk_fma_f16 v8, v9, v4, v103
	v_pk_fma_f16 v9, v10, v4, v101
	v_pk_fma_f16 v4, v11, v4, v80
	v_pk_fma_f16 v0, v12, v104, v0
	v_pk_fma_f16 v1, v13, v104, v1
	v_pk_fma_f16 v2, v14, v104, v2
	v_pk_fma_f16 v3, v15, v104, v3
	v_pk_fma_f16 v7, v16, v104, v7
	v_lshrrev_b32_e32 v106, 16, v6
	v_and_b32_e32 v6, 0xffff, v6
	v_mul_u32_u24_e32 v105, 0x10001, v105
	v_pk_fma_f16 v8, v17, v104, v8
	v_pk_fma_f16 v9, v18, v104, v9
	v_pk_fma_f16 v4, v19, v104, v4
	v_pk_fma_f16 v0, v20, v5, v0
	v_pk_fma_f16 v1, v21, v5, v1
	v_pk_fma_f16 v2, v22, v5, v2
	v_pk_fma_f16 v3, v23, v5, v3
	v_pk_fma_f16 v7, v24, v5, v7
	v_mul_u32_u24_e32 v6, 0x10001, v6
	v_pk_fma_f16 v8, v25, v5, v8
	v_pk_fma_f16 v9, v26, v5, v9
	v_pk_fma_f16 v4, v27, v5, v4
	v_pk_fma_f16 v0, v29, v105, v0
	v_pk_fma_f16 v1, v30, v105, v1
	v_pk_fma_f16 v2, v31, v105, v2
	v_pk_fma_f16 v3, v32, v105, v3
	v_pk_fma_f16 v5, v33, v105, v7
	;; [unrolled: 9-line block ×3, first 2 shown]
	v_pk_fma_f16 v7, v42, v6, v7
	v_pk_fma_f16 v8, v43, v6, v8
	;; [unrolled: 1-line block ×8, first 2 shown]
	v_mul_u32_u24_e32 v114, 0x10001, v107
	v_pk_fma_f16 v45, v76, v106, v7
	v_pk_fma_f16 v46, v77, v106, v8
	v_pk_fma_f16 v47, v78, v106, v4
	v_pk_fma_f16 v79, v89, v113, v0
	v_pk_fma_f16 v80, v90, v113, v1
	v_pk_fma_f16 v91, v91, v113, v2
	v_pk_fma_f16 v92, v92, v113, v3
	v_pk_fma_f16 v93, v93, v113, v5
	v_pk_fma_f16 v45, v94, v113, v45
	v_pk_fma_f16 v46, v95, v113, v46
	v_pk_fma_f16 v47, v96, v113, v47
	v_pk_fma_f16 v79, v97, v114, v79
	v_pk_fma_f16 v80, v98, v114, v80
	v_pk_fma_f16 v45, v136, v114, v45
	v_pk_fma_f16 v46, v137, v114, v46
	v_pk_fma_f16 v47, v138, v114, v47
	s_wait_loadcnt 0x1
	ds_store_b128 v65, v[139:142]
	s_wait_loadcnt 0x0
	ds_store_b128 v66, v[143:146]
	s_wait_dscnt 0x0
	s_barrier_signal -1
	s_barrier_wait -1
	global_inv scope:SCOPE_SE
	ds_load_2addr_b64 v[0:3], v67 offset1:32
	ds_load_2addr_b64 v[4:7], v67 offset0:64 offset1:96
	ds_load_b128 v[8:11], v63 offset:112
	ds_load_2addr_b64 v[12:15], v67 offset0:128 offset1:160
	ds_load_2addr_b64 v[16:19], v67 offset0:192 offset1:224
	ds_load_2addr_b64 v[20:23], v88 offset1:32
	ds_load_2addr_b64 v[24:27], v88 offset0:64 offset1:96
	ds_load_2addr_b64 v[29:32], v88 offset0:128 offset1:160
	ds_load_2addr_b64 v[33:36], v88 offset0:192 offset1:224
	ds_load_2addr_b64 v[37:40], v87 offset1:32
	ds_load_2addr_b64 v[41:44], v87 offset0:64 offset1:96
	;; [unrolled: 4-line block ×3, first 2 shown]
	ds_load_2addr_b64 v[105:108], v86 offset0:128 offset1:160
	ds_load_2addr_b64 v[109:112], v86 offset0:192 offset1:224
	v_pk_fma_f16 v86, v99, v114, v91
	v_pk_fma_f16 v91, v100, v114, v92
	;; [unrolled: 1-line block ×3, first 2 shown]
	s_wait_loadcnt_dscnt 0x0
	s_barrier_signal -1
	v_lshrrev_b32_e32 v93, 16, v8
	v_and_b32_e32 v8, 0xffff, v8
	v_lshrrev_b32_e32 v94, 16, v9
	v_and_b32_e32 v9, 0xffff, v9
	v_lshrrev_b32_e32 v95, 16, v10
	v_mul_u32_u24_e32 v93, 0x10001, v93
	v_mul_u32_u24_e32 v8, 0x10001, v8
	v_and_b32_e32 v10, 0xffff, v10
	v_mul_u32_u24_e32 v9, 0x10001, v9
	v_mul_u32_u24_e32 v94, 0x10001, v94
	s_barrier_wait -1
	v_pk_fma_f16 v0, v0, v8, v79
	v_pk_fma_f16 v1, v1, v8, v80
	;; [unrolled: 1-line block ×24, first 2 shown]
	global_inv scope:SCOPE_SE
	s_load_b32 s11, s[8:9], 0x4
	v_mul_u32_u24_e32 v10, 0x10001, v10
	v_pk_fma_f16 v0, v29, v94, v0
	v_pk_fma_f16 v1, v30, v94, v1
	;; [unrolled: 1-line block ×8, first 2 shown]
	v_lshrrev_b32_e32 v96, 16, v11
	v_and_b32_e32 v11, 0xffff, v11
	v_mul_u32_u24_e32 v95, 0x10001, v95
	v_pk_fma_f16 v0, v37, v10, v0
	v_pk_fma_f16 v1, v38, v10, v1
	v_pk_fma_f16 v2, v39, v10, v2
	v_pk_fma_f16 v3, v40, v10, v3
	v_pk_fma_f16 v4, v41, v10, v4
	v_pk_fma_f16 v5, v42, v10, v5
	v_pk_fma_f16 v6, v43, v10, v6
	v_pk_fma_f16 v7, v44, v10, v7
	v_mul_u32_u24_e32 v11, 0x10001, v11
	v_pk_fma_f16 v0, v71, v95, v0
	v_pk_fma_f16 v1, v72, v95, v1
	v_pk_fma_f16 v2, v73, v95, v2
	v_pk_fma_f16 v3, v74, v95, v3
	v_pk_fma_f16 v4, v75, v95, v4
	v_pk_fma_f16 v5, v76, v95, v5
	v_pk_fma_f16 v6, v77, v95, v6
	v_pk_fma_f16 v7, v78, v95, v7
	;; [unrolled: 9-line block ×3, first 2 shown]
	s_wait_kmcnt 0x0
	s_lshl_b32 s11, s11, 6
	v_pk_fma_f16 v72, v105, v96, v0
	v_pk_fma_f16 v73, v106, v96, v1
	;; [unrolled: 1-line block ×8, first 2 shown]
	s_wait_alu 0xfffe
	s_add_co_i32 s10, s11, s10
	s_wait_alu 0xfffe
	s_cmp_ge_i32 s10, s28
	s_cbranch_scc1 .LBB27_21
; %bb.20:                               ;   in Loop: Header=BB27_11 Depth=1
	v_dual_mov_b32 v80, v55 :: v_dual_mov_b32 v71, v28
	s_branch .LBB27_11
.LBB27_21:
	v_dual_mov_b32 v1, 32 :: v_dual_mov_b32 v2, v59
.LBB27_22:
	s_delay_alu instid0(VALU_DEP_1)
	v_cmp_lt_i32_e32 vcc_lo, v82, v1
	s_cmp_lg_u64 s[12:13], 0
	s_cselect_b32 s3, -1, 0
	s_cmp_eq_u32 s4, 0
	s_wait_alu 0xfffd
	v_cndmask_b32_e32 v0, v2, v82, vcc_lo
	v_cmp_lt_i32_e32 vcc_lo, v81, v1
	s_cselect_b32 s5, -1, 0
	s_wait_alu 0xfffe
	s_and_b32 s3, s5, s3
	s_wait_alu 0xfffd
	v_cndmask_b32_e32 v3, v2, v81, vcc_lo
	v_cmp_lt_i32_e32 vcc_lo, v83, v1
	s_delay_alu instid0(VALU_DEP_2)
	v_lshlrev_b32_e32 v3, 2, v3
	v_lshlrev_b32_e32 v0, 2, v0
	s_wait_alu 0xfffd
	v_cndmask_b32_e32 v4, v2, v83, vcc_lo
	v_cmp_lt_i32_e32 vcc_lo, v84, v1
	ds_bpermute_b32 v0, v0, v28
	v_lshlrev_b32_e32 v4, 2, v4
	s_wait_dscnt 0x0
	v_add_f32_e32 v0, v28, v0
	ds_bpermute_b32 v3, v3, v0
	s_wait_dscnt 0x0
	v_add_f32_e32 v0, v0, v3
	ds_bpermute_b32 v3, v4, v0
	s_wait_alu 0xfffd
	v_cndmask_b32_e32 v4, v2, v84, vcc_lo
	v_cmp_lt_i32_e32 vcc_lo, v85, v1
	s_wait_alu 0xfffd
	s_delay_alu instid0(VALU_DEP_2) | instskip(SKIP_3) | instid1(VALU_DEP_1)
	v_dual_cndmask_b32 v1, v2, v85 :: v_dual_lshlrev_b32 v4, 2, v4
	s_wait_alu 0xfffe
	s_and_b32 vcc_lo, exec_lo, s3
	s_wait_dscnt 0x0
	v_dual_add_f32 v0, v0, v3 :: v_dual_lshlrev_b32 v1, 2, v1
	ds_bpermute_b32 v3, v4, v0
	s_wait_dscnt 0x0
	v_add_f32_e32 v0, v0, v3
	ds_bpermute_b32 v1, v1, v0
	s_wait_dscnt 0x0
	v_add_f32_e32 v56, v0, v1
	s_wait_alu 0xfffe
	s_cbranch_vccz .LBB27_24
; %bb.23:
	v_add_nc_u32_e32 v0, s33, v57
	s_delay_alu instid0(VALU_DEP_1) | instskip(NEXT) | instid1(VALU_DEP_1)
	v_ashrrev_i32_e32 v1, 31, v0
	v_lshlrev_b64_e32 v[0:1], 2, v[0:1]
	s_delay_alu instid0(VALU_DEP_1) | instskip(SKIP_1) | instid1(VALU_DEP_2)
	v_add_co_u32 v0, vcc_lo, s12, v0
	s_wait_alu 0xfffd
	v_add_co_ci_u32_e64 v1, null, s13, v1, vcc_lo
	global_load_b32 v0, v[0:1], off
	s_wait_loadcnt 0x0
	v_dual_max_num_f32 v1, v55, v55 :: v_dual_max_num_f32 v2, v0, v0
	s_delay_alu instid0(VALU_DEP_1) | instskip(NEXT) | instid1(VALU_DEP_1)
	v_max_num_f32_e32 v1, v1, v2
	v_sub_f32_e32 v0, v0, v1
	s_delay_alu instid0(VALU_DEP_1) | instskip(NEXT) | instid1(VALU_DEP_1)
	v_mul_f32_e32 v6, 0x3fb8aa3b, v0
	v_fma_f32 v7, 0x3fb8aa3b, v0, -v6
	v_sub_f32_e32 v2, v55, v1
	v_rndne_f32_e32 v8, v6
	v_mov_b32_e32 v55, v1
	s_delay_alu instid0(VALU_DEP_4) | instskip(NEXT) | instid1(VALU_DEP_4)
	v_fmac_f32_e32 v7, 0x32a5705f, v0
	v_mul_f32_e32 v3, 0x3fb8aa3b, v2
	v_cmp_ngt_f32_e32 vcc_lo, 0xc2ce8ed0, v2
	s_delay_alu instid0(VALU_DEP_2) | instskip(SKIP_1) | instid1(VALU_DEP_1)
	v_fma_f32 v4, 0x3fb8aa3b, v2, -v3
	v_rndne_f32_e32 v5, v3
	v_dual_fmac_f32 v4, 0x32a5705f, v2 :: v_dual_sub_f32 v3, v3, v5
	v_cvt_i32_f32_e32 v5, v5
	s_delay_alu instid0(VALU_DEP_2) | instskip(SKIP_1) | instid1(VALU_DEP_2)
	v_add_f32_e32 v3, v3, v4
	v_sub_f32_e32 v4, v6, v8
	v_exp_f32_e32 v3, v3
	s_delay_alu instid0(VALU_DEP_1) | instskip(NEXT) | instid1(VALU_DEP_1)
	v_add_f32_e32 v4, v4, v7
	v_exp_f32_e32 v4, v4
	s_delay_alu instid0(TRANS32_DEP_2) | instskip(SKIP_2) | instid1(VALU_DEP_2)
	v_ldexp_f32 v3, v3, v5
	v_cvt_i32_f32_e32 v5, v8
	s_wait_alu 0xfffd
	v_cndmask_b32_e32 v3, 0, v3, vcc_lo
	v_cmp_nlt_f32_e32 vcc_lo, 0x42b17218, v2
	s_delay_alu instid0(TRANS32_DEP_1) | instid1(VALU_DEP_3)
	v_ldexp_f32 v4, v4, v5
	s_wait_alu 0xfffd
	s_delay_alu instid0(VALU_DEP_3)
	v_cndmask_b32_e32 v2, 0x7f800000, v3, vcc_lo
	v_cmp_ngt_f32_e32 vcc_lo, 0xc2ce8ed0, v0
	s_wait_alu 0xfffd
	v_cndmask_b32_e32 v3, 0, v4, vcc_lo
	v_cmp_nlt_f32_e32 vcc_lo, 0x42b17218, v0
	v_cvt_f16_f32_e32 v4, v2
	s_wait_alu 0xfffd
	s_delay_alu instid0(VALU_DEP_3) | instskip(NEXT) | instid1(VALU_DEP_1)
	v_cndmask_b32_e32 v0, 0x7f800000, v3, vcc_lo
	v_dual_fmac_f32 v0, v56, v2 :: v_dual_and_b32 v3, 0xffff, v4
	s_delay_alu instid0(VALU_DEP_1) | instskip(NEXT) | instid1(VALU_DEP_2)
	v_mov_b32_e32 v56, v0
	v_mul_u32_u24_e32 v2, 0x10001, v3
	s_delay_alu instid0(VALU_DEP_1)
	v_pk_mul_f16 v72, v72, v2
	v_pk_mul_f16 v73, v73, v2
	v_pk_mul_f16 v78, v78, v2
	v_pk_mul_f16 v79, v79, v2
	v_pk_mul_f16 v76, v76, v2
	v_pk_mul_f16 v77, v77, v2
	v_pk_mul_f16 v75, v75, v2
	v_pk_mul_f16 v74, v74, v2
.LBB27_24:
	s_mov_b32 s3, exec_lo
	v_cmpx_gt_i32_e64 s22, v48
	s_cbranch_execz .LBB27_27
; %bb.25:
	v_div_scale_f32 v2, null, v56, v56, 1.0
	v_mad_co_u64_u32 v[0:1], null, s2, s22, v[48:49]
	s_load_b32 s1, s[0:1], 0xd4
	v_rcp_f32_e32 v3, v2
	v_div_scale_f32 v4, vcc_lo, 1.0, v56, 1.0
	v_lshrrev_b32_e32 v7, 16, v72
	v_lshrrev_b32_e32 v5, 16, v73
	v_mul_lo_u32 v0, v0, s23
	v_lshrrev_b32_e32 v10, 16, v79
	v_cvt_f32_f16_e32 v8, v72
	v_cvt_f32_f16_e32 v7, v7
	;; [unrolled: 1-line block ×3, first 2 shown]
	s_delay_alu instid0(TRANS32_DEP_1)
	v_fma_f32 v1, -v2, v3, 1.0
	v_lshrrev_b32_e32 v12, 16, v78
	v_cvt_f32_f16_e32 v15, v78
	v_add3_u32 v0, s33, v57, v0
	v_lshrrev_b32_e32 v16, 16, v77
	v_dual_fmac_f32 v3, v1, v3 :: v_dual_mov_b32 v14, 0
	v_cvt_f32_f16_e32 v5, v5
	v_cvt_f32_f16_e32 v10, v10
	s_wait_kmcnt 0x0
	v_mad_co_u64_u32 v[0:1], null, s1, v0, s[4:5]
	v_mul_f32_e32 v9, v4, v3
	s_cmp_lg_u32 s1, 1
	v_cvt_f32_f16_e32 v6, v73
	s_cselect_b32 s1, -1, 0
	v_cvt_f32_f16_e32 v12, v12
	v_fma_f32 v1, -v2, v9, v4
	v_lshl_add_u32 v13, v0, 9, v58
	v_lshrrev_b32_e32 v21, 16, v76
	v_lshrrev_b32_e32 v23, 16, v74
	;; [unrolled: 1-line block ×3, first 2 shown]
	v_fmac_f32_e32 v9, v1, v3
	v_cvt_f32_f16_e32 v22, v76
	v_cvt_f32_f16_e32 v21, v21
	v_cmp_eq_u32_e64 s0, 0, v49
	v_cvt_f32_f16_e32 v27, v24
	v_fma_f32 v4, -v2, v9, v4
	v_mov_b32_e32 v2, v14
	v_cvt_f32_f16_e32 v26, v74
	v_cvt_f32_f16_e32 v28, v75
	s_wait_alu 0xfffe
	s_and_b32 s0, s0, s1
	s_wait_alu 0xfffd
	v_div_fmas_f32 v9, v4, v3, v9
	v_lshlrev_b64_e32 v[3:4], 2, v[13:14]
	s_delay_alu instid0(VALU_DEP_2) | instskip(NEXT) | instid1(VALU_DEP_2)
	v_div_fixup_f32 v9, v9, v56, 1.0
	v_add_co_u32 v17, vcc_lo, s16, v3
	s_wait_alu 0xfffd
	s_delay_alu instid0(VALU_DEP_3) | instskip(NEXT) | instid1(VALU_DEP_3)
	v_add_co_ci_u32_e64 v18, null, s17, v4, vcc_lo
	v_cndmask_b32_e64 v25, v9, 1.0, s1
	v_add_nc_u32_e32 v1, 0x80, v13
	v_add_nc_u32_e32 v9, 0x100, v13
	;; [unrolled: 1-line block ×3, first 2 shown]
	s_delay_alu instid0(VALU_DEP_4) | instskip(NEXT) | instid1(VALU_DEP_4)
	v_mul_f32_e32 v4, v25, v5
	v_lshlrev_b64_e32 v[1:2], 2, v[1:2]
	v_mul_f32_e32 v5, v25, v15
	v_cvt_f32_f16_e32 v15, v77
	v_mul_f32_e32 v3, v25, v6
	v_mul_f32_e32 v6, v25, v12
	v_add_co_u32 v19, vcc_lo, s16, v1
	s_wait_alu 0xfffd
	v_add_co_ci_u32_e64 v20, null, s17, v2, vcc_lo
	v_mul_f32_e32 v2, v25, v7
	v_mul_f32_e32 v1, v25, v8
	;; [unrolled: 1-line block ×4, first 2 shown]
	v_cvt_f32_f16_e32 v11, v16
	v_mov_b32_e32 v10, v14
	s_delay_alu instid0(VALU_DEP_2) | instskip(SKIP_1) | instid1(VALU_DEP_3)
	v_mul_f32_e32 v12, v25, v11
	v_mul_f32_e32 v11, v25, v15
	v_lshlrev_b64_e32 v[15:16], 2, v[9:10]
	v_mul_f32_e32 v10, v25, v21
	v_mul_f32_e32 v9, v25, v22
	s_delay_alu instid0(VALU_DEP_3)
	v_add_co_u32 v21, vcc_lo, s16, v15
	v_cvt_f32_f16_e32 v15, v23
	v_lshlrev_b64_e32 v[23:24], 2, v[13:14]
	s_wait_alu 0xfffd
	v_add_co_ci_u32_e64 v22, null, s17, v16, vcc_lo
	v_mul_f32_e32 v14, v25, v27
	v_mul_f32_e32 v16, v25, v15
	;; [unrolled: 1-line block ×3, first 2 shown]
	v_add_co_u32 v23, vcc_lo, s16, v23
	v_mul_f32_e32 v13, v25, v28
	s_wait_alu 0xfffd
	v_add_co_ci_u32_e64 v24, null, s17, v24, vcc_lo
	s_clause 0x3
	global_store_b128 v[17:18], v[1:4], off
	global_store_b128 v[19:20], v[5:8], off
	;; [unrolled: 1-line block ×4, first 2 shown]
	s_wait_alu 0xfffe
	s_and_b32 exec_lo, exec_lo, s0
	s_cbranch_execz .LBB27_27
; %bb.26:
	v_ashrrev_i32_e32 v1, 31, v0
	s_delay_alu instid0(VALU_DEP_1) | instskip(NEXT) | instid1(VALU_DEP_1)
	v_lshlrev_b64_e32 v[0:1], 3, v[0:1]
	v_add_co_u32 v0, vcc_lo, s18, v0
	s_wait_alu 0xfffd
	s_delay_alu instid0(VALU_DEP_2)
	v_add_co_ci_u32_e64 v1, null, s19, v1, vcc_lo
	global_store_b64 v[0:1], v[55:56], off
.LBB27_27:
	s_nop 0
	s_sendmsg sendmsg(MSG_DEALLOC_VGPRS)
	s_endpgm
	.section	.rodata,"a",@progbits
	.p2align	6, 0x0
	.amdhsa_kernel _ZL15flash_attn_tileILi576ELi512ELi2ELi4ELb1EEvPKcS1_S1_S1_S1_PKiPfP15HIP_vector_typeIfLj2EEffffjfiS5_IjLj3EEiiiiiiiiiiiliiliiiiil
		.amdhsa_group_segment_fixed_size 19456
		.amdhsa_private_segment_fixed_size 0
		.amdhsa_kernarg_size 464
		.amdhsa_user_sgpr_count 2
		.amdhsa_user_sgpr_dispatch_ptr 0
		.amdhsa_user_sgpr_queue_ptr 0
		.amdhsa_user_sgpr_kernarg_segment_ptr 1
		.amdhsa_user_sgpr_dispatch_id 0
		.amdhsa_user_sgpr_private_segment_size 0
		.amdhsa_wavefront_size32 1
		.amdhsa_uses_dynamic_stack 0
		.amdhsa_enable_private_segment 0
		.amdhsa_system_sgpr_workgroup_id_x 1
		.amdhsa_system_sgpr_workgroup_id_y 1
		.amdhsa_system_sgpr_workgroup_id_z 1
		.amdhsa_system_sgpr_workgroup_info 0
		.amdhsa_system_vgpr_workitem_id 1
		.amdhsa_next_free_vgpr 153
		.amdhsa_next_free_sgpr 43
		.amdhsa_reserve_vcc 1
		.amdhsa_float_round_mode_32 0
		.amdhsa_float_round_mode_16_64 0
		.amdhsa_float_denorm_mode_32 3
		.amdhsa_float_denorm_mode_16_64 3
		.amdhsa_fp16_overflow 0
		.amdhsa_workgroup_processor_mode 1
		.amdhsa_memory_ordered 1
		.amdhsa_forward_progress 1
		.amdhsa_inst_pref_size 121
		.amdhsa_round_robin_scheduling 0
		.amdhsa_exception_fp_ieee_invalid_op 0
		.amdhsa_exception_fp_denorm_src 0
		.amdhsa_exception_fp_ieee_div_zero 0
		.amdhsa_exception_fp_ieee_overflow 0
		.amdhsa_exception_fp_ieee_underflow 0
		.amdhsa_exception_fp_ieee_inexact 0
		.amdhsa_exception_int_div_zero 0
	.end_amdhsa_kernel
	.section	.text._ZL15flash_attn_tileILi576ELi512ELi2ELi4ELb1EEvPKcS1_S1_S1_S1_PKiPfP15HIP_vector_typeIfLj2EEffffjfiS5_IjLj3EEiiiiiiiiiiiliiliiiiil,"axG",@progbits,_ZL15flash_attn_tileILi576ELi512ELi2ELi4ELb1EEvPKcS1_S1_S1_S1_PKiPfP15HIP_vector_typeIfLj2EEffffjfiS5_IjLj3EEiiiiiiiiiiiliiliiiiil,comdat
.Lfunc_end27:
	.size	_ZL15flash_attn_tileILi576ELi512ELi2ELi4ELb1EEvPKcS1_S1_S1_S1_PKiPfP15HIP_vector_typeIfLj2EEffffjfiS5_IjLj3EEiiiiiiiiiiiliiliiiiil, .Lfunc_end27-_ZL15flash_attn_tileILi576ELi512ELi2ELi4ELb1EEvPKcS1_S1_S1_S1_PKiPfP15HIP_vector_typeIfLj2EEffffjfiS5_IjLj3EEiiiiiiiiiiiliiliiiiil
                                        ; -- End function
	.set _ZL15flash_attn_tileILi576ELi512ELi2ELi4ELb1EEvPKcS1_S1_S1_S1_PKiPfP15HIP_vector_typeIfLj2EEffffjfiS5_IjLj3EEiiiiiiiiiiiliiliiiiil.num_vgpr, 153
	.set _ZL15flash_attn_tileILi576ELi512ELi2ELi4ELb1EEvPKcS1_S1_S1_S1_PKiPfP15HIP_vector_typeIfLj2EEffffjfiS5_IjLj3EEiiiiiiiiiiiliiliiiiil.num_agpr, 0
	.set _ZL15flash_attn_tileILi576ELi512ELi2ELi4ELb1EEvPKcS1_S1_S1_S1_PKiPfP15HIP_vector_typeIfLj2EEffffjfiS5_IjLj3EEiiiiiiiiiiiliiliiiiil.numbered_sgpr, 43
	.set _ZL15flash_attn_tileILi576ELi512ELi2ELi4ELb1EEvPKcS1_S1_S1_S1_PKiPfP15HIP_vector_typeIfLj2EEffffjfiS5_IjLj3EEiiiiiiiiiiiliiliiiiil.num_named_barrier, 0
	.set _ZL15flash_attn_tileILi576ELi512ELi2ELi4ELb1EEvPKcS1_S1_S1_S1_PKiPfP15HIP_vector_typeIfLj2EEffffjfiS5_IjLj3EEiiiiiiiiiiiliiliiiiil.private_seg_size, 0
	.set _ZL15flash_attn_tileILi576ELi512ELi2ELi4ELb1EEvPKcS1_S1_S1_S1_PKiPfP15HIP_vector_typeIfLj2EEffffjfiS5_IjLj3EEiiiiiiiiiiiliiliiiiil.uses_vcc, 1
	.set _ZL15flash_attn_tileILi576ELi512ELi2ELi4ELb1EEvPKcS1_S1_S1_S1_PKiPfP15HIP_vector_typeIfLj2EEffffjfiS5_IjLj3EEiiiiiiiiiiiliiliiiiil.uses_flat_scratch, 0
	.set _ZL15flash_attn_tileILi576ELi512ELi2ELi4ELb1EEvPKcS1_S1_S1_S1_PKiPfP15HIP_vector_typeIfLj2EEffffjfiS5_IjLj3EEiiiiiiiiiiiliiliiiiil.has_dyn_sized_stack, 0
	.set _ZL15flash_attn_tileILi576ELi512ELi2ELi4ELb1EEvPKcS1_S1_S1_S1_PKiPfP15HIP_vector_typeIfLj2EEffffjfiS5_IjLj3EEiiiiiiiiiiiliiliiiiil.has_recursion, 0
	.set _ZL15flash_attn_tileILi576ELi512ELi2ELi4ELb1EEvPKcS1_S1_S1_S1_PKiPfP15HIP_vector_typeIfLj2EEffffjfiS5_IjLj3EEiiiiiiiiiiiliiliiiiil.has_indirect_call, 0
	.section	.AMDGPU.csdata,"",@progbits
; Kernel info:
; codeLenInByte = 15372
; TotalNumSgprs: 45
; NumVgprs: 153
; ScratchSize: 0
; MemoryBound: 0
; FloatMode: 240
; IeeeMode: 1
; LDSByteSize: 19456 bytes/workgroup (compile time only)
; SGPRBlocks: 0
; VGPRBlocks: 19
; NumSGPRsForWavesPerEU: 45
; NumVGPRsForWavesPerEU: 153
; Occupancy: 9
; WaveLimiterHint : 1
; COMPUTE_PGM_RSRC2:SCRATCH_EN: 0
; COMPUTE_PGM_RSRC2:USER_SGPR: 2
; COMPUTE_PGM_RSRC2:TRAP_HANDLER: 0
; COMPUTE_PGM_RSRC2:TGID_X_EN: 1
; COMPUTE_PGM_RSRC2:TGID_Y_EN: 1
; COMPUTE_PGM_RSRC2:TGID_Z_EN: 1
; COMPUTE_PGM_RSRC2:TIDIG_COMP_CNT: 1
	.section	.text._ZL15flash_attn_tileILi576ELi512ELi1ELi4ELb1EEvPKcS1_S1_S1_S1_PKiPfP15HIP_vector_typeIfLj2EEffffjfiS5_IjLj3EEiiiiiiiiiiiliiliiiiil,"axG",@progbits,_ZL15flash_attn_tileILi576ELi512ELi1ELi4ELb1EEvPKcS1_S1_S1_S1_PKiPfP15HIP_vector_typeIfLj2EEffffjfiS5_IjLj3EEiiiiiiiiiiiliiliiiiil,comdat
	.globl	_ZL15flash_attn_tileILi576ELi512ELi1ELi4ELb1EEvPKcS1_S1_S1_S1_PKiPfP15HIP_vector_typeIfLj2EEffffjfiS5_IjLj3EEiiiiiiiiiiiliiliiiiil ; -- Begin function _ZL15flash_attn_tileILi576ELi512ELi1ELi4ELb1EEvPKcS1_S1_S1_S1_PKiPfP15HIP_vector_typeIfLj2EEffffjfiS5_IjLj3EEiiiiiiiiiiiliiliiiiil
	.p2align	8
	.type	_ZL15flash_attn_tileILi576ELi512ELi1ELi4ELb1EEvPKcS1_S1_S1_S1_PKiPfP15HIP_vector_typeIfLj2EEffffjfiS5_IjLj3EEiiiiiiiiiiiliiliiiiil,@function
_ZL15flash_attn_tileILi576ELi512ELi1ELi4ELb1EEvPKcS1_S1_S1_S1_PKiPfP15HIP_vector_typeIfLj2EEffffjfiS5_IjLj3EEiiiiiiiiiiiliiliiiiil: ; @_ZL15flash_attn_tileILi576ELi512ELi1ELi4ELb1EEvPKcS1_S1_S1_S1_PKiPfP15HIP_vector_typeIfLj2EEffffjfiS5_IjLj3EEiiiiiiiiiiiliiliiiiil
; %bb.0:
	s_clause 0x1
	s_load_b128 s[20:23], s[0:1], 0x5c
	s_load_b64 s[28:29], s[0:1], 0x80
	s_lshr_b32 s5, ttmp7, 16
	s_load_b64 s[36:37], s[0:1], 0xb8
	s_mov_b32 s35, 0
	s_mov_b64 s[30:31], 0
	s_wait_kmcnt 0x0
	s_ashr_i32 s2, s23, 31
	s_delay_alu instid0(SALU_CYCLE_1) | instskip(NEXT) | instid1(SALU_CYCLE_1)
	s_lshr_b32 s2, s2, 30
	s_add_co_i32 s2, s23, s2
	s_delay_alu instid0(SALU_CYCLE_1) | instskip(NEXT) | instid1(SALU_CYCLE_1)
	s_ashr_i32 s2, s2, 2
	s_cvt_f32_u32 s3, s2
	s_sub_co_i32 s4, 0, s2
	s_delay_alu instid0(SALU_CYCLE_2) | instskip(NEXT) | instid1(TRANS32_DEP_1)
	v_rcp_iflag_f32_e32 v1, s3
	v_readfirstlane_b32 s3, v1
	s_mul_f32 s3, s3, 0x4f7ffffe
	s_wait_alu 0xfffe
	s_delay_alu instid0(SALU_CYCLE_2) | instskip(SKIP_1) | instid1(SALU_CYCLE_2)
	s_cvt_u32_f32 s3, s3
	s_wait_alu 0xfffe
	s_mul_i32 s4, s4, s3
	s_delay_alu instid0(SALU_CYCLE_1) | instskip(NEXT) | instid1(SALU_CYCLE_1)
	s_mul_hi_u32 s4, s3, s4
	s_add_co_i32 s3, s3, s4
	s_wait_alu 0xfffe
	s_mul_hi_u32 s3, s5, s3
	s_wait_alu 0xfffe
	s_mul_i32 s4, s3, s2
	s_add_co_i32 s6, s3, 1
	s_sub_co_i32 s4, s5, s4
	s_delay_alu instid0(SALU_CYCLE_1)
	s_sub_co_i32 s7, s4, s2
	s_cmp_ge_u32 s4, s2
	s_cselect_b32 s3, s6, s3
	s_cselect_b32 s4, s7, s4
	s_wait_alu 0xfffe
	s_add_co_i32 s6, s3, 1
	s_cmp_ge_u32 s4, s2
	s_cselect_b32 s2, s6, s3
	s_abs_i32 s3, s29
	s_abs_i32 s8, s23
	s_wait_alu 0xfffe
	s_cvt_f32_u32 s4, s3
	s_sub_co_i32 s6, 0, s3
	s_lshl_b32 s5, s5, 2
	s_mul_i32 s7, s2, s23
	v_rcp_iflag_f32_e32 v1, s4
	s_sub_co_i32 s33, s5, s7
	s_xor_b32 s5, s23, s29
	s_wait_alu 0xfffe
	s_ashr_i32 s24, s5, 31
	s_delay_alu instid0(TRANS32_DEP_1) | instskip(SKIP_2) | instid1(SALU_CYCLE_2)
	v_readfirstlane_b32 s4, v1
	s_mul_f32 s4, s4, 0x4f7ffffe
	s_wait_alu 0xfffe
	s_cvt_u32_f32 s4, s4
	s_wait_alu 0xfffe
	s_delay_alu instid0(SALU_CYCLE_2) | instskip(NEXT) | instid1(SALU_CYCLE_1)
	s_mul_i32 s6, s6, s4
	s_mul_hi_u32 s6, s4, s6
	s_delay_alu instid0(SALU_CYCLE_1) | instskip(SKIP_4) | instid1(SALU_CYCLE_1)
	s_add_co_i32 s4, s4, s6
	s_wait_alu 0xfffe
	s_mul_hi_u32 s4, s8, s4
	s_wait_alu 0xfffe
	s_mul_i32 s6, s4, s3
	s_sub_co_i32 s5, s8, s6
	s_add_co_i32 s6, s4, 1
	s_wait_alu 0xfffe
	s_sub_co_i32 s7, s5, s3
	s_cmp_ge_u32 s5, s3
	s_cselect_b32 s4, s6, s4
	s_cselect_b32 s5, s7, s5
	s_wait_alu 0xfffe
	s_add_co_i32 s6, s4, 1
	s_cmp_ge_u32 s5, s3
	s_cselect_b32 s3, s6, s4
	s_load_b512 s[4:19], s[0:1], 0x0
	s_xor_b32 s3, s3, s24
	s_wait_alu 0xfffe
	s_sub_co_i32 s38, s3, s24
	s_delay_alu instid0(SALU_CYCLE_1) | instskip(NEXT) | instid1(SALU_CYCLE_1)
	s_abs_i32 s29, s38
	s_cvt_f32_u32 s3, s29
	s_wait_alu 0xfffe
	s_delay_alu instid0(SALU_CYCLE_2) | instskip(SKIP_2) | instid1(TRANS32_DEP_1)
	v_rcp_iflag_f32_e32 v1, s3
	s_wait_kmcnt 0x0
	s_cmp_eq_u64 s[10:11], 0
	v_readfirstlane_b32 s24, v1
	s_cbranch_scc1 .LBB28_2
; %bb.1:
	s_abs_i32 s3, s36
	s_wait_alu 0xfffe
	s_cvt_f32_u32 s25, s3
	s_sub_co_i32 s26, 0, s3
	s_delay_alu instid0(SALU_CYCLE_2) | instskip(NEXT) | instid1(TRANS32_DEP_1)
	v_rcp_iflag_f32_e32 v1, s25
	v_readfirstlane_b32 s25, v1
	s_mul_f32 s25, s25, 0x4f7ffffe
	s_wait_alu 0xfffe
	s_delay_alu instid0(SALU_CYCLE_2) | instskip(SKIP_1) | instid1(SALU_CYCLE_2)
	s_cvt_u32_f32 s25, s25
	s_wait_alu 0xfffe
	s_mul_i32 s26, s26, s25
	s_delay_alu instid0(SALU_CYCLE_1)
	s_mul_hi_u32 s30, s25, s26
	s_load_b64 s[26:27], s[0:1], 0xc8
	s_add_co_i32 s25, s25, s30
	s_wait_alu 0xfffe
	s_mul_hi_u32 s25, s2, s25
	s_wait_alu 0xfffe
	s_mul_i32 s25, s25, s3
	s_wait_alu 0xfffe
	s_sub_co_i32 s25, s2, s25
	s_wait_alu 0xfffe
	s_sub_co_i32 s30, s25, s3
	s_cmp_ge_u32 s25, s3
	s_cselect_b32 s25, s30, s25
	s_wait_alu 0xfffe
	s_sub_co_i32 s30, s25, s3
	s_cmp_ge_u32 s25, s3
	s_cselect_b32 s30, s30, s25
	s_delay_alu instid0(SALU_CYCLE_1) | instskip(SKIP_2) | instid1(SALU_CYCLE_1)
	s_ashr_i32 s31, s30, 31
	s_wait_kmcnt 0x0
	s_mul_u64 s[26:27], s[26:27], s[30:31]
	s_add_nc_u64 s[30:31], s[10:11], s[26:27]
.LBB28_2:
	v_lshrrev_b32_e32 v1, 10, v0
	s_load_b96 s[40:42], s[0:1], 0x70
	v_bfe_u32 v145, v0, 10, 2
	v_and_b32_e32 v125, 0x3ff, v0
	v_bfe_u32 v0, v0, 10, 10
	v_bfe_u32 v1, v1, 2, 8
	s_delay_alu instid0(VALU_DEP_3) | instskip(NEXT) | instid1(VALU_DEP_2)
	v_lshlrev_b32_e32 v147, 3, v125
	v_add_nc_u32_e32 v124, ttmp9, v1
	s_delay_alu instid0(VALU_DEP_1) | instskip(SKIP_3) | instid1(VALU_DEP_1)
	v_mul_hi_u32 v1, s20, v124
	s_wait_kmcnt 0x0
	s_mov_b32 s20, s41
	s_mul_i32 s10, s33, s41
	v_add_nc_u32_e32 v1, v124, v1
	s_ashr_i32 s11, s10, 31
	s_delay_alu instid0(VALU_DEP_1)
	v_lshrrev_b32_e32 v1, s21, v1
	s_ashr_i32 s21, s41, 31
	s_ashr_i32 s41, s40, 31
	s_wait_alu 0xfffe
	s_lshr_b64 s[26:27], s[20:21], 2
	s_lshr_b32 s3, s21, 2
	v_mul_lo_u32 v1, v1, s22
	s_mul_i32 s20, s2, s42
	s_wait_alu 0xfffe
	s_ashr_i32 s21, s20, 31
	s_wait_alu 0xfffe
	s_add_nc_u64 s[4:5], s[4:5], s[20:21]
	s_wait_alu 0xfffe
	s_add_nc_u64 s[4:5], s[4:5], s[10:11]
	v_sub_nc_u32_e32 v3, v124, v1
	v_mad_co_u64_u32 v[1:2], null, s26, v145, 0
	s_lshr_b64 s[26:27], s[40:41], 2
	s_wait_alu 0xfffe
	v_mad_co_u64_u32 v[4:5], null, s26, v3, 0
	v_mad_co_u64_u32 v[6:7], null, s3, v145, v[2:3]
	s_lshr_b32 s3, s41, 2
	s_wait_alu 0xfffe
	v_mad_co_u64_u32 v[7:8], null, s3, v3, v[5:6]
	v_mov_b32_e32 v2, v6
	v_lshlrev_b32_e32 v6, 4, v125
	s_load_b32 s3, s[0:1], 0x40
	s_delay_alu instid0(VALU_DEP_2) | instskip(NEXT) | instid1(VALU_DEP_4)
	v_lshlrev_b64_e32 v[1:2], 2, v[1:2]
	v_mov_b32_e32 v5, v7
	s_delay_alu instid0(VALU_DEP_2) | instskip(NEXT) | instid1(VALU_DEP_2)
	v_add_co_u32 v1, vcc_lo, s4, v1
	v_lshlrev_b64_e32 v[4:5], 2, v[4:5]
	s_delay_alu instid0(VALU_DEP_4)
	v_add_co_ci_u32_e64 v2, null, s5, v2, vcc_lo
	s_movk_i32 s4, 0x480
	s_wait_alu 0xfffe
	v_mad_u32_u24 v146, v0, s4, 0x2400
	v_add_co_u32 v1, vcc_lo, v1, v4
	s_wait_alu 0xfffd
	v_add_co_ci_u32_e64 v2, null, v2, v5, vcc_lo
	s_delay_alu instid0(VALU_DEP_3) | instskip(NEXT) | instid1(VALU_DEP_3)
	v_add_nc_u32_e32 v4, v146, v147
	v_add_co_u32 v1, vcc_lo, v1, v6
	s_wait_alu 0xfffd
	s_delay_alu instid0(VALU_DEP_3)
	v_add_co_ci_u32_e64 v2, null, 0, v2, vcc_lo
	s_clause 0x3
	global_load_b128 v[5:8], v[1:2], off
	global_load_b128 v[9:12], v[1:2], off offset:512
	global_load_b128 v[13:16], v[1:2], off offset:1024
	;; [unrolled: 1-line block ×3, first 2 shown]
	s_mov_b32 s4, exec_lo
	s_wait_loadcnt 0x3
	s_wait_kmcnt 0x0
	v_fma_mixlo_f16 v5, s3, v5, 0
	v_fma_mixlo_f16 v6, s3, v6, 0
	;; [unrolled: 1-line block ×4, first 2 shown]
	s_wait_loadcnt 0x2
	v_fma_mixlo_f16 v9, s3, v9, 0
	v_fma_mixlo_f16 v10, s3, v10, 0
	;; [unrolled: 1-line block ×4, first 2 shown]
	s_wait_loadcnt 0x1
	v_fma_mixlo_f16 v13, s3, v13, 0
	v_fma_mixlo_f16 v14, s3, v14, 0
	s_wait_loadcnt 0x0
	v_fma_mixlo_f16 v17, s3, v17, 0
	v_fma_mixlo_f16 v18, s3, v18, 0
	v_lshlrev_b32_e32 v6, 16, v6
	v_and_b32_e32 v5, 0xffff, v5
	v_lshlrev_b32_e32 v8, 16, v8
	v_and_b32_e32 v7, 0xffff, v7
	;; [unrolled: 2-line block ×3, first 2 shown]
	v_fma_mixlo_f16 v15, s3, v15, 0
	v_fma_mixlo_f16 v16, s3, v16, 0
	;; [unrolled: 1-line block ×4, first 2 shown]
	v_lshlrev_b32_e32 v12, 16, v12
	v_and_b32_e32 v11, 0xffff, v11
	v_lshlrev_b32_e32 v14, 16, v14
	v_and_b32_e32 v13, 0xffff, v13
	;; [unrolled: 2-line block ×3, first 2 shown]
	v_or_b32_e32 v5, v6, v5
	v_or3_b32 v6, v8, v7, 0
	v_or_b32_e32 v7, v10, v9
	v_lshlrev_b32_e32 v16, 16, v16
	v_and_b32_e32 v15, 0xffff, v15
	v_lshlrev_b32_e32 v20, 16, v20
	v_and_b32_e32 v19, 0xffff, v19
	v_or3_b32 v8, v12, v11, 0
	v_or_b32_e32 v9, v14, v13
	v_or_b32_e32 v11, v18, v17
	v_or3_b32 v5, 0, 0, v5
	v_or3_b32 v7, 0, 0, v7
	;; [unrolled: 1-line block ×6, first 2 shown]
	ds_store_2addr_b64 v4, v[5:6], v[7:8] offset1:32
	ds_store_2addr_b64 v4, v[9:10], v[11:12] offset0:64 offset1:96
	v_cmpx_gt_u32_e32 16, v125
	s_cbranch_execz .LBB28_4
; %bb.3:
	global_load_b128 v[5:8], v[1:2], off offset:2048
	s_wait_loadcnt 0x0
	v_fma_mixlo_f16 v1, s3, v6, 0
	v_fma_mixlo_f16 v2, s3, v5, 0
	;; [unrolled: 1-line block ×4, first 2 shown]
	s_delay_alu instid0(VALU_DEP_4) | instskip(NEXT) | instid1(VALU_DEP_4)
	v_lshlrev_b32_e32 v1, 16, v1
	v_and_b32_e32 v2, 0xffff, v2
	s_delay_alu instid0(VALU_DEP_4) | instskip(NEXT) | instid1(VALU_DEP_4)
	v_and_b32_e32 v5, 0xffff, v5
	v_lshlrev_b32_e32 v6, 16, v6
	s_delay_alu instid0(VALU_DEP_3) | instskip(NEXT) | instid1(VALU_DEP_2)
	v_or_b32_e32 v1, v1, v2
	v_or3_b32 v2, v6, v5, 0
	s_delay_alu instid0(VALU_DEP_2)
	v_or3_b32 v1, 0, 0, v1
	ds_store_b64 v4, v[1:2] offset:1024
.LBB28_4:
	s_wait_alu 0xfffe
	s_or_b32 exec_lo, exec_lo, s4
	s_cmp_eq_u64 s[14:15], 0
	s_wait_dscnt 0x0
	s_barrier_signal -1
	s_barrier_wait -1
	global_inv scope:SCOPE_SE
	s_cbranch_scc1 .LBB28_6
; %bb.5:
	s_load_b32 s3, s[0:1], 0xd0
	s_mov_b32 s5, 0
	s_wait_kmcnt 0x0
	s_mul_i32 s3, s3, s2
	s_wait_alu 0xfffe
	s_add_co_i32 s4, s3, ttmp9
	s_wait_alu 0xfffe
	s_lshl_b64 s[4:5], s[4:5], 2
	s_wait_alu 0xfffe
	s_add_nc_u64 s[4:5], s[14:15], s[4:5]
	s_load_b32 s28, s[4:5], 0x0
.LBB28_6:
	s_and_b32 s4, ttmp7, 0xffff
	v_lshlrev_b32_e32 v144, 2, v125
	v_mbcnt_lo_u32_b32 v148, -1, 0
	s_wait_alu 0xfffe
	s_lshl_b32 s10, s4, 6
	s_wait_kmcnt 0x0
	s_cmp_lt_i32 s10, s28
	s_cbranch_scc1 .LBB28_9
; %bb.7:
	v_mbcnt_lo_u32_b32 v2, -1, 0
	v_mov_b32_e32 v1, 32
	s_delay_alu instid0(VALU_DEP_2)
	v_xor_b32_e32 v165, 16, v2
	v_xor_b32_e32 v164, 8, v2
	;; [unrolled: 1-line block ×5, first 2 shown]
	s_mov_b32 s3, 0
	s_cbranch_execz .LBB28_10
; %bb.8:
	v_dual_mov_b32 v88, 0 :: v_dual_mov_b32 v139, 0xfeffffff
	v_dual_mov_b32 v64, 0 :: v_dual_mov_b32 v163, 0
	;; [unrolled: 1-line block ×5, first 2 shown]
	s_branch .LBB28_22
.LBB28_9:
                                        ; implicit-def: $vgpr2
                                        ; implicit-def: $vgpr1
                                        ; implicit-def: $vgpr165
                                        ; implicit-def: $vgpr164
                                        ; implicit-def: $vgpr166
                                        ; implicit-def: $vgpr167
                                        ; implicit-def: $vgpr168
	s_mov_b32 s3, 0
.LBB28_10:
	s_mul_f32 s5, s24, 0x4f7ffffe
	s_clause 0x1
	s_load_b128 s[24:27], s[0:1], 0x98
	s_load_b64 s[20:21], s[0:1], 0x8c
	s_sub_co_i32 s14, 0, s29
	s_abs_i32 s34, s33
	s_cvt_u32_f32 s11, s5
	s_load_b32 s5, s[0:1], 0x54
	s_mov_b32 s15, s35
	s_ashr_i32 s36, s33, 31
	s_mul_i32 s14, s14, s11
	s_ashr_i32 s37, s37, 1
	s_mul_hi_u32 s14, s11, s14
	v_lshrrev_b32_e32 v1, 3, v125
	s_add_co_i32 s14, s11, s14
	s_ashr_i32 s11, s38, 31
	s_load_b64 s[38:39], s[0:1], 0xa8
	s_mul_u64 s[14:15], s[34:35], s[14:15]
	s_xor_b32 s11, s36, s11
	s_mul_i32 s35, s15, s29
	s_add_co_i32 s36, s15, 1
	s_sub_co_i32 s34, s34, s35
	s_wait_kmcnt 0x0
	s_ashr_i32 s14, s26, 2
	s_ashr_i32 s20, s20, 2
	s_sub_co_i32 s35, s34, s29
	s_cmp_ge_u32 s34, s29
	v_lshl_add_u32 v2, v0, 2, v1
	s_cselect_b32 s15, s36, s15
	s_cselect_b32 s34, s35, s34
	s_add_co_i32 s35, s15, 1
	s_cmp_ge_u32 s34, s29
	s_mul_u64 s[24:25], s[24:25], s[2:3]
	s_cselect_b32 s15, s35, s15
	s_wait_alu 0xfffe
	v_mul_lo_u32 v1, s20, v2
	s_xor_b32 s15, s15, s11
	s_add_nc_u64 s[6:7], s[6:7], s[24:25]
	s_mul_u64 s[34:35], s[38:39], s[2:3]
	s_sub_co_i32 s3, s15, s11
	v_mul_lo_u32 v10, s14, v0
	s_wait_alu 0xfffe
	s_mul_i32 s24, s3, s21
	v_dual_mov_b32 v91, 0xfeffffff :: v_dual_and_b32 v14, 28, v144
	s_wait_alu 0xfffe
	s_ashr_i32 s25, s24, 31
	v_mov_b32_e32 v85, 0
	s_wait_alu 0xfffe
	s_add_nc_u64 s[6:7], s[6:7], s[24:25]
	s_mul_i32 s24, s3, s27
	s_lshl_b32 s3, s20, 4
	s_wait_alu 0xfffe
	v_dual_mov_b32 v87, 0 :: v_dual_add_nc_u32 v4, s3, v1
	v_dual_mov_b32 v84, 0 :: v_dual_lshlrev_b32 v5, 2, v14
	v_dual_mov_b32 v90, 0 :: v_dual_lshlrev_b32 v153, 2, v144
	s_delay_alu instid0(VALU_DEP_3) | instskip(NEXT) | instid1(VALU_DEP_3)
	v_add_nc_u32_e32 v6, s3, v4
	v_mad_u32_u24 v149, 0x90, v2, v5
	v_ashrrev_i32_e32 v2, 31, v1
	v_ashrrev_i32_e32 v5, 31, v4
	v_ashrrev_i32_e32 v11, 31, v10
	v_dual_mov_b32 v163, 0 :: v_dual_add_nc_u32 v8, s3, v6
	s_and_b32 s3, s26, -4
	v_ashrrev_i32_e32 v7, 31, v6
	s_wait_alu 0xfffe
	v_add_nc_u32_e32 v12, s3, v10
	v_ashrrev_i32_e32 v9, 31, v8
	v_lshl_add_u32 v155, v0, 7, 0x3600
	v_lshl_add_u32 v156, v0, 10, v153
	v_mad_co_u64_u32 v[126:127], null, v3, s37, v[125:126]
	v_ashrrev_i32_e32 v13, 31, v12
	v_lshlrev_b64_e32 v[127:128], 2, v[1:2]
	v_lshlrev_b64_e32 v[129:130], 2, v[4:5]
	;; [unrolled: 1-line block ×6, first 2 shown]
	v_dual_mov_b32 v89, 0 :: v_dual_add_nc_u32 v150, 0x900, v149
	v_dual_mov_b32 v86, 0 :: v_dual_add_nc_u32 v151, 0x1200, v149
	v_add_nc_u32_e32 v152, 0x1b00, v149
	v_mul_u32_u24_e32 v154, 0x90, v125
	v_lshl_add_u32 v157, v125, 1, v155
	v_add_nc_u32_e32 v158, 0x200, v156
	v_dual_mov_b32 v88, 0 :: v_dual_add_nc_u32 v159, 0x1000, v156
	v_add_nc_u32_e32 v160, 0x1200, v156
	v_dual_mov_b32 v162, 0 :: v_dual_lshlrev_b32 v161, 2, v14
	s_add_nc_u64 s[8:9], s[8:9], s[34:35]
	s_ashr_i32 s25, s24, 31
	s_ashr_i32 s21, s20, 31
	s_wait_alu 0xfffe
	s_add_nc_u64 s[8:9], s[8:9], s[24:25]
	s_ashr_i32 s15, s14, 31
	s_add_nc_u64 s[24:25], s[0:1], 0xd0
	s_mov_b32 s3, 0xbbbac73d
.LBB28_11:                              ; =>This Inner Loop Header: Depth=1
	s_ashr_i32 s11, s10, 31
	s_wait_alu 0xfffe
	s_mul_u64 s[26:27], s[10:11], s[20:21]
	s_wait_alu 0xfffe
	s_lshl_b64 s[26:27], s[26:27], 2
	s_wait_alu 0xfffe
	s_add_nc_u64 s[26:27], s[6:7], s[26:27]
	s_wait_alu 0xfffe
	v_add_co_u32 v0, vcc_lo, s26, v127
	s_wait_alu 0xfffd
	v_add_co_ci_u32_e64 v1, null, s27, v128, vcc_lo
	v_add_co_u32 v2, vcc_lo, s26, v129
	s_wait_alu 0xfffd
	v_add_co_ci_u32_e64 v3, null, s27, v130, vcc_lo
	;; [unrolled: 3-line block ×8, first 2 shown]
	s_clause 0x3
	global_load_b128 v[8:11], v[0:1], off
	global_load_b128 v[12:15], v[2:3], off
	;; [unrolled: 1-line block ×4, first 2 shown]
	s_wait_loadcnt 0x3
	ds_store_b128 v149, v[8:11]
	s_wait_loadcnt 0x2
	ds_store_b128 v150, v[12:15]
	;; [unrolled: 2-line block ×4, first 2 shown]
	s_wait_dscnt 0x0
	s_barrier_signal -1
	s_barrier_wait -1
	global_inv scope:SCOPE_SE
	ds_load_b128 v[10:13], v154
	ds_load_b128 v[14:17], v146
	ds_load_b128 v[18:21], v154 offset:4608
	v_dual_mov_b32 v8, 0 :: v_dual_mov_b32 v9, 0
	s_wait_dscnt 0x1
	;;#ASMSTART
	v_dot2_f32_f16 v8, v10, v14, v8
	;;#ASMEND
	;;#ASMSTART
	v_dot2_f32_f16 v8, v11, v15, v8
	;;#ASMEND
	;;#ASMSTART
	v_dot2_f32_f16 v8, v12, v16, v8
	;;#ASMEND
	;;#ASMSTART
	v_dot2_f32_f16 v8, v13, v17, v8
	;;#ASMEND
	s_wait_dscnt 0x0
	;;#ASMSTART
	v_dot2_f32_f16 v9, v18, v14, v9
	;;#ASMEND
	;;#ASMSTART
	v_dot2_f32_f16 v9, v19, v15, v9
	;;#ASMEND
	;;#ASMSTART
	v_dot2_f32_f16 v9, v20, v16, v9
	;;#ASMEND
	;;#ASMSTART
	v_dot2_f32_f16 v9, v21, v17, v9
	;;#ASMEND
	ds_load_b128 v[10:13], v154 offset:16
	ds_load_b128 v[14:17], v146 offset:16
	ds_load_b128 v[18:21], v154 offset:4624
	s_wait_dscnt 0x1
	;;#ASMSTART
	v_dot2_f32_f16 v8, v10, v14, v8
	;;#ASMEND
	;;#ASMSTART
	v_dot2_f32_f16 v8, v11, v15, v8
	;;#ASMEND
	;;#ASMSTART
	v_dot2_f32_f16 v8, v12, v16, v8
	;;#ASMEND
	;;#ASMSTART
	v_dot2_f32_f16 v8, v13, v17, v8
	;;#ASMEND
	s_wait_dscnt 0x0
	;;#ASMSTART
	v_dot2_f32_f16 v9, v18, v14, v9
	;;#ASMEND
	;;#ASMSTART
	v_dot2_f32_f16 v9, v19, v15, v9
	;;#ASMEND
	;;#ASMSTART
	v_dot2_f32_f16 v9, v20, v16, v9
	;;#ASMEND
	;;#ASMSTART
	v_dot2_f32_f16 v9, v21, v17, v9
	;;#ASMEND
	ds_load_b128 v[10:13], v154 offset:32
	ds_load_b128 v[14:17], v146 offset:32
	ds_load_b128 v[18:21], v154 offset:4640
	;; [unrolled: 29-line block ×7, first 2 shown]
	s_wait_dscnt 0x1
	;;#ASMSTART
	v_dot2_f32_f16 v8, v10, v14, v8
	;;#ASMEND
	;;#ASMSTART
	v_dot2_f32_f16 v8, v11, v15, v8
	;;#ASMEND
	;; [unrolled: 3-line block ×4, first 2 shown]
	s_wait_dscnt 0x0
	;;#ASMSTART
	v_dot2_f32_f16 v9, v18, v14, v9
	;;#ASMEND
	;;#ASMSTART
	v_dot2_f32_f16 v9, v19, v15, v9
	;;#ASMEND
	;; [unrolled: 3-line block ×4, first 2 shown]
	s_wait_loadcnt 0x0
	s_barrier_signal -1
	s_barrier_wait -1
	global_inv scope:SCOPE_SE
	s_clause 0x3
	global_load_b128 v[10:13], v[0:1], off offset:128
	global_load_b128 v[14:17], v[2:3], off offset:128
	;; [unrolled: 1-line block ×4, first 2 shown]
	s_wait_loadcnt 0x3
	ds_store_b128 v149, v[10:13]
	s_wait_loadcnt 0x2
	ds_store_b128 v150, v[14:17]
	;; [unrolled: 2-line block ×4, first 2 shown]
	s_wait_dscnt 0x0
	s_barrier_signal -1
	s_barrier_wait -1
	global_inv scope:SCOPE_SE
	ds_load_b128 v[10:13], v154
	ds_load_b128 v[14:17], v146 offset:128
	ds_load_b128 v[18:21], v154 offset:4608
	s_wait_dscnt 0x1
	;;#ASMSTART
	v_dot2_f32_f16 v8, v10, v14, v8
	;;#ASMEND
	;;#ASMSTART
	v_dot2_f32_f16 v8, v11, v15, v8
	;;#ASMEND
	;;#ASMSTART
	v_dot2_f32_f16 v8, v12, v16, v8
	;;#ASMEND
	;;#ASMSTART
	v_dot2_f32_f16 v8, v13, v17, v8
	;;#ASMEND
	s_wait_dscnt 0x0
	;;#ASMSTART
	v_dot2_f32_f16 v9, v18, v14, v9
	;;#ASMEND
	;;#ASMSTART
	v_dot2_f32_f16 v9, v19, v15, v9
	;;#ASMEND
	;;#ASMSTART
	v_dot2_f32_f16 v9, v20, v16, v9
	;;#ASMEND
	;;#ASMSTART
	v_dot2_f32_f16 v9, v21, v17, v9
	;;#ASMEND
	ds_load_b128 v[10:13], v154 offset:16
	ds_load_b128 v[14:17], v146 offset:144
	ds_load_b128 v[18:21], v154 offset:4624
	s_wait_dscnt 0x1
	;;#ASMSTART
	v_dot2_f32_f16 v8, v10, v14, v8
	;;#ASMEND
	;;#ASMSTART
	v_dot2_f32_f16 v8, v11, v15, v8
	;;#ASMEND
	;;#ASMSTART
	v_dot2_f32_f16 v8, v12, v16, v8
	;;#ASMEND
	;;#ASMSTART
	v_dot2_f32_f16 v8, v13, v17, v8
	;;#ASMEND
	s_wait_dscnt 0x0
	;;#ASMSTART
	v_dot2_f32_f16 v9, v18, v14, v9
	;;#ASMEND
	;;#ASMSTART
	v_dot2_f32_f16 v9, v19, v15, v9
	;;#ASMEND
	;;#ASMSTART
	v_dot2_f32_f16 v9, v20, v16, v9
	;;#ASMEND
	;;#ASMSTART
	v_dot2_f32_f16 v9, v21, v17, v9
	;;#ASMEND
	ds_load_b128 v[10:13], v154 offset:32
	;; [unrolled: 29-line block ×7, first 2 shown]
	ds_load_b128 v[14:17], v146 offset:240
	ds_load_b128 v[18:21], v154 offset:4720
	s_wait_dscnt 0x1
	;;#ASMSTART
	v_dot2_f32_f16 v8, v10, v14, v8
	;;#ASMEND
	;;#ASMSTART
	v_dot2_f32_f16 v8, v11, v15, v8
	;;#ASMEND
	;; [unrolled: 3-line block ×4, first 2 shown]
	s_wait_dscnt 0x0
	;;#ASMSTART
	v_dot2_f32_f16 v9, v18, v14, v9
	;;#ASMEND
	;;#ASMSTART
	v_dot2_f32_f16 v9, v19, v15, v9
	;;#ASMEND
	;; [unrolled: 3-line block ×4, first 2 shown]
	s_wait_loadcnt 0x0
	s_barrier_signal -1
	s_barrier_wait -1
	global_inv scope:SCOPE_SE
	s_clause 0x3
	global_load_b128 v[10:13], v[0:1], off offset:256
	global_load_b128 v[14:17], v[2:3], off offset:256
	;; [unrolled: 1-line block ×4, first 2 shown]
	s_wait_loadcnt 0x3
	ds_store_b128 v149, v[10:13]
	s_wait_loadcnt 0x2
	ds_store_b128 v150, v[14:17]
	;; [unrolled: 2-line block ×4, first 2 shown]
	s_wait_dscnt 0x0
	s_barrier_signal -1
	s_barrier_wait -1
	global_inv scope:SCOPE_SE
	ds_load_b128 v[10:13], v154
	ds_load_b128 v[14:17], v146 offset:256
	ds_load_b128 v[18:21], v154 offset:4608
	s_wait_dscnt 0x1
	;;#ASMSTART
	v_dot2_f32_f16 v8, v10, v14, v8
	;;#ASMEND
	;;#ASMSTART
	v_dot2_f32_f16 v8, v11, v15, v8
	;;#ASMEND
	;;#ASMSTART
	v_dot2_f32_f16 v8, v12, v16, v8
	;;#ASMEND
	;;#ASMSTART
	v_dot2_f32_f16 v8, v13, v17, v8
	;;#ASMEND
	s_wait_dscnt 0x0
	;;#ASMSTART
	v_dot2_f32_f16 v9, v18, v14, v9
	;;#ASMEND
	;;#ASMSTART
	v_dot2_f32_f16 v9, v19, v15, v9
	;;#ASMEND
	;;#ASMSTART
	v_dot2_f32_f16 v9, v20, v16, v9
	;;#ASMEND
	;;#ASMSTART
	v_dot2_f32_f16 v9, v21, v17, v9
	;;#ASMEND
	ds_load_b128 v[10:13], v154 offset:16
	ds_load_b128 v[14:17], v146 offset:272
	ds_load_b128 v[18:21], v154 offset:4624
	s_wait_dscnt 0x1
	;;#ASMSTART
	v_dot2_f32_f16 v8, v10, v14, v8
	;;#ASMEND
	;;#ASMSTART
	v_dot2_f32_f16 v8, v11, v15, v8
	;;#ASMEND
	;;#ASMSTART
	v_dot2_f32_f16 v8, v12, v16, v8
	;;#ASMEND
	;;#ASMSTART
	v_dot2_f32_f16 v8, v13, v17, v8
	;;#ASMEND
	s_wait_dscnt 0x0
	;;#ASMSTART
	v_dot2_f32_f16 v9, v18, v14, v9
	;;#ASMEND
	;;#ASMSTART
	v_dot2_f32_f16 v9, v19, v15, v9
	;;#ASMEND
	;;#ASMSTART
	v_dot2_f32_f16 v9, v20, v16, v9
	;;#ASMEND
	;;#ASMSTART
	v_dot2_f32_f16 v9, v21, v17, v9
	;;#ASMEND
	ds_load_b128 v[10:13], v154 offset:32
	;; [unrolled: 29-line block ×7, first 2 shown]
	ds_load_b128 v[14:17], v146 offset:368
	ds_load_b128 v[18:21], v154 offset:4720
	s_wait_dscnt 0x1
	;;#ASMSTART
	v_dot2_f32_f16 v8, v10, v14, v8
	;;#ASMEND
	;;#ASMSTART
	v_dot2_f32_f16 v8, v11, v15, v8
	;;#ASMEND
	;; [unrolled: 3-line block ×4, first 2 shown]
	s_wait_dscnt 0x0
	;;#ASMSTART
	v_dot2_f32_f16 v9, v18, v14, v9
	;;#ASMEND
	;;#ASMSTART
	v_dot2_f32_f16 v9, v19, v15, v9
	;;#ASMEND
	;; [unrolled: 3-line block ×4, first 2 shown]
	s_wait_loadcnt 0x0
	s_barrier_signal -1
	s_barrier_wait -1
	global_inv scope:SCOPE_SE
	s_clause 0x3
	global_load_b128 v[10:13], v[0:1], off offset:384
	global_load_b128 v[14:17], v[2:3], off offset:384
	;; [unrolled: 1-line block ×4, first 2 shown]
	s_wait_loadcnt 0x3
	ds_store_b128 v149, v[10:13]
	s_wait_loadcnt 0x2
	ds_store_b128 v150, v[14:17]
	;; [unrolled: 2-line block ×4, first 2 shown]
	s_wait_dscnt 0x0
	s_barrier_signal -1
	s_barrier_wait -1
	global_inv scope:SCOPE_SE
	ds_load_b128 v[10:13], v154
	ds_load_b128 v[14:17], v146 offset:384
	ds_load_b128 v[18:21], v154 offset:4608
	s_wait_dscnt 0x1
	;;#ASMSTART
	v_dot2_f32_f16 v8, v10, v14, v8
	;;#ASMEND
	;;#ASMSTART
	v_dot2_f32_f16 v8, v11, v15, v8
	;;#ASMEND
	;;#ASMSTART
	v_dot2_f32_f16 v8, v12, v16, v8
	;;#ASMEND
	;;#ASMSTART
	v_dot2_f32_f16 v8, v13, v17, v8
	;;#ASMEND
	s_wait_dscnt 0x0
	;;#ASMSTART
	v_dot2_f32_f16 v9, v18, v14, v9
	;;#ASMEND
	;;#ASMSTART
	v_dot2_f32_f16 v9, v19, v15, v9
	;;#ASMEND
	;;#ASMSTART
	v_dot2_f32_f16 v9, v20, v16, v9
	;;#ASMEND
	;;#ASMSTART
	v_dot2_f32_f16 v9, v21, v17, v9
	;;#ASMEND
	ds_load_b128 v[10:13], v154 offset:16
	ds_load_b128 v[14:17], v146 offset:400
	ds_load_b128 v[18:21], v154 offset:4624
	s_wait_dscnt 0x1
	;;#ASMSTART
	v_dot2_f32_f16 v8, v10, v14, v8
	;;#ASMEND
	;;#ASMSTART
	v_dot2_f32_f16 v8, v11, v15, v8
	;;#ASMEND
	;;#ASMSTART
	v_dot2_f32_f16 v8, v12, v16, v8
	;;#ASMEND
	;;#ASMSTART
	v_dot2_f32_f16 v8, v13, v17, v8
	;;#ASMEND
	s_wait_dscnt 0x0
	;;#ASMSTART
	v_dot2_f32_f16 v9, v18, v14, v9
	;;#ASMEND
	;;#ASMSTART
	v_dot2_f32_f16 v9, v19, v15, v9
	;;#ASMEND
	;;#ASMSTART
	v_dot2_f32_f16 v9, v20, v16, v9
	;;#ASMEND
	;;#ASMSTART
	v_dot2_f32_f16 v9, v21, v17, v9
	;;#ASMEND
	ds_load_b128 v[10:13], v154 offset:32
	;; [unrolled: 29-line block ×7, first 2 shown]
	ds_load_b128 v[14:17], v146 offset:496
	ds_load_b128 v[18:21], v154 offset:4720
	s_wait_dscnt 0x1
	;;#ASMSTART
	v_dot2_f32_f16 v8, v10, v14, v8
	;;#ASMEND
	;;#ASMSTART
	v_dot2_f32_f16 v8, v11, v15, v8
	;;#ASMEND
	;; [unrolled: 3-line block ×4, first 2 shown]
	s_wait_dscnt 0x0
	;;#ASMSTART
	v_dot2_f32_f16 v9, v18, v14, v9
	;;#ASMEND
	;;#ASMSTART
	v_dot2_f32_f16 v9, v19, v15, v9
	;;#ASMEND
	;; [unrolled: 3-line block ×4, first 2 shown]
	s_wait_loadcnt 0x0
	s_barrier_signal -1
	s_barrier_wait -1
	global_inv scope:SCOPE_SE
	s_clause 0x3
	global_load_b128 v[10:13], v[0:1], off offset:512
	global_load_b128 v[14:17], v[2:3], off offset:512
	;; [unrolled: 1-line block ×4, first 2 shown]
	s_wait_loadcnt 0x3
	ds_store_b128 v149, v[10:13]
	s_wait_loadcnt 0x2
	ds_store_b128 v150, v[14:17]
	;; [unrolled: 2-line block ×4, first 2 shown]
	s_wait_dscnt 0x0
	s_barrier_signal -1
	s_barrier_wait -1
	global_inv scope:SCOPE_SE
	ds_load_b128 v[10:13], v154
	ds_load_b128 v[14:17], v146 offset:512
	ds_load_b128 v[18:21], v154 offset:4608
	s_wait_dscnt 0x1
	;;#ASMSTART
	v_dot2_f32_f16 v8, v10, v14, v8
	;;#ASMEND
	;;#ASMSTART
	v_dot2_f32_f16 v8, v11, v15, v8
	;;#ASMEND
	;;#ASMSTART
	v_dot2_f32_f16 v8, v12, v16, v8
	;;#ASMEND
	;;#ASMSTART
	v_dot2_f32_f16 v8, v13, v17, v8
	;;#ASMEND
	s_wait_dscnt 0x0
	;;#ASMSTART
	v_dot2_f32_f16 v9, v18, v14, v9
	;;#ASMEND
	;;#ASMSTART
	v_dot2_f32_f16 v9, v19, v15, v9
	;;#ASMEND
	;;#ASMSTART
	v_dot2_f32_f16 v9, v20, v16, v9
	;;#ASMEND
	;;#ASMSTART
	v_dot2_f32_f16 v9, v21, v17, v9
	;;#ASMEND
	ds_load_b128 v[10:13], v154 offset:16
	ds_load_b128 v[14:17], v146 offset:528
	ds_load_b128 v[18:21], v154 offset:4624
	s_wait_dscnt 0x1
	;;#ASMSTART
	v_dot2_f32_f16 v8, v10, v14, v8
	;;#ASMEND
	;;#ASMSTART
	v_dot2_f32_f16 v8, v11, v15, v8
	;;#ASMEND
	;;#ASMSTART
	v_dot2_f32_f16 v8, v12, v16, v8
	;;#ASMEND
	;;#ASMSTART
	v_dot2_f32_f16 v8, v13, v17, v8
	;;#ASMEND
	s_wait_dscnt 0x0
	;;#ASMSTART
	v_dot2_f32_f16 v9, v18, v14, v9
	;;#ASMEND
	;;#ASMSTART
	v_dot2_f32_f16 v9, v19, v15, v9
	;;#ASMEND
	;;#ASMSTART
	v_dot2_f32_f16 v9, v20, v16, v9
	;;#ASMEND
	;;#ASMSTART
	v_dot2_f32_f16 v9, v21, v17, v9
	;;#ASMEND
	ds_load_b128 v[10:13], v154 offset:32
	;; [unrolled: 29-line block ×7, first 2 shown]
	ds_load_b128 v[14:17], v146 offset:624
	ds_load_b128 v[18:21], v154 offset:4720
	s_wait_dscnt 0x1
	;;#ASMSTART
	v_dot2_f32_f16 v8, v10, v14, v8
	;;#ASMEND
	;;#ASMSTART
	v_dot2_f32_f16 v8, v11, v15, v8
	;;#ASMEND
	;; [unrolled: 3-line block ×4, first 2 shown]
	s_wait_dscnt 0x0
	;;#ASMSTART
	v_dot2_f32_f16 v9, v18, v14, v9
	;;#ASMEND
	;;#ASMSTART
	v_dot2_f32_f16 v9, v19, v15, v9
	;;#ASMEND
	;; [unrolled: 3-line block ×4, first 2 shown]
	s_wait_loadcnt 0x0
	s_barrier_signal -1
	s_barrier_wait -1
	global_inv scope:SCOPE_SE
	s_clause 0x3
	global_load_b128 v[10:13], v[0:1], off offset:640
	global_load_b128 v[14:17], v[2:3], off offset:640
	global_load_b128 v[18:21], v[4:5], off offset:640
	global_load_b128 v[22:25], v[6:7], off offset:640
	s_wait_loadcnt 0x3
	ds_store_b128 v149, v[10:13]
	s_wait_loadcnt 0x2
	ds_store_b128 v150, v[14:17]
	;; [unrolled: 2-line block ×4, first 2 shown]
	s_wait_dscnt 0x0
	s_barrier_signal -1
	s_barrier_wait -1
	global_inv scope:SCOPE_SE
	ds_load_b128 v[10:13], v154
	ds_load_b128 v[14:17], v146 offset:640
	ds_load_b128 v[18:21], v154 offset:4608
	s_wait_dscnt 0x1
	;;#ASMSTART
	v_dot2_f32_f16 v8, v10, v14, v8
	;;#ASMEND
	;;#ASMSTART
	v_dot2_f32_f16 v8, v11, v15, v8
	;;#ASMEND
	;;#ASMSTART
	v_dot2_f32_f16 v8, v12, v16, v8
	;;#ASMEND
	;;#ASMSTART
	v_dot2_f32_f16 v8, v13, v17, v8
	;;#ASMEND
	s_wait_dscnt 0x0
	;;#ASMSTART
	v_dot2_f32_f16 v9, v18, v14, v9
	;;#ASMEND
	;;#ASMSTART
	v_dot2_f32_f16 v9, v19, v15, v9
	;;#ASMEND
	;;#ASMSTART
	v_dot2_f32_f16 v9, v20, v16, v9
	;;#ASMEND
	;;#ASMSTART
	v_dot2_f32_f16 v9, v21, v17, v9
	;;#ASMEND
	ds_load_b128 v[10:13], v154 offset:16
	ds_load_b128 v[14:17], v146 offset:656
	ds_load_b128 v[18:21], v154 offset:4624
	s_wait_dscnt 0x1
	;;#ASMSTART
	v_dot2_f32_f16 v8, v10, v14, v8
	;;#ASMEND
	;;#ASMSTART
	v_dot2_f32_f16 v8, v11, v15, v8
	;;#ASMEND
	;;#ASMSTART
	v_dot2_f32_f16 v8, v12, v16, v8
	;;#ASMEND
	;;#ASMSTART
	v_dot2_f32_f16 v8, v13, v17, v8
	;;#ASMEND
	s_wait_dscnt 0x0
	;;#ASMSTART
	v_dot2_f32_f16 v9, v18, v14, v9
	;;#ASMEND
	;;#ASMSTART
	v_dot2_f32_f16 v9, v19, v15, v9
	;;#ASMEND
	;;#ASMSTART
	v_dot2_f32_f16 v9, v20, v16, v9
	;;#ASMEND
	;;#ASMSTART
	v_dot2_f32_f16 v9, v21, v17, v9
	;;#ASMEND
	ds_load_b128 v[10:13], v154 offset:32
	;; [unrolled: 29-line block ×7, first 2 shown]
	ds_load_b128 v[14:17], v146 offset:752
	ds_load_b128 v[18:21], v154 offset:4720
	s_wait_dscnt 0x1
	;;#ASMSTART
	v_dot2_f32_f16 v8, v10, v14, v8
	;;#ASMEND
	;;#ASMSTART
	v_dot2_f32_f16 v8, v11, v15, v8
	;;#ASMEND
	;; [unrolled: 3-line block ×4, first 2 shown]
	s_wait_dscnt 0x0
	;;#ASMSTART
	v_dot2_f32_f16 v9, v18, v14, v9
	;;#ASMEND
	;;#ASMSTART
	v_dot2_f32_f16 v9, v19, v15, v9
	;;#ASMEND
	;; [unrolled: 3-line block ×4, first 2 shown]
	s_wait_loadcnt 0x0
	s_barrier_signal -1
	s_barrier_wait -1
	global_inv scope:SCOPE_SE
	s_clause 0x3
	global_load_b128 v[10:13], v[0:1], off offset:768
	global_load_b128 v[14:17], v[2:3], off offset:768
	;; [unrolled: 1-line block ×4, first 2 shown]
	s_wait_loadcnt 0x3
	ds_store_b128 v149, v[10:13]
	s_wait_loadcnt 0x2
	ds_store_b128 v150, v[14:17]
	;; [unrolled: 2-line block ×4, first 2 shown]
	s_wait_dscnt 0x0
	s_barrier_signal -1
	s_barrier_wait -1
	global_inv scope:SCOPE_SE
	ds_load_b128 v[10:13], v154
	ds_load_b128 v[14:17], v146 offset:768
	ds_load_b128 v[18:21], v154 offset:4608
	s_wait_dscnt 0x1
	;;#ASMSTART
	v_dot2_f32_f16 v8, v10, v14, v8
	;;#ASMEND
	;;#ASMSTART
	v_dot2_f32_f16 v8, v11, v15, v8
	;;#ASMEND
	;;#ASMSTART
	v_dot2_f32_f16 v8, v12, v16, v8
	;;#ASMEND
	;;#ASMSTART
	v_dot2_f32_f16 v8, v13, v17, v8
	;;#ASMEND
	s_wait_dscnt 0x0
	;;#ASMSTART
	v_dot2_f32_f16 v9, v18, v14, v9
	;;#ASMEND
	;;#ASMSTART
	v_dot2_f32_f16 v9, v19, v15, v9
	;;#ASMEND
	;;#ASMSTART
	v_dot2_f32_f16 v9, v20, v16, v9
	;;#ASMEND
	;;#ASMSTART
	v_dot2_f32_f16 v9, v21, v17, v9
	;;#ASMEND
	ds_load_b128 v[10:13], v154 offset:16
	ds_load_b128 v[14:17], v146 offset:784
	ds_load_b128 v[18:21], v154 offset:4624
	s_wait_dscnt 0x1
	;;#ASMSTART
	v_dot2_f32_f16 v8, v10, v14, v8
	;;#ASMEND
	;;#ASMSTART
	v_dot2_f32_f16 v8, v11, v15, v8
	;;#ASMEND
	;;#ASMSTART
	v_dot2_f32_f16 v8, v12, v16, v8
	;;#ASMEND
	;;#ASMSTART
	v_dot2_f32_f16 v8, v13, v17, v8
	;;#ASMEND
	s_wait_dscnt 0x0
	;;#ASMSTART
	v_dot2_f32_f16 v9, v18, v14, v9
	;;#ASMEND
	;;#ASMSTART
	v_dot2_f32_f16 v9, v19, v15, v9
	;;#ASMEND
	;;#ASMSTART
	v_dot2_f32_f16 v9, v20, v16, v9
	;;#ASMEND
	;;#ASMSTART
	v_dot2_f32_f16 v9, v21, v17, v9
	;;#ASMEND
	ds_load_b128 v[10:13], v154 offset:32
	;; [unrolled: 29-line block ×7, first 2 shown]
	ds_load_b128 v[14:17], v146 offset:880
	ds_load_b128 v[18:21], v154 offset:4720
	s_wait_dscnt 0x1
	;;#ASMSTART
	v_dot2_f32_f16 v8, v10, v14, v8
	;;#ASMEND
	;;#ASMSTART
	v_dot2_f32_f16 v8, v11, v15, v8
	;;#ASMEND
	;; [unrolled: 3-line block ×4, first 2 shown]
	s_wait_dscnt 0x0
	;;#ASMSTART
	v_dot2_f32_f16 v9, v18, v14, v9
	;;#ASMEND
	;;#ASMSTART
	v_dot2_f32_f16 v9, v19, v15, v9
	;;#ASMEND
	;; [unrolled: 3-line block ×4, first 2 shown]
	s_wait_loadcnt 0x0
	s_barrier_signal -1
	s_barrier_wait -1
	global_inv scope:SCOPE_SE
	s_clause 0x3
	global_load_b128 v[10:13], v[0:1], off offset:896
	global_load_b128 v[14:17], v[2:3], off offset:896
	;; [unrolled: 1-line block ×4, first 2 shown]
	s_wait_loadcnt 0x3
	ds_store_b128 v149, v[10:13]
	s_wait_loadcnt 0x2
	ds_store_b128 v150, v[14:17]
	;; [unrolled: 2-line block ×4, first 2 shown]
	s_wait_dscnt 0x0
	s_barrier_signal -1
	s_barrier_wait -1
	global_inv scope:SCOPE_SE
	ds_load_b128 v[10:13], v154
	ds_load_b128 v[14:17], v146 offset:896
	ds_load_b128 v[18:21], v154 offset:4608
	s_wait_dscnt 0x1
	;;#ASMSTART
	v_dot2_f32_f16 v8, v10, v14, v8
	;;#ASMEND
	;;#ASMSTART
	v_dot2_f32_f16 v8, v11, v15, v8
	;;#ASMEND
	;;#ASMSTART
	v_dot2_f32_f16 v8, v12, v16, v8
	;;#ASMEND
	;;#ASMSTART
	v_dot2_f32_f16 v8, v13, v17, v8
	;;#ASMEND
	s_wait_dscnt 0x0
	;;#ASMSTART
	v_dot2_f32_f16 v9, v18, v14, v9
	;;#ASMEND
	;;#ASMSTART
	v_dot2_f32_f16 v9, v19, v15, v9
	;;#ASMEND
	;;#ASMSTART
	v_dot2_f32_f16 v9, v20, v16, v9
	;;#ASMEND
	;;#ASMSTART
	v_dot2_f32_f16 v9, v21, v17, v9
	;;#ASMEND
	ds_load_b128 v[10:13], v154 offset:16
	ds_load_b128 v[14:17], v146 offset:912
	ds_load_b128 v[18:21], v154 offset:4624
	s_wait_dscnt 0x1
	;;#ASMSTART
	v_dot2_f32_f16 v8, v10, v14, v8
	;;#ASMEND
	;;#ASMSTART
	v_dot2_f32_f16 v8, v11, v15, v8
	;;#ASMEND
	;;#ASMSTART
	v_dot2_f32_f16 v8, v12, v16, v8
	;;#ASMEND
	;;#ASMSTART
	v_dot2_f32_f16 v8, v13, v17, v8
	;;#ASMEND
	s_wait_dscnt 0x0
	;;#ASMSTART
	v_dot2_f32_f16 v9, v18, v14, v9
	;;#ASMEND
	;;#ASMSTART
	v_dot2_f32_f16 v9, v19, v15, v9
	;;#ASMEND
	;;#ASMSTART
	v_dot2_f32_f16 v9, v20, v16, v9
	;;#ASMEND
	;;#ASMSTART
	v_dot2_f32_f16 v9, v21, v17, v9
	;;#ASMEND
	ds_load_b128 v[10:13], v154 offset:32
	;; [unrolled: 29-line block ×7, first 2 shown]
	ds_load_b128 v[14:17], v146 offset:1008
	ds_load_b128 v[18:21], v154 offset:4720
	s_wait_dscnt 0x1
	;;#ASMSTART
	v_dot2_f32_f16 v8, v10, v14, v8
	;;#ASMEND
	;;#ASMSTART
	v_dot2_f32_f16 v8, v11, v15, v8
	;;#ASMEND
	;; [unrolled: 3-line block ×4, first 2 shown]
	s_wait_dscnt 0x0
	;;#ASMSTART
	v_dot2_f32_f16 v9, v18, v14, v9
	;;#ASMEND
	;;#ASMSTART
	v_dot2_f32_f16 v9, v19, v15, v9
	;;#ASMEND
	;; [unrolled: 3-line block ×4, first 2 shown]
	s_wait_loadcnt 0x0
	s_barrier_signal -1
	s_barrier_wait -1
	global_inv scope:SCOPE_SE
	s_clause 0x3
	global_load_b128 v[10:13], v[0:1], off offset:1024
	global_load_b128 v[0:3], v[2:3], off offset:1024
	;; [unrolled: 1-line block ×4, first 2 shown]
	s_wait_loadcnt 0x3
	ds_store_b128 v149, v[10:13]
	s_wait_loadcnt 0x2
	ds_store_b128 v150, v[0:3]
	;; [unrolled: 2-line block ×4, first 2 shown]
	s_wait_dscnt 0x0
	s_barrier_signal -1
	s_barrier_wait -1
	global_inv scope:SCOPE_SE
	ds_load_b128 v[0:3], v154
	ds_load_b128 v[4:7], v146 offset:1024
	ds_load_b128 v[10:13], v154 offset:4608
	s_wait_dscnt 0x1
	;;#ASMSTART
	v_dot2_f32_f16 v8, v0, v4, v8
	;;#ASMEND
	;;#ASMSTART
	v_dot2_f32_f16 v8, v1, v5, v8
	;;#ASMEND
	;;#ASMSTART
	v_dot2_f32_f16 v8, v2, v6, v8
	;;#ASMEND
	;;#ASMSTART
	v_dot2_f32_f16 v8, v3, v7, v8
	;;#ASMEND
	s_wait_dscnt 0x0
	;;#ASMSTART
	v_dot2_f32_f16 v9, v10, v4, v9
	;;#ASMEND
	;;#ASMSTART
	v_dot2_f32_f16 v9, v11, v5, v9
	;;#ASMEND
	;;#ASMSTART
	v_dot2_f32_f16 v9, v12, v6, v9
	;;#ASMEND
	;;#ASMSTART
	v_dot2_f32_f16 v9, v13, v7, v9
	;;#ASMEND
	ds_load_b128 v[0:3], v154 offset:16
	ds_load_b128 v[4:7], v146 offset:1040
	ds_load_b128 v[10:13], v154 offset:4624
	s_wait_dscnt 0x1
	;;#ASMSTART
	v_dot2_f32_f16 v8, v0, v4, v8
	;;#ASMEND
	;;#ASMSTART
	v_dot2_f32_f16 v8, v1, v5, v8
	;;#ASMEND
	;;#ASMSTART
	v_dot2_f32_f16 v8, v2, v6, v8
	;;#ASMEND
	;;#ASMSTART
	v_dot2_f32_f16 v8, v3, v7, v8
	;;#ASMEND
	s_wait_dscnt 0x0
	;;#ASMSTART
	v_dot2_f32_f16 v9, v10, v4, v9
	;;#ASMEND
	;;#ASMSTART
	v_dot2_f32_f16 v9, v11, v5, v9
	;;#ASMEND
	;;#ASMSTART
	v_dot2_f32_f16 v9, v12, v6, v9
	;;#ASMEND
	;;#ASMSTART
	v_dot2_f32_f16 v9, v13, v7, v9
	;;#ASMEND
	ds_load_b128 v[0:3], v154 offset:32
	;; [unrolled: 29-line block ×7, first 2 shown]
	ds_load_b128 v[4:7], v146 offset:1136
	ds_load_b128 v[10:13], v154 offset:4720
	s_wait_dscnt 0x1
	;;#ASMSTART
	v_dot2_f32_f16 v8, v0, v4, v8
	;;#ASMEND
	;;#ASMSTART
	v_dot2_f32_f16 v8, v1, v5, v8
	;;#ASMEND
	;; [unrolled: 3-line block ×4, first 2 shown]
	v_cmp_ngt_f32_e64 s26, 0x3f200000, |v8|
	s_wait_dscnt 0x0
	;;#ASMSTART
	v_dot2_f32_f16 v9, v10, v4, v9
	;;#ASMEND
	;;#ASMSTART
	v_dot2_f32_f16 v9, v11, v5, v9
	;;#ASMEND
	;; [unrolled: 3-line block ×4, first 2 shown]
                                        ; implicit-def: $vgpr2
	s_and_saveexec_b32 s27, s26
	s_wait_alu 0xfffe
	s_xor_b32 s26, exec_lo, s27
	s_cbranch_execz .LBB28_13
; %bb.12:                               ;   in Loop: Header=BB28_11 Depth=1
	v_add_f32_e64 v0, |v8|, |v8|
	s_delay_alu instid0(VALU_DEP_1) | instskip(SKIP_1) | instid1(VALU_DEP_2)
	v_mul_f32_e32 v1, 0x3fb8aa3b, v0
	v_cmp_ngt_f32_e32 vcc_lo, 0xc2ce8ed0, v0
	v_rndne_f32_e32 v2, v1
	v_fma_f32 v3, 0x3fb8aa3b, v0, -v1
	s_delay_alu instid0(VALU_DEP_2) | instskip(NEXT) | instid1(VALU_DEP_2)
	v_sub_f32_e32 v1, v1, v2
	v_fmac_f32_e32 v3, 0x32a5705f, v0
	v_cvt_i32_f32_e32 v2, v2
	s_delay_alu instid0(VALU_DEP_2) | instskip(NEXT) | instid1(VALU_DEP_1)
	v_add_f32_e32 v1, v1, v3
	v_exp_f32_e32 v1, v1
	s_delay_alu instid0(TRANS32_DEP_1) | instskip(SKIP_1) | instid1(VALU_DEP_1)
	v_ldexp_f32 v1, v1, v2
	s_wait_alu 0xfffd
	v_cndmask_b32_e32 v1, 0, v1, vcc_lo
	v_cmp_nlt_f32_e32 vcc_lo, 0x42b17218, v0
	s_wait_alu 0xfffd
	s_delay_alu instid0(VALU_DEP_2) | instskip(NEXT) | instid1(VALU_DEP_1)
	v_cndmask_b32_e32 v0, 0x7f800000, v1, vcc_lo
	v_add_f32_e32 v0, 1.0, v0
	s_delay_alu instid0(VALU_DEP_1) | instskip(NEXT) | instid1(TRANS32_DEP_1)
	v_rcp_f32_e32 v0, v0
	v_fma_f32 v2, v0, -2.0, 1.0
.LBB28_13:                              ;   in Loop: Header=BB28_11 Depth=1
	s_wait_alu 0xfffe
	s_and_not1_saveexec_b32 s26, s26
	s_cbranch_execz .LBB28_15
; %bb.14:                               ;   in Loop: Header=BB28_11 Depth=1
	v_mul_f32_e32 v0, v8, v8
	s_delay_alu instid0(VALU_DEP_1) | instskip(NEXT) | instid1(VALU_DEP_1)
	v_fmaak_f32 v1, s3, v0, 0x3ca908c9
	v_fmaak_f32 v1, v0, v1, 0xbd5c1c4e
	s_delay_alu instid0(VALU_DEP_1) | instskip(NEXT) | instid1(VALU_DEP_1)
	v_fmaak_f32 v1, v0, v1, 0x3e088382
	v_fmaak_f32 v1, v0, v1, 0xbeaaaa99
	s_delay_alu instid0(VALU_DEP_1) | instskip(NEXT) | instid1(VALU_DEP_1)
	v_mul_f32_e64 v1, |v8|, v1
	v_fma_f32 v2, v0, v1, |v8|
.LBB28_15:                              ;   in Loop: Header=BB28_11 Depth=1
	s_wait_alu 0xfffe
	s_or_b32 exec_lo, exec_lo, s26
	v_add_nc_u32_e32 v0, s10, v126
	v_cmp_ngt_f32_e64 s26, 0x3f200000, |v9|
                                        ; implicit-def: $vgpr4
	s_delay_alu instid0(VALU_DEP_2) | instskip(NEXT) | instid1(VALU_DEP_1)
	v_ashrrev_i32_e32 v1, 31, v0
	v_lshlrev_b64_e32 v[0:1], 1, v[0:1]
	s_delay_alu instid0(VALU_DEP_1) | instskip(SKIP_1) | instid1(VALU_DEP_2)
	v_add_co_u32 v0, vcc_lo, s30, v0
	s_wait_alu 0xfffd
	v_add_co_ci_u32_e64 v1, null, s31, v1, vcc_lo
	global_load_u16 v3, v[0:1], off
	s_and_saveexec_b32 s27, s26
	s_wait_alu 0xfffe
	s_xor_b32 s26, exec_lo, s27
	s_cbranch_execz .LBB28_17
; %bb.16:                               ;   in Loop: Header=BB28_11 Depth=1
	v_add_f32_e64 v4, |v9|, |v9|
	s_delay_alu instid0(VALU_DEP_1) | instskip(SKIP_1) | instid1(VALU_DEP_2)
	v_mul_f32_e32 v5, 0x3fb8aa3b, v4
	v_cmp_ngt_f32_e32 vcc_lo, 0xc2ce8ed0, v4
	v_rndne_f32_e32 v6, v5
	v_fma_f32 v7, 0x3fb8aa3b, v4, -v5
	s_delay_alu instid0(VALU_DEP_2) | instskip(NEXT) | instid1(VALU_DEP_2)
	v_sub_f32_e32 v5, v5, v6
	v_fmac_f32_e32 v7, 0x32a5705f, v4
	v_cvt_i32_f32_e32 v6, v6
	s_delay_alu instid0(VALU_DEP_2) | instskip(NEXT) | instid1(VALU_DEP_1)
	v_add_f32_e32 v5, v5, v7
	v_exp_f32_e32 v5, v5
	s_delay_alu instid0(TRANS32_DEP_1) | instskip(SKIP_1) | instid1(VALU_DEP_1)
	v_ldexp_f32 v5, v5, v6
	s_wait_alu 0xfffd
	v_cndmask_b32_e32 v5, 0, v5, vcc_lo
	v_cmp_nlt_f32_e32 vcc_lo, 0x42b17218, v4
	s_wait_alu 0xfffd
	s_delay_alu instid0(VALU_DEP_2) | instskip(NEXT) | instid1(VALU_DEP_1)
	v_cndmask_b32_e32 v4, 0x7f800000, v5, vcc_lo
	v_add_f32_e32 v4, 1.0, v4
	s_delay_alu instid0(VALU_DEP_1) | instskip(NEXT) | instid1(TRANS32_DEP_1)
	v_rcp_f32_e32 v4, v4
	v_fma_f32 v4, v4, -2.0, 1.0
.LBB28_17:                              ;   in Loop: Header=BB28_11 Depth=1
	s_wait_alu 0xfffe
	s_and_not1_saveexec_b32 s26, s26
	s_cbranch_execz .LBB28_19
; %bb.18:                               ;   in Loop: Header=BB28_11 Depth=1
	v_mul_f32_e32 v4, v9, v9
	s_delay_alu instid0(VALU_DEP_1) | instskip(NEXT) | instid1(VALU_DEP_1)
	v_fmaak_f32 v5, s3, v4, 0x3ca908c9
	v_fmaak_f32 v5, v4, v5, 0xbd5c1c4e
	s_delay_alu instid0(VALU_DEP_1) | instskip(NEXT) | instid1(VALU_DEP_1)
	v_fmaak_f32 v5, v4, v5, 0x3e088382
	v_fmaak_f32 v5, v4, v5, 0xbeaaaa99
	s_delay_alu instid0(VALU_DEP_1) | instskip(NEXT) | instid1(VALU_DEP_1)
	v_mul_f32_e64 v5, |v9|, v5
	v_fma_f32 v4, v4, v5, |v9|
.LBB28_19:                              ;   in Loop: Header=BB28_11 Depth=1
	s_wait_alu 0xfffe
	s_or_b32 exec_lo, exec_lo, s26
	global_load_u16 v7, v[0:1], off offset:64
	s_mul_u64 s[26:27], s[10:11], s[14:15]
	s_wait_loadcnt 0x0
	s_wait_alu 0xfffe
	s_lshl_b64 s[26:27], s[26:27], 2
	s_barrier_signal -1
	s_wait_alu 0xfffe
	s_add_nc_u64 s[26:27], s[8:9], s[26:27]
	s_barrier_wait -1
	s_wait_alu 0xfffe
	v_add_co_u32 v0, vcc_lo, s26, v135
	s_wait_alu 0xfffd
	v_add_co_ci_u32_e64 v1, null, s27, v136, vcc_lo
	v_add_co_u32 v5, vcc_lo, s26, v137
	s_wait_alu 0xfffd
	v_add_co_ci_u32_e64 v6, null, s27, v138, vcc_lo
	;; [unrolled: 3-line block ×4, first 2 shown]
	global_inv scope:SCOPE_SE
	s_clause 0x3
	global_load_b128 v[10:13], v[0:1], off
	global_load_b128 v[14:17], v[0:1], off offset:512
	global_load_b128 v[18:21], v[5:6], off
	global_load_b128 v[22:25], v[5:6], off offset:512
	v_bfi_b32 v0, 0x7fffffff, v2, v8
	v_bfi_b32 v1, 0x7fffffff, v4, v9
	v_xor_b32_e32 v165, 16, v148
	v_xor_b32_e32 v164, 8, v148
	;; [unrolled: 1-line block ×3, first 2 shown]
	v_fma_mix_f32 v0, s5, v0, v3 op_sel_hi:[0,0,1]
	v_xor_b32_e32 v167, 2, v148
	v_cmp_gt_i32_e32 vcc_lo, 32, v165
	v_xor_b32_e32 v168, 1, v148
	s_or_b32 s26, s10, 8
	v_add_f32_e32 v3, 0x40051340, v0
	s_wait_alu 0xfffe
	s_ashr_i32 s27, s26, 31
	s_wait_alu 0xfffd
	v_cndmask_b32_e32 v2, v148, v165, vcc_lo
	v_cmp_gt_i32_e32 vcc_lo, 32, v164
	s_wait_alu 0xfffe
	s_mul_u64 s[26:27], s[26:27], s[14:15]
	v_add_nc_u32_e32 v170, 0x1000, v147
	s_wait_alu 0xfffe
	s_lshl_b64 s[26:27], s[26:27], 2
	v_lshlrev_b32_e32 v2, 2, v2
	s_wait_alu 0xfffe
	s_add_nc_u64 s[26:27], s[8:9], s[26:27]
	s_or_b32 s34, s10, 24
	v_add_nc_u32_e32 v171, 0x800, v147
	s_wait_alu 0xfffe
	s_ashr_i32 s35, s34, 31
	v_add_nc_u32_e32 v169, 0x1800, v147
	s_wait_alu 0xfffe
	s_mul_u64 s[34:35], s[34:35], s[14:15]
	s_wait_alu 0xfffe
	s_lshl_b64 s[34:35], s[34:35], 2
	s_wait_alu 0xfffe
	s_add_nc_u64 s[34:35], s[8:9], s[34:35]
	v_fma_mix_f32 v1, s5, v1, v7 op_sel_hi:[0,0,1]
	s_delay_alu instid0(VALU_DEP_1) | instskip(NEXT) | instid1(VALU_DEP_1)
	v_add_f32_e32 v4, 0x40051340, v1
	v_max3_num_f32 v3, v91, v3, v4
	s_wait_alu 0xfffd
	v_cndmask_b32_e32 v4, v148, v164, vcc_lo
	v_cmp_gt_i32_e32 vcc_lo, 32, v166
	ds_bpermute_b32 v2, v2, v3
	v_lshlrev_b32_e32 v4, 2, v4
	s_wait_dscnt 0x0
	v_max_num_f32_e32 v2, v2, v2
	s_delay_alu instid0(VALU_DEP_1)
	v_max_num_f32_e32 v2, v3, v2
	ds_bpermute_b32 v3, v4, v2
	s_wait_alu 0xfffd
	v_cndmask_b32_e32 v4, v148, v166, vcc_lo
	v_cmp_gt_i32_e32 vcc_lo, 32, v167
	s_wait_dscnt 0x0
	s_delay_alu instid0(VALU_DEP_2) | instskip(NEXT) | instid1(VALU_DEP_1)
	v_dual_max_num_f32 v3, v3, v3 :: v_dual_lshlrev_b32 v4, 2, v4
	v_max_num_f32_e32 v2, v2, v3
	ds_bpermute_b32 v3, v4, v2
	s_wait_alu 0xfffd
	v_cndmask_b32_e32 v4, v148, v167, vcc_lo
	v_cmp_gt_i32_e32 vcc_lo, 32, v168
	s_wait_dscnt 0x0
	s_delay_alu instid0(VALU_DEP_2) | instskip(NEXT) | instid1(VALU_DEP_1)
	v_dual_max_num_f32 v3, v3, v3 :: v_dual_lshlrev_b32 v4, 2, v4
	v_max_num_f32_e32 v2, v2, v3
	ds_bpermute_b32 v3, v4, v2
	s_wait_alu 0xfffd
	v_cndmask_b32_e32 v4, v148, v168, vcc_lo
	s_wait_dscnt 0x0
	s_delay_alu instid0(VALU_DEP_1) | instskip(NEXT) | instid1(VALU_DEP_1)
	v_dual_max_num_f32 v3, v3, v3 :: v_dual_lshlrev_b32 v4, 2, v4
	v_max_num_f32_e32 v2, v2, v3
	ds_bpermute_b32 v3, v4, v2
	s_wait_dscnt 0x0
	v_max_num_f32_e32 v3, v3, v3
	s_delay_alu instid0(VALU_DEP_1) | instskip(NEXT) | instid1(VALU_DEP_1)
	v_max_num_f32_e32 v139, v2, v3
	v_sub_f32_e32 v0, v0, v139
	v_sub_f32_e32 v1, v1, v139
	s_delay_alu instid0(VALU_DEP_2) | instskip(NEXT) | instid1(VALU_DEP_1)
	v_dual_sub_f32 v91, v91, v139 :: v_dual_mul_f32 v2, 0x3fb8aa3b, v0
	v_dual_mul_f32 v3, 0x3fb8aa3b, v1 :: v_dual_mul_f32 v92, 0x3fb8aa3b, v91
	s_delay_alu instid0(VALU_DEP_2) | instskip(SKIP_1) | instid1(VALU_DEP_3)
	v_fma_f32 v4, 0x3fb8aa3b, v0, -v2
	v_rndne_f32_e32 v5, v2
	v_fma_f32 v6, 0x3fb8aa3b, v1, -v3
	v_rndne_f32_e32 v7, v3
	v_fma_f32 v93, 0x3fb8aa3b, v91, -v92
	v_fmac_f32_e32 v4, 0x32a5705f, v0
	v_sub_f32_e32 v2, v2, v5
	s_delay_alu instid0(VALU_DEP_4) | instskip(SKIP_1) | instid1(VALU_DEP_3)
	v_dual_fmac_f32 v6, 0x32a5705f, v1 :: v_dual_sub_f32 v3, v3, v7
	v_rndne_f32_e32 v94, v92
	v_dual_fmac_f32 v93, 0x32a5705f, v91 :: v_dual_add_f32 v2, v2, v4
	v_cvt_i32_f32_e32 v4, v5
	s_delay_alu instid0(VALU_DEP_4)
	v_add_f32_e32 v3, v3, v6
	v_cvt_i32_f32_e32 v5, v7
	v_sub_f32_e32 v92, v92, v94
	v_exp_f32_e32 v2, v2
	v_cvt_i32_f32_e32 v94, v94
	v_exp_f32_e32 v3, v3
	s_delay_alu instid0(VALU_DEP_2) | instskip(NEXT) | instid1(VALU_DEP_1)
	v_add_f32_e32 v92, v92, v93
	v_exp_f32_e32 v92, v92
	s_delay_alu instid0(TRANS32_DEP_3) | instskip(SKIP_1) | instid1(TRANS32_DEP_2)
	v_ldexp_f32 v2, v2, v4
	v_add_co_u32 v4, vcc_lo, s26, v135
	v_ldexp_f32 v3, v3, v5
	s_wait_alu 0xfffd
	v_add_co_ci_u32_e64 v5, null, s27, v136, vcc_lo
	v_cmp_ngt_f32_e32 vcc_lo, 0xc2ce8ed0, v0
	s_delay_alu instid0(TRANS32_DEP_1)
	v_ldexp_f32 v92, v92, v94
	s_wait_alu 0xfffd
	v_cndmask_b32_e32 v2, 0, v2, vcc_lo
	v_cmp_ngt_f32_e32 vcc_lo, 0xc2ce8ed0, v1
	s_wait_alu 0xfffd
	v_cndmask_b32_e32 v3, 0, v3, vcc_lo
	v_add_co_u32 v6, vcc_lo, s26, v137
	s_wait_alu 0xfffd
	v_add_co_ci_u32_e64 v7, null, s27, v138, vcc_lo
	v_cmp_nlt_f32_e32 vcc_lo, 0x42b17218, v0
	s_or_b32 s26, s10, 16
	s_wait_alu 0xfffe
	s_ashr_i32 s27, s26, 31
	s_wait_alu 0xfffd
	v_cndmask_b32_e32 v172, 0x7f800000, v2, vcc_lo
	v_cmp_nlt_f32_e32 vcc_lo, 0x42b17218, v1
	s_wait_alu 0xfffe
	s_mul_u64 s[26:27], s[26:27], s[14:15]
	s_wait_alu 0xfffe
	s_lshl_b64 s[26:27], s[26:27], 2
	v_cvt_f16_f32_e64 v0, v172
	s_wait_alu 0xfffd
	v_cndmask_b32_e32 v173, 0x7f800000, v3, vcc_lo
	v_add_co_u32 v72, vcc_lo, v4, v153
	s_wait_alu 0xfffd
	v_add_co_ci_u32_e64 v73, null, 0, v5, vcc_lo
	v_add_co_u32 v80, vcc_lo, v6, v153
	v_cvt_f16_f32_e64 v1, v173
	s_wait_alu 0xfffd
	v_add_co_ci_u32_e64 v81, null, 0, v7, vcc_lo
	ds_store_b16 v157, v0
	ds_store_b16 v157, v1 offset:64
	s_wait_loadcnt 0x3
	ds_store_b128 v156, v[10:13]
	s_wait_loadcnt 0x2
	ds_store_b128 v158, v[14:17]
	;; [unrolled: 2-line block ×4, first 2 shown]
	s_wait_dscnt 0x0
	s_barrier_signal -1
	s_barrier_wait -1
	global_inv scope:SCOPE_SE
	ds_load_2addr_b64 v[40:43], v147 offset1:32
	ds_load_2addr_b64 v[20:23], v147 offset0:64 offset1:96
	ds_load_b128 v[52:55], v155
	ds_load_2addr_b64 v[64:67], v147 offset0:128 offset1:160
	ds_load_2addr_b64 v[68:71], v147 offset0:192 offset1:224
	ds_load_2addr_b64 v[48:51], v171 offset1:32
	ds_load_2addr_b64 v[56:59], v171 offset0:64 offset1:96
	ds_load_2addr_b64 v[36:39], v171 offset0:128 offset1:160
	ds_load_2addr_b64 v[44:47], v171 offset0:192 offset1:224
	ds_load_2addr_b64 v[28:31], v170 offset1:32
	ds_load_2addr_b64 v[32:35], v170 offset0:64 offset1:96
	;; [unrolled: 4-line block ×3, first 2 shown]
	ds_load_2addr_b64 v[0:3], v169 offset0:128 offset1:160
	ds_load_2addr_b64 v[4:7], v169 offset0:192 offset1:224
	s_wait_loadcnt_dscnt 0x0
	s_barrier_signal -1
	s_barrier_wait -1
	global_inv scope:SCOPE_SE
	s_clause 0x3
	global_load_b128 v[60:63], v[72:73], off
	global_load_b128 v[72:75], v[72:73], off offset:512
	global_load_b128 v[76:79], v[80:81], off
	global_load_b128 v[80:83], v[80:81], off offset:512
	s_wait_alu 0xfffe
	s_add_nc_u64 s[26:27], s[8:9], s[26:27]
	v_lshrrev_b32_e32 v192, 16, v52
	s_wait_alu 0xfffe
	v_add_co_u32 v93, vcc_lo, s26, v135
	s_wait_alu 0xfffd
	v_add_co_ci_u32_e64 v95, null, s27, v136, vcc_lo
	v_add_co_u32 v96, vcc_lo, s26, v137
	s_wait_alu 0xfffd
	v_add_co_ci_u32_e64 v97, null, s27, v138, vcc_lo
	;; [unrolled: 3-line block ×3, first 2 shown]
	v_cmp_ngt_f32_e32 vcc_lo, 0xc2ce8ed0, v91
	v_and_b32_e32 v193, 0xffff, v53
	v_lshrrev_b32_e32 v194, 16, v53
	v_and_b32_e32 v195, 0xffff, v54
	v_lshrrev_b32_e32 v196, 16, v54
	s_wait_alu 0xfffd
	v_cndmask_b32_e32 v92, 0, v92, vcc_lo
	v_add_co_u32 v99, vcc_lo, s34, v137
	s_wait_alu 0xfffd
	v_add_co_ci_u32_e64 v100, null, s35, v138, vcc_lo
	v_cmp_nlt_f32_e32 vcc_lo, 0x42b17218, v91
	v_lshrrev_b32_e32 v197, 16, v55
	v_and_b32_e32 v198, 0xffff, v55
	v_mul_u32_u24_e32 v192, 0x10001, v192
	v_mul_u32_u24_e32 v193, 0x10001, v193
	s_wait_alu 0xfffd
	v_cndmask_b32_e32 v174, 0x7f800000, v92, vcc_lo
	v_add_co_u32 v179, vcc_lo, v93, v153
	s_wait_alu 0xfffd
	v_add_co_ci_u32_e64 v180, null, 0, v95, vcc_lo
	s_delay_alu instid0(VALU_DEP_3) | instskip(SKIP_3) | instid1(VALU_DEP_3)
	v_cvt_f16_f32_e64 v91, v174
	v_add_co_u32 v187, vcc_lo, v96, v153
	s_wait_alu 0xfffd
	v_add_co_ci_u32_e64 v188, null, 0, v97, vcc_lo
	v_and_b32_e32 v91, 0xffff, v91
	v_add_co_u32 v140, vcc_lo, v94, v153
	s_wait_alu 0xfffd
	v_add_co_ci_u32_e64 v141, null, 0, v98, vcc_lo
	s_delay_alu instid0(VALU_DEP_3) | instskip(SKIP_4) | instid1(VALU_DEP_3)
	v_mul_u32_u24_e32 v191, 0x10001, v91
	v_and_b32_e32 v91, 0xffff, v52
	v_add_co_u32 v142, vcc_lo, v99, v153
	s_wait_alu 0xfffd
	v_add_co_ci_u32_e64 v143, null, 0, v100, vcc_lo
	v_mul_u32_u24_e32 v52, 0x10001, v91
	v_pk_mul_f16 v89, v89, v191
	v_pk_mul_f16 v90, v90, v191
	;; [unrolled: 1-line block ×8, first 2 shown]
	v_pk_fma_f16 v200, v42, v52, v89
	v_pk_fma_f16 v201, v43, v52, v90
	;; [unrolled: 1-line block ×16, first 2 shown]
	v_mul_u32_u24_e32 v194, 0x10001, v194
	v_pk_fma_f16 v50, v50, v193, v66
	v_pk_fma_f16 v51, v51, v193, v67
	v_pk_fma_f16 v56, v56, v193, v68
	v_pk_fma_f16 v57, v57, v193, v69
	v_pk_fma_f16 v58, v58, v193, v70
	v_pk_fma_f16 v59, v59, v193, v71
	v_pk_fma_f16 v48, v48, v193, v64
	v_pk_fma_f16 v49, v49, v193, v65
	v_mul_u32_u24_e32 v195, 0x10001, v195
	v_pk_fma_f16 v44, v44, v194, v56
	v_pk_fma_f16 v45, v45, v194, v57
	v_pk_fma_f16 v46, v46, v194, v58
	v_pk_fma_f16 v47, v47, v194, v59
	v_pk_fma_f16 v38, v38, v194, v50
	v_pk_fma_f16 v39, v39, v194, v51
	v_pk_fma_f16 v36, v36, v194, v48
	v_pk_fma_f16 v37, v37, v194, v49
	;; [unrolled: 9-line block ×5, first 2 shown]
	v_pk_fma_f16 v16, v2, v197, v10
	v_pk_fma_f16 v17, v3, v197, v11
	;; [unrolled: 1-line block ×8, first 2 shown]
	s_or_b32 s26, s10, 32
	s_or_b32 s34, s10, 56
	s_wait_alu 0xfffe
	s_ashr_i32 s27, s26, 31
	s_ashr_i32 s35, s34, 31
	s_wait_alu 0xfffe
	s_mul_u64 s[26:27], s[26:27], s[14:15]
	s_mul_u64 s[34:35], s[34:35], s[14:15]
	s_wait_alu 0xfffe
	s_lshl_b64 s[26:27], s[26:27], 2
	s_lshl_b64 s[36:37], s[34:35], 2
	s_wait_alu 0xfffe
	s_add_nc_u64 s[26:27], s[8:9], s[26:27]
	s_wait_loadcnt 0x3
	ds_store_b128 v156, v[60:63]
	s_wait_loadcnt 0x2
	ds_store_b128 v158, v[72:75]
	;; [unrolled: 2-line block ×4, first 2 shown]
	s_wait_dscnt 0x0
	s_barrier_signal -1
	s_barrier_wait -1
	global_inv scope:SCOPE_SE
	ds_load_2addr_b64 v[120:123], v147 offset1:32
	ds_load_2addr_b64 v[116:119], v147 offset0:64 offset1:96
	ds_load_b128 v[112:115], v155 offset:16
	ds_load_2addr_b64 v[108:111], v147 offset0:128 offset1:160
	ds_load_2addr_b64 v[104:107], v147 offset0:192 offset1:224
	ds_load_2addr_b64 v[100:103], v171 offset1:32
	ds_load_2addr_b64 v[96:99], v171 offset0:64 offset1:96
	ds_load_2addr_b64 v[92:95], v171 offset0:128 offset1:160
	ds_load_2addr_b64 v[88:91], v171 offset0:192 offset1:224
	ds_load_2addr_b64 v[84:87], v170 offset1:32
	ds_load_2addr_b64 v[80:83], v170 offset0:64 offset1:96
	;; [unrolled: 4-line block ×3, first 2 shown]
	ds_load_2addr_b64 v[40:43], v169 offset0:128 offset1:160
	ds_load_2addr_b64 v[20:23], v169 offset0:192 offset1:224
	s_wait_loadcnt_dscnt 0x0
	s_barrier_signal -1
	s_barrier_wait -1
	global_inv scope:SCOPE_SE
	s_clause 0x3
	global_load_b128 v[175:178], v[179:180], off
	global_load_b128 v[179:182], v[179:180], off offset:512
	global_load_b128 v[183:186], v[187:188], off
	global_load_b128 v[187:190], v[187:188], off offset:512
	v_and_b32_e32 v28, 0xffff, v112
	s_wait_alu 0xfffe
	v_add_co_u32 v29, vcc_lo, s26, v135
	v_lshrrev_b32_e32 v31, 16, v112
	s_wait_alu 0xfffd
	v_add_co_ci_u32_e64 v30, null, s27, v136, vcc_lo
	v_mul_u32_u24_e32 v28, 0x10001, v28
	v_add_co_u32 v37, vcc_lo, s26, v137
	v_and_b32_e32 v32, 0xffff, v113
	s_wait_alu 0xfffd
	v_add_co_ci_u32_e64 v38, null, s27, v138, vcc_lo
	v_pk_fma_f16 v26, v120, v28, v26
	v_pk_fma_f16 v27, v121, v28, v27
	;; [unrolled: 1-line block ×8, first 2 shown]
	v_add_co_u32 v112, vcc_lo, v29, v153
	v_mul_u32_u24_e32 v29, 0x10001, v31
	v_lshrrev_b32_e32 v28, 16, v113
	s_wait_alu 0xfffd
	v_add_co_ci_u32_e64 v113, null, 0, v30, vcc_lo
	v_mul_u32_u24_e32 v30, 0x10001, v32
	v_pk_fma_f16 v26, v108, v29, v26
	v_pk_fma_f16 v27, v109, v29, v27
	;; [unrolled: 1-line block ×8, first 2 shown]
	v_and_b32_e32 v33, 0xffff, v114
	v_mul_u32_u24_e32 v28, 0x10001, v28
	v_pk_fma_f16 v26, v100, v30, v26
	v_pk_fma_f16 v27, v101, v30, v27
	;; [unrolled: 1-line block ×8, first 2 shown]
	v_lshrrev_b32_e32 v34, 16, v114
	v_mul_u32_u24_e32 v31, 0x10001, v33
	v_pk_fma_f16 v26, v92, v28, v26
	v_pk_fma_f16 v27, v93, v28, v27
	;; [unrolled: 1-line block ×8, first 2 shown]
	v_and_b32_e32 v36, 0xffff, v115
	v_mul_u32_u24_e32 v32, 0x10001, v34
	v_pk_fma_f16 v26, v84, v31, v26
	v_pk_fma_f16 v27, v85, v31, v27
	v_pk_fma_f16 v16, v86, v31, v16
	v_pk_fma_f16 v17, v87, v31, v17
	v_pk_fma_f16 v18, v80, v31, v18
	v_pk_fma_f16 v19, v81, v31, v19
	v_pk_fma_f16 v24, v82, v31, v24
	v_pk_fma_f16 v25, v83, v31, v25
	v_lshrrev_b32_e32 v35, 16, v115
	v_mul_u32_u24_e32 v33, 0x10001, v36
	v_pk_fma_f16 v26, v76, v32, v26
	v_pk_fma_f16 v27, v77, v32, v27
	;; [unrolled: 1-line block ×8, first 2 shown]
	v_add_co_u32 v114, vcc_lo, v37, v153
	v_mul_u32_u24_e32 v34, 0x10001, v35
	v_pk_fma_f16 v26, v60, v33, v26
	v_pk_fma_f16 v27, v61, v33, v27
	;; [unrolled: 1-line block ×8, first 2 shown]
	s_wait_alu 0xfffd
	v_add_co_ci_u32_e64 v115, null, 0, v38, vcc_lo
	v_pk_fma_f16 v88, v40, v34, v26
	v_pk_fma_f16 v89, v41, v34, v27
	v_pk_fma_f16 v90, v42, v34, v16
	v_pk_fma_f16 v91, v43, v34, v17
	v_pk_fma_f16 v92, v20, v34, v18
	v_pk_fma_f16 v93, v21, v34, v19
	v_pk_fma_f16 v94, v22, v34, v24
	v_pk_fma_f16 v95, v23, v34, v25
	s_or_b32 s26, s10, 40
	s_wait_loadcnt 0x3
	ds_store_b128 v156, v[175:178]
	s_wait_loadcnt 0x2
	ds_store_b128 v158, v[179:182]
	;; [unrolled: 2-line block ×4, first 2 shown]
	s_wait_dscnt 0x0
	s_barrier_signal -1
	s_barrier_wait -1
	global_inv scope:SCOPE_SE
	ds_load_2addr_b64 v[175:178], v147 offset1:32
	ds_load_2addr_b64 v[179:182], v147 offset0:64 offset1:96
	ds_load_b128 v[183:186], v155 offset:32
	ds_load_2addr_b64 v[187:190], v147 offset0:128 offset1:160
	ds_load_2addr_b64 v[191:194], v147 offset0:192 offset1:224
	ds_load_2addr_b64 v[195:198], v171 offset1:32
	ds_load_2addr_b64 v[199:202], v171 offset0:64 offset1:96
	ds_load_2addr_b64 v[203:206], v171 offset0:128 offset1:160
	ds_load_2addr_b64 v[207:210], v171 offset0:192 offset1:224
	ds_load_2addr_b64 v[211:214], v170 offset1:32
	ds_load_2addr_b64 v[215:218], v170 offset0:64 offset1:96
	;; [unrolled: 4-line block ×3, first 2 shown]
	ds_load_2addr_b64 v[235:238], v169 offset0:128 offset1:160
	ds_load_2addr_b64 v[68:71], v169 offset0:192 offset1:224
	s_wait_loadcnt_dscnt 0x0
	s_barrier_signal -1
	s_barrier_wait -1
	global_inv scope:SCOPE_SE
	s_clause 0x3
	global_load_b128 v[0:3], v[140:141], off
	global_load_b128 v[4:7], v[140:141], off offset:512
	global_load_b128 v[8:11], v[142:143], off
	global_load_b128 v[12:15], v[142:143], off offset:512
	s_wait_alu 0xfffe
	s_ashr_i32 s27, s26, 31
	v_and_b32_e32 v96, 0xffff, v183
	s_wait_alu 0xfffe
	s_mul_u64 s[26:27], s[26:27], s[14:15]
	v_lshrrev_b32_e32 v99, 16, v183
	s_wait_alu 0xfffe
	s_lshl_b64 s[26:27], s[26:27], 2
	v_and_b32_e32 v100, 0xffff, v184
	v_mul_u32_u24_e32 v96, 0x10001, v96
	s_wait_alu 0xfffe
	s_add_nc_u64 s[26:27], s[8:9], s[26:27]
	v_lshrrev_b32_e32 v104, 16, v184
	s_wait_alu 0xfffe
	v_add_co_u32 v97, vcc_lo, s26, v135
	s_wait_alu 0xfffd
	v_add_co_ci_u32_e64 v98, null, s27, v136, vcc_lo
	v_pk_fma_f16 v103, v181, v96, v94
	v_add_co_u32 v94, vcc_lo, s26, v137
	v_pk_fma_f16 v88, v175, v96, v88
	v_pk_fma_f16 v89, v176, v96, v89
	;; [unrolled: 1-line block ×7, first 2 shown]
	s_wait_alu 0xfffd
	v_add_co_ci_u32_e64 v95, null, s27, v138, vcc_lo
	v_add_co_u32 v92, vcc_lo, v97, v153
	v_mul_u32_u24_e32 v97, 0x10001, v99
	s_wait_alu 0xfffd
	v_add_co_ci_u32_e64 v93, null, 0, v98, vcc_lo
	v_mul_u32_u24_e32 v98, 0x10001, v100
	v_and_b32_e32 v105, 0xffff, v185
	v_pk_fma_f16 v88, v187, v97, v88
	v_pk_fma_f16 v89, v188, v97, v89
	;; [unrolled: 1-line block ×8, first 2 shown]
	v_mul_u32_u24_e32 v99, 0x10001, v104
	v_pk_fma_f16 v88, v195, v98, v88
	v_pk_fma_f16 v89, v196, v98, v89
	;; [unrolled: 1-line block ×8, first 2 shown]
	v_lshrrev_b32_e32 v106, 16, v185
	v_mul_u32_u24_e32 v100, 0x10001, v105
	v_pk_fma_f16 v88, v203, v99, v88
	v_pk_fma_f16 v89, v204, v99, v89
	;; [unrolled: 1-line block ×8, first 2 shown]
	v_and_b32_e32 v108, 0xffff, v186
	v_mul_u32_u24_e32 v104, 0x10001, v106
	v_pk_fma_f16 v88, v211, v100, v88
	v_pk_fma_f16 v89, v212, v100, v89
	;; [unrolled: 1-line block ×8, first 2 shown]
	v_lshrrev_b32_e32 v107, 16, v186
	v_mul_u32_u24_e32 v105, 0x10001, v108
	v_pk_fma_f16 v88, v219, v104, v88
	v_pk_fma_f16 v89, v220, v104, v89
	;; [unrolled: 1-line block ×8, first 2 shown]
	v_add_co_u32 v94, vcc_lo, v94, v153
	v_mul_u32_u24_e32 v106, 0x10001, v107
	v_pk_fma_f16 v88, v227, v105, v88
	v_pk_fma_f16 v89, v228, v105, v89
	v_pk_fma_f16 v90, v229, v105, v90
	v_pk_fma_f16 v91, v230, v105, v91
	v_pk_fma_f16 v97, v231, v105, v97
	v_pk_fma_f16 v98, v232, v105, v98
	v_pk_fma_f16 v103, v233, v105, v99
	v_pk_fma_f16 v104, v234, v105, v96
	s_wait_alu 0xfffd
	v_add_co_ci_u32_e64 v95, null, 0, v95, vcc_lo
	v_pk_fma_f16 v99, v235, v106, v88
	v_pk_fma_f16 v100, v236, v106, v89
	;; [unrolled: 1-line block ×8, first 2 shown]
	s_or_b32 s26, s10, 48
	s_wait_loadcnt 0x3
	ds_store_b128 v156, v[0:3]
	s_wait_loadcnt 0x2
	ds_store_b128 v158, v[4:7]
	;; [unrolled: 2-line block ×4, first 2 shown]
	s_wait_dscnt 0x0
	s_barrier_signal -1
	s_barrier_wait -1
	global_inv scope:SCOPE_SE
	ds_load_2addr_b64 v[64:67], v147 offset1:32
	ds_load_2addr_b64 v[60:63], v147 offset0:64 offset1:96
	ds_load_b128 v[56:59], v155 offset:48
	ds_load_2addr_b64 v[52:55], v147 offset0:128 offset1:160
	ds_load_2addr_b64 v[48:51], v147 offset0:192 offset1:224
	ds_load_2addr_b64 v[44:47], v171 offset1:32
	ds_load_2addr_b64 v[40:43], v171 offset0:64 offset1:96
	ds_load_2addr_b64 v[36:39], v171 offset0:128 offset1:160
	ds_load_2addr_b64 v[32:35], v171 offset0:192 offset1:224
	ds_load_2addr_b64 v[28:31], v170 offset1:32
	ds_load_2addr_b64 v[24:27], v170 offset0:64 offset1:96
	;; [unrolled: 4-line block ×3, first 2 shown]
	ds_load_2addr_b64 v[4:7], v169 offset0:128 offset1:160
	ds_load_2addr_b64 v[0:3], v169 offset0:192 offset1:224
	s_wait_loadcnt_dscnt 0x0
	s_barrier_signal -1
	s_barrier_wait -1
	global_inv scope:SCOPE_SE
	s_clause 0x3
	global_load_b128 v[72:75], v[112:113], off
	global_load_b128 v[76:79], v[112:113], off offset:512
	global_load_b128 v[80:83], v[114:115], off
	global_load_b128 v[84:87], v[114:115], off offset:512
	v_and_b32_e32 v163, 0xffff, v56
	v_lshrrev_b32_e32 v56, 16, v56
	s_wait_alu 0xfffe
	s_ashr_i32 s27, s26, 31
	s_wait_loadcnt 0x3
	ds_store_b128 v156, v[72:75]
	s_wait_loadcnt 0x2
	ds_store_b128 v158, v[76:79]
	;; [unrolled: 2-line block ×4, first 2 shown]
	s_wait_dscnt 0x0
	s_barrier_signal -1
	s_barrier_wait -1
	global_inv scope:SCOPE_SE
	ds_load_2addr_b64 v[103:106], v147 offset1:32
	ds_load_2addr_b64 v[107:110], v147 offset0:64 offset1:96
	ds_load_b128 v[111:114], v155 offset:64
	ds_load_2addr_b64 v[115:118], v147 offset0:128 offset1:160
	ds_load_2addr_b64 v[119:122], v147 offset0:192 offset1:224
	ds_load_2addr_b64 v[140:143], v171 offset1:32
	ds_load_2addr_b64 v[175:178], v171 offset0:64 offset1:96
	ds_load_2addr_b64 v[179:182], v171 offset0:128 offset1:160
	ds_load_2addr_b64 v[183:186], v171 offset0:192 offset1:224
	ds_load_2addr_b64 v[187:190], v170 offset1:32
	ds_load_2addr_b64 v[191:194], v170 offset0:64 offset1:96
	;; [unrolled: 4-line block ×3, first 2 shown]
	ds_load_2addr_b64 v[72:75], v169 offset0:128 offset1:160
	ds_load_2addr_b64 v[68:71], v169 offset0:192 offset1:224
	s_wait_loadcnt_dscnt 0x0
	s_barrier_signal -1
	s_barrier_wait -1
	global_inv scope:SCOPE_SE
	s_clause 0x3
	global_load_b128 v[195:198], v[92:93], off
	global_load_b128 v[199:202], v[92:93], off offset:512
	global_load_b128 v[203:206], v[94:95], off
	global_load_b128 v[92:95], v[94:95], off offset:512
	v_mul_u32_u24_e32 v163, 0x10001, v163
	v_mul_u32_u24_e32 v56, 0x10001, v56
	s_wait_alu 0xfffe
	s_mul_u64 s[26:27], s[26:27], s[14:15]
	v_and_b32_e32 v215, 0xffff, v112
	s_wait_alu 0xfffe
	s_lshl_b64 s[26:27], s[26:27], 2
	v_pk_fma_f16 v60, v60, v163, v96
	v_and_b32_e32 v96, 0xffff, v57
	v_pk_fma_f16 v99, v64, v163, v99
	v_pk_fma_f16 v100, v65, v163, v100
	;; [unrolled: 1-line block ×4, first 2 shown]
	v_lshrrev_b32_e32 v57, 16, v57
	v_mul_u32_u24_e32 v96, 0x10001, v96
	v_pk_fma_f16 v48, v48, v56, v60
	v_pk_fma_f16 v61, v61, v163, v97
	;; [unrolled: 1-line block ×4, first 2 shown]
	v_and_b32_e32 v97, 0xffff, v58
	v_mul_u32_u24_e32 v57, 0x10001, v57
	v_pk_fma_f16 v52, v52, v56, v99
	v_pk_fma_f16 v53, v53, v56, v100
	;; [unrolled: 1-line block ×5, first 2 shown]
	v_lshrrev_b32_e32 v58, 16, v58
	v_mul_u32_u24_e32 v97, 0x10001, v97
	v_pk_fma_f16 v49, v49, v56, v61
	v_pk_fma_f16 v50, v50, v56, v62
	;; [unrolled: 1-line block ×8, first 2 shown]
	v_lshrrev_b32_e32 v98, 16, v59
	v_and_b32_e32 v59, 0xffff, v59
	v_mul_u32_u24_e32 v58, 0x10001, v58
	v_pk_fma_f16 v41, v41, v96, v49
	v_pk_fma_f16 v42, v42, v96, v50
	;; [unrolled: 1-line block ×8, first 2 shown]
	v_mul_u32_u24_e32 v59, 0x10001, v59
	v_pk_fma_f16 v33, v33, v57, v41
	v_pk_fma_f16 v34, v34, v57, v42
	;; [unrolled: 1-line block ×8, first 2 shown]
	s_wait_alu 0xfffe
	s_add_nc_u64 s[34:35], s[8:9], s[26:27]
	v_mul_u32_u24_e32 v98, 0x10001, v98
	s_wait_alu 0xfffe
	v_add_co_u32 v65, vcc_lo, s34, v135
	v_pk_fma_f16 v25, v25, v97, v33
	v_pk_fma_f16 v26, v26, v97, v34
	;; [unrolled: 1-line block ×8, first 2 shown]
	v_add_f32_e32 v64, v172, v173
	s_add_nc_u64 s[26:27], s[8:9], s[36:37]
	s_wait_alu 0xfffd
	v_add_co_ci_u32_e64 v66, null, s35, v136, vcc_lo
	v_add_co_u32 v102, vcc_lo, s34, v137
	s_wait_alu 0xfffd
	v_add_co_ci_u32_e64 v172, null, s35, v138, vcc_lo
	s_wait_alu 0xfffe
	v_add_co_u32 v173, vcc_lo, s26, v135
	v_pk_fma_f16 v17, v17, v58, v25
	v_pk_fma_f16 v18, v18, v58, v26
	;; [unrolled: 1-line block ×8, first 2 shown]
	v_and_b32_e32 v0, 0xffff, v111
	v_fmac_f32_e32 v64, v162, v174
	s_wait_alu 0xfffd
	v_add_co_ci_u32_e64 v174, null, s27, v136, vcc_lo
	v_add_co_u32 v123, vcc_lo, s26, v137
	s_wait_alu 0xfffd
	v_add_co_ci_u32_e64 v210, null, s27, v138, vcc_lo
	v_add_co_u32 v65, vcc_lo, v65, v153
	;; [unrolled: 3-line block ×3, first 2 shown]
	v_pk_fma_f16 v9, v9, v59, v17
	v_pk_fma_f16 v10, v10, v59, v18
	;; [unrolled: 1-line block ×7, first 2 shown]
	v_mul_u32_u24_e32 v213, 0x10001, v0
	s_wait_alu 0xfffd
	v_add_co_ci_u32_e64 v163, null, 0, v172, vcc_lo
	v_add_co_u32 v207, vcc_lo, v173, v153
	s_wait_alu 0xfffd
	v_add_co_ci_u32_e64 v208, null, 0, v174, vcc_lo
	v_add_co_u32 v209, vcc_lo, v123, v153
	v_pk_fma_f16 v123, v1, v98, v9
	v_pk_fma_f16 v172, v2, v98, v10
	v_pk_fma_f16 v173, v3, v98, v11
	v_lshrrev_b32_e32 v174, 16, v111
	v_lshrrev_b32_e32 v211, 16, v112
	;; [unrolled: 1-line block ×4, first 2 shown]
	v_and_b32_e32 v216, 0xffff, v113
	v_and_b32_e32 v217, 0xffff, v114
	v_pk_fma_f16 v218, v103, v213, v4
	v_pk_fma_f16 v104, v104, v213, v5
	;; [unrolled: 1-line block ×8, first 2 shown]
	s_wait_alu 0xfffd
	v_add_co_ci_u32_e64 v210, null, 0, v210, vcc_lo
	s_wait_loadcnt 0x3
	ds_store_b128 v156, v[195:198]
	s_wait_loadcnt 0x2
	ds_store_b128 v158, v[199:202]
	;; [unrolled: 2-line block ×4, first 2 shown]
	s_wait_dscnt 0x0
	s_barrier_signal -1
	s_barrier_wait -1
	global_inv scope:SCOPE_SE
	ds_load_2addr_b64 v[0:3], v147 offset1:32
	ds_load_2addr_b64 v[4:7], v147 offset0:64 offset1:96
	ds_load_b128 v[8:11], v155 offset:80
	ds_load_2addr_b64 v[12:15], v147 offset0:128 offset1:160
	ds_load_2addr_b64 v[16:19], v147 offset0:192 offset1:224
	ds_load_2addr_b64 v[20:23], v171 offset1:32
	ds_load_2addr_b64 v[24:27], v171 offset0:64 offset1:96
	ds_load_2addr_b64 v[28:31], v171 offset0:128 offset1:160
	ds_load_2addr_b64 v[32:35], v171 offset0:192 offset1:224
	ds_load_2addr_b64 v[36:39], v170 offset1:32
	ds_load_2addr_b64 v[40:43], v170 offset0:64 offset1:96
	;; [unrolled: 4-line block ×3, first 2 shown]
	ds_load_2addr_b64 v[60:63], v169 offset0:128 offset1:160
	ds_load_2addr_b64 v[92:95], v169 offset0:192 offset1:224
	s_wait_loadcnt_dscnt 0x0
	s_barrier_signal -1
	s_barrier_wait -1
	global_inv scope:SCOPE_SE
	s_clause 0x3
	global_load_b128 v[96:99], v[65:66], off
	global_load_b128 v[100:103], v[65:66], off offset:512
	global_load_b128 v[111:114], v[162:163], off
	global_load_b128 v[195:198], v[162:163], off offset:512
	v_mul_u32_u24_e32 v65, 0x10001, v174
	v_mul_u32_u24_e32 v66, 0x10001, v215
	;; [unrolled: 1-line block ×5, first 2 shown]
	v_pk_fma_f16 v110, v115, v65, v218
	v_pk_fma_f16 v104, v116, v65, v104
	;; [unrolled: 1-line block ×32, first 2 shown]
	v_mul_u32_u24_e32 v199, 0x10001, v217
	v_pk_fma_f16 v66, v88, v174, v66
	v_pk_fma_f16 v88, v89, v174, v104
	;; [unrolled: 1-line block ×8, first 2 shown]
	v_mul_u32_u24_e32 v200, 0x10001, v214
	v_pk_fma_f16 v66, v80, v199, v66
	v_pk_fma_f16 v80, v81, v199, v88
	;; [unrolled: 1-line block ×16, first 2 shown]
	v_and_b32_e32 v202, 0xffff, v8
	v_lshrrev_b32_e32 v203, 16, v8
	v_and_b32_e32 v204, 0xffff, v9
	v_lshrrev_b32_e32 v205, 16, v9
	;; [unrolled: 2-line block ×4, first 2 shown]
	s_wait_loadcnt 0x3
	ds_store_b128 v156, v[96:99]
	s_wait_loadcnt 0x2
	ds_store_b128 v158, v[100:103]
	;; [unrolled: 2-line block ×4, first 2 shown]
	s_wait_dscnt 0x0
	s_barrier_signal -1
	s_barrier_wait -1
	global_inv scope:SCOPE_SE
	ds_load_2addr_b64 v[8:11], v147 offset1:32
	ds_load_2addr_b64 v[65:68], v147 offset0:64 offset1:96
	ds_load_b128 v[69:72], v155 offset:96
	ds_load_2addr_b64 v[73:76], v147 offset0:128 offset1:160
	ds_load_2addr_b64 v[77:80], v147 offset0:192 offset1:224
	ds_load_2addr_b64 v[81:84], v171 offset1:32
	ds_load_2addr_b64 v[85:88], v171 offset0:64 offset1:96
	ds_load_2addr_b64 v[96:99], v171 offset0:128 offset1:160
	ds_load_2addr_b64 v[100:103], v171 offset0:192 offset1:224
	ds_load_2addr_b64 v[104:107], v170 offset1:32
	ds_load_2addr_b64 v[108:111], v170 offset0:64 offset1:96
	;; [unrolled: 4-line block ×3, first 2 shown]
	ds_load_2addr_b64 v[172:175], v169 offset0:128 offset1:160
	ds_load_2addr_b64 v[176:179], v169 offset0:192 offset1:224
	s_wait_loadcnt_dscnt 0x0
	s_barrier_signal -1
	s_barrier_wait -1
	global_inv scope:SCOPE_SE
	s_clause 0x3
	global_load_b128 v[180:183], v[207:208], off
	global_load_b128 v[184:187], v[207:208], off offset:512
	global_load_b128 v[188:191], v[209:210], off
	global_load_b128 v[192:195], v[209:210], off offset:512
	v_mul_u32_u24_e32 v196, 0x10001, v202
	v_mul_u32_u24_e32 v197, 0x10001, v203
	v_mul_u32_u24_e32 v198, 0x10001, v204
	v_mul_u32_u24_e32 v202, 0x10001, v205
	v_mul_u32_u24_e32 v203, 0x10001, v206
	v_pk_fma_f16 v0, v0, v196, v89
	v_pk_fma_f16 v1, v1, v196, v90
	v_pk_fma_f16 v2, v2, v196, v91
	v_pk_fma_f16 v3, v3, v196, v162
	v_pk_fma_f16 v4, v4, v196, v163
	v_pk_fma_f16 v5, v5, v196, v199
	v_pk_fma_f16 v6, v6, v196, v201
	v_pk_fma_f16 v7, v7, v196, v200
	v_pk_fma_f16 v0, v12, v197, v0
	v_pk_fma_f16 v1, v13, v197, v1
	v_pk_fma_f16 v2, v14, v197, v2
	v_pk_fma_f16 v3, v15, v197, v3
	v_pk_fma_f16 v4, v16, v197, v4
	v_pk_fma_f16 v5, v17, v197, v5
	v_pk_fma_f16 v6, v18, v197, v6
	v_pk_fma_f16 v7, v19, v197, v7
	v_pk_fma_f16 v0, v20, v198, v0
	v_pk_fma_f16 v1, v21, v198, v1
	v_pk_fma_f16 v2, v22, v198, v2
	v_pk_fma_f16 v3, v23, v198, v3
	v_pk_fma_f16 v4, v24, v198, v4
	v_pk_fma_f16 v5, v25, v198, v5
	v_pk_fma_f16 v6, v26, v198, v6
	v_pk_fma_f16 v7, v27, v198, v7
	v_pk_fma_f16 v0, v28, v202, v0
	v_pk_fma_f16 v1, v29, v202, v1
	v_pk_fma_f16 v2, v30, v202, v2
	v_pk_fma_f16 v3, v31, v202, v3
	v_pk_fma_f16 v4, v32, v202, v4
	v_pk_fma_f16 v5, v33, v202, v5
	v_pk_fma_f16 v6, v34, v202, v6
	v_pk_fma_f16 v7, v35, v202, v7
	v_mul_u32_u24_e32 v204, 0x10001, v211
	v_pk_fma_f16 v0, v36, v203, v0
	v_pk_fma_f16 v1, v37, v203, v1
	v_pk_fma_f16 v2, v38, v203, v2
	v_pk_fma_f16 v3, v39, v203, v3
	v_pk_fma_f16 v4, v40, v203, v4
	v_pk_fma_f16 v5, v41, v203, v5
	v_pk_fma_f16 v6, v42, v203, v6
	v_pk_fma_f16 v7, v43, v203, v7
	v_mul_u32_u24_e32 v205, 0x10001, v212
	v_pk_fma_f16 v0, v44, v204, v0
	v_pk_fma_f16 v1, v45, v204, v1
	;; [unrolled: 1-line block ×8, first 2 shown]
	v_mul_u32_u24_e32 v206, 0x10001, v213
	v_pk_fma_f16 v0, v52, v205, v0
	v_pk_fma_f16 v1, v53, v205, v1
	;; [unrolled: 1-line block ×5, first 2 shown]
	v_and_b32_e32 v15, 0xffff, v69
	v_pk_fma_f16 v5, v57, v205, v5
	v_pk_fma_f16 v6, v58, v205, v6
	;; [unrolled: 1-line block ×8, first 2 shown]
	v_lshrrev_b32_e32 v12, 16, v69
	v_mul_u32_u24_e32 v15, 0x10001, v15
	v_pk_fma_f16 v5, v93, v206, v5
	v_pk_fma_f16 v6, v94, v206, v6
	v_pk_fma_f16 v7, v95, v206, v7
	v_and_b32_e32 v17, 0xffff, v70
	v_mul_u32_u24_e32 v12, 0x10001, v12
	v_pk_fma_f16 v0, v8, v15, v0
	v_pk_fma_f16 v1, v9, v15, v1
	v_pk_fma_f16 v2, v10, v15, v2
	v_pk_fma_f16 v3, v11, v15, v3
	v_pk_fma_f16 v4, v65, v15, v4
	v_pk_fma_f16 v5, v66, v15, v5
	v_pk_fma_f16 v6, v67, v15, v6
	v_pk_fma_f16 v7, v68, v15, v7
	v_lshrrev_b32_e32 v13, 16, v70
	v_mul_u32_u24_e32 v17, 0x10001, v17
	v_pk_fma_f16 v0, v73, v12, v0
	v_pk_fma_f16 v1, v74, v12, v1
	v_pk_fma_f16 v2, v75, v12, v2
	v_pk_fma_f16 v3, v76, v12, v3
	v_pk_fma_f16 v4, v77, v12, v4
	v_pk_fma_f16 v5, v78, v12, v5
	v_pk_fma_f16 v6, v79, v12, v6
	v_pk_fma_f16 v7, v80, v12, v7
	v_and_b32_e32 v18, 0xffff, v71
	v_mul_u32_u24_e32 v13, 0x10001, v13
	v_pk_fma_f16 v0, v81, v17, v0
	v_pk_fma_f16 v1, v82, v17, v1
	v_pk_fma_f16 v2, v83, v17, v2
	v_pk_fma_f16 v3, v84, v17, v3
	v_pk_fma_f16 v4, v85, v17, v4
	v_pk_fma_f16 v5, v86, v17, v5
	v_pk_fma_f16 v6, v87, v17, v6
	v_pk_fma_f16 v7, v88, v17, v7
	v_lshrrev_b32_e32 v14, 16, v71
	v_mul_u32_u24_e32 v18, 0x10001, v18
	v_pk_fma_f16 v0, v96, v13, v0
	v_pk_fma_f16 v1, v97, v13, v1
	v_pk_fma_f16 v2, v98, v13, v2
	v_pk_fma_f16 v3, v99, v13, v3
	v_pk_fma_f16 v4, v100, v13, v4
	;; [unrolled: 20-line block ×3, first 2 shown]
	v_pk_fma_f16 v71, v117, v14, v5
	v_pk_fma_f16 v72, v118, v14, v6
	;; [unrolled: 1-line block ×3, first 2 shown]
	v_mul_u32_u24_e32 v70, 0x10001, v16
	v_pk_fma_f16 v74, v120, v69, v0
	v_pk_fma_f16 v75, v121, v69, v1
	;; [unrolled: 1-line block ×16, first 2 shown]
	s_wait_loadcnt 0x3
	ds_store_b128 v156, v[180:183]
	s_wait_loadcnt 0x2
	ds_store_b128 v158, v[184:187]
	;; [unrolled: 2-line block ×4, first 2 shown]
	s_wait_dscnt 0x0
	s_barrier_signal -1
	s_barrier_wait -1
	global_inv scope:SCOPE_SE
	ds_load_2addr_b64 v[0:3], v147 offset1:32
	ds_load_2addr_b64 v[4:7], v147 offset0:64 offset1:96
	ds_load_b128 v[8:11], v155 offset:112
	ds_load_2addr_b64 v[12:15], v147 offset0:128 offset1:160
	ds_load_2addr_b64 v[16:19], v147 offset0:192 offset1:224
	ds_load_2addr_b64 v[20:23], v171 offset1:32
	ds_load_2addr_b64 v[24:27], v171 offset0:64 offset1:96
	ds_load_2addr_b64 v[28:31], v171 offset0:128 offset1:160
	ds_load_2addr_b64 v[32:35], v171 offset0:192 offset1:224
	ds_load_2addr_b64 v[36:39], v170 offset1:32
	ds_load_2addr_b64 v[40:43], v170 offset0:64 offset1:96
	;; [unrolled: 4-line block ×3, first 2 shown]
	ds_load_2addr_b64 v[60:63], v169 offset0:128 offset1:160
	ds_load_2addr_b64 v[65:68], v169 offset0:192 offset1:224
	s_wait_loadcnt_dscnt 0x0
	s_barrier_signal -1
	s_barrier_wait -1
	global_inv scope:SCOPE_SE
	s_load_b32 s11, s[24:25], 0x4
	v_lshrrev_b32_e32 v70, 16, v8
	v_and_b32_e32 v8, 0xffff, v8
	v_lshrrev_b32_e32 v78, 16, v9
	v_and_b32_e32 v9, 0xffff, v9
	v_lshrrev_b32_e32 v79, 16, v10
	v_mul_u32_u24_e32 v70, 0x10001, v70
	v_mul_u32_u24_e32 v8, 0x10001, v8
	v_and_b32_e32 v10, 0xffff, v10
	v_mul_u32_u24_e32 v9, 0x10001, v9
	v_mul_u32_u24_e32 v78, 0x10001, v78
	v_lshrrev_b32_e32 v80, 16, v11
	v_pk_fma_f16 v0, v0, v8, v73
	v_pk_fma_f16 v1, v1, v8, v74
	;; [unrolled: 1-line block ×24, first 2 shown]
	v_mul_u32_u24_e32 v10, 0x10001, v10
	v_pk_fma_f16 v0, v28, v78, v0
	v_pk_fma_f16 v1, v29, v78, v1
	;; [unrolled: 1-line block ×8, first 2 shown]
	v_and_b32_e32 v11, 0xffff, v11
	v_mul_u32_u24_e32 v79, 0x10001, v79
	v_pk_fma_f16 v0, v36, v10, v0
	v_pk_fma_f16 v1, v37, v10, v1
	v_pk_fma_f16 v2, v38, v10, v2
	v_pk_fma_f16 v3, v39, v10, v3
	v_pk_fma_f16 v4, v40, v10, v4
	v_pk_fma_f16 v5, v41, v10, v5
	v_pk_fma_f16 v6, v42, v10, v6
	v_pk_fma_f16 v7, v43, v10, v7
	v_mul_u32_u24_e32 v11, 0x10001, v11
	v_pk_fma_f16 v0, v44, v79, v0
	v_pk_fma_f16 v1, v45, v79, v1
	v_pk_fma_f16 v2, v46, v79, v2
	v_pk_fma_f16 v3, v47, v79, v3
	v_pk_fma_f16 v4, v48, v79, v4
	v_pk_fma_f16 v5, v49, v79, v5
	v_pk_fma_f16 v6, v50, v79, v6
	v_pk_fma_f16 v7, v51, v79, v7
	;; [unrolled: 9-line block ×3, first 2 shown]
	s_wait_kmcnt 0x0
	s_lshl_b32 s11, s11, 6
	v_pk_fma_f16 v88, v60, v80, v0
	v_pk_fma_f16 v163, v61, v80, v1
	;; [unrolled: 1-line block ×8, first 2 shown]
	s_wait_alu 0xfffe
	s_add_co_i32 s10, s11, s10
	s_wait_alu 0xfffe
	s_cmp_ge_i32 s10, s28
	s_cbranch_scc1 .LBB28_21
; %bb.20:                               ;   in Loop: Header=BB28_11 Depth=1
	v_dual_mov_b32 v91, v139 :: v_dual_mov_b32 v162, v64
	s_branch .LBB28_11
.LBB28_21:
	v_dual_mov_b32 v1, 32 :: v_dual_mov_b32 v2, v148
.LBB28_22:
	s_delay_alu instid0(VALU_DEP_1)
	v_cmp_lt_i32_e32 vcc_lo, v165, v1
	s_cmp_lg_u64 s[12:13], 0
	s_cselect_b32 s3, -1, 0
	s_cmp_eq_u32 s4, 0
	s_wait_alu 0xfffd
	v_cndmask_b32_e32 v0, v2, v165, vcc_lo
	v_cmp_lt_i32_e32 vcc_lo, v164, v1
	s_cselect_b32 s5, -1, 0
	s_wait_alu 0xfffe
	s_and_b32 s3, s5, s3
	s_wait_alu 0xfffd
	v_cndmask_b32_e32 v3, v2, v164, vcc_lo
	v_cmp_lt_i32_e32 vcc_lo, v166, v1
	s_delay_alu instid0(VALU_DEP_2)
	v_lshlrev_b32_e32 v3, 2, v3
	v_lshlrev_b32_e32 v0, 2, v0
	s_wait_alu 0xfffd
	v_cndmask_b32_e32 v4, v2, v166, vcc_lo
	v_cmp_lt_i32_e32 vcc_lo, v167, v1
	ds_bpermute_b32 v0, v0, v64
	v_lshlrev_b32_e32 v4, 2, v4
	s_wait_dscnt 0x0
	v_add_f32_e32 v0, v64, v0
	ds_bpermute_b32 v3, v3, v0
	s_wait_dscnt 0x0
	v_add_f32_e32 v0, v0, v3
	ds_bpermute_b32 v3, v4, v0
	s_wait_alu 0xfffd
	v_cndmask_b32_e32 v4, v2, v167, vcc_lo
	v_cmp_lt_i32_e32 vcc_lo, v168, v1
	s_delay_alu instid0(VALU_DEP_2)
	v_lshlrev_b32_e32 v4, 2, v4
	s_wait_alu 0xfffd
	v_cndmask_b32_e32 v1, v2, v168, vcc_lo
	s_wait_alu 0xfffe
	s_and_b32 vcc_lo, exec_lo, s3
	s_wait_dscnt 0x0
	s_delay_alu instid0(VALU_DEP_1)
	v_dual_add_f32 v0, v0, v3 :: v_dual_lshlrev_b32 v1, 2, v1
	ds_bpermute_b32 v3, v4, v0
	s_wait_dscnt 0x0
	v_add_f32_e32 v2, v0, v3
	v_add_nc_u32_e32 v0, s33, v145
	ds_bpermute_b32 v1, v1, v2
	s_wait_dscnt 0x0
	v_add_f32_e32 v140, v2, v1
	s_wait_alu 0xfffe
	s_cbranch_vccz .LBB28_24
; %bb.23:
	v_ashrrev_i32_e32 v1, 31, v0
	s_delay_alu instid0(VALU_DEP_1) | instskip(NEXT) | instid1(VALU_DEP_1)
	v_lshlrev_b64_e32 v[1:2], 2, v[0:1]
	v_add_co_u32 v1, vcc_lo, s12, v1
	s_wait_alu 0xfffd
	s_delay_alu instid0(VALU_DEP_2) | instskip(SKIP_3) | instid1(VALU_DEP_1)
	v_add_co_ci_u32_e64 v2, null, s13, v2, vcc_lo
	global_load_b32 v1, v[1:2], off
	s_wait_loadcnt 0x0
	v_dual_max_num_f32 v2, v139, v139 :: v_dual_max_num_f32 v3, v1, v1
	v_max_num_f32_e32 v2, v2, v3
	s_delay_alu instid0(VALU_DEP_1) | instskip(NEXT) | instid1(VALU_DEP_1)
	v_sub_f32_e32 v1, v1, v2
	v_mul_f32_e32 v7, 0x3fb8aa3b, v1
	v_sub_f32_e32 v3, v139, v2
	v_mov_b32_e32 v139, v2
	s_delay_alu instid0(VALU_DEP_3) | instskip(NEXT) | instid1(VALU_DEP_3)
	v_rndne_f32_e32 v9, v7
	v_mul_f32_e32 v4, 0x3fb8aa3b, v3
	s_delay_alu instid0(VALU_DEP_1) | instskip(SKIP_1) | instid1(VALU_DEP_1)
	v_fma_f32 v5, 0x3fb8aa3b, v3, -v4
	v_rndne_f32_e32 v6, v4
	v_dual_fmac_f32 v5, 0x32a5705f, v3 :: v_dual_sub_f32 v4, v4, v6
	v_cvt_i32_f32_e32 v6, v6
	s_delay_alu instid0(VALU_DEP_2) | instskip(SKIP_2) | instid1(VALU_DEP_3)
	v_add_f32_e32 v4, v4, v5
	v_cmp_ngt_f32_e32 vcc_lo, 0xc2ce8ed0, v3
	v_sub_f32_e32 v5, v7, v9
	v_exp_f32_e32 v4, v4
	s_delay_alu instid0(TRANS32_DEP_1) | instskip(SKIP_2) | instid1(VALU_DEP_2)
	v_ldexp_f32 v4, v4, v6
	v_cvt_i32_f32_e32 v6, v9
	s_wait_alu 0xfffd
	v_cndmask_b32_e32 v4, 0, v4, vcc_lo
	v_fma_f32 v8, 0x3fb8aa3b, v1, -v7
	v_cmp_nlt_f32_e32 vcc_lo, 0x42b17218, v3
	s_wait_alu 0xfffd
	s_delay_alu instid0(VALU_DEP_3) | instskip(NEXT) | instid1(VALU_DEP_3)
	v_cndmask_b32_e32 v3, 0x7f800000, v4, vcc_lo
	v_fmac_f32_e32 v8, 0x32a5705f, v1
	v_cmp_ngt_f32_e32 vcc_lo, 0xc2ce8ed0, v1
	s_delay_alu instid0(VALU_DEP_2) | instskip(NEXT) | instid1(VALU_DEP_1)
	v_add_f32_e32 v5, v5, v8
	v_exp_f32_e32 v5, v5
	s_delay_alu instid0(TRANS32_DEP_1) | instskip(SKIP_1) | instid1(VALU_DEP_1)
	v_ldexp_f32 v5, v5, v6
	s_wait_alu 0xfffd
	v_cndmask_b32_e32 v4, 0, v5, vcc_lo
	v_cmp_nlt_f32_e32 vcc_lo, 0x42b17218, v1
	s_wait_alu 0xfffd
	s_delay_alu instid0(VALU_DEP_2) | instskip(NEXT) | instid1(VALU_DEP_1)
	v_cndmask_b32_e32 v1, 0x7f800000, v4, vcc_lo
	v_fmac_f32_e32 v1, v140, v3
	s_delay_alu instid0(VALU_DEP_1) | instskip(SKIP_1) | instid1(VALU_DEP_1)
	v_mov_b32_e32 v140, v1
	v_cvt_f16_f32_e32 v5, v3
	v_and_b32_e32 v4, 0xffff, v5
	s_delay_alu instid0(VALU_DEP_1) | instskip(NEXT) | instid1(VALU_DEP_1)
	v_mul_u32_u24_e32 v3, 0x10001, v4
	v_pk_mul_f16 v88, v88, v3
	v_pk_mul_f16 v163, v163, v3
	;; [unrolled: 1-line block ×8, first 2 shown]
.LBB28_24:
	s_load_b32 s1, s[0:1], 0xd4
	v_mad_co_u64_u32 v[1:2], null, s2, s22, v[124:125]
	v_div_scale_f32 v3, null, v140, v140, 1.0
	v_div_scale_f32 v5, vcc_lo, 1.0, v140, 1.0
	v_lshrrev_b32_e32 v6, 16, v163
	s_delay_alu instid0(VALU_DEP_3) | instskip(NEXT) | instid1(VALU_DEP_4)
	v_rcp_f32_e32 v4, v3
	v_mad_co_u64_u32 v[0:1], null, v1, s23, v[0:1]
	v_lshrrev_b32_e32 v10, 16, v90
	v_lshrrev_b32_e32 v12, 16, v89
	v_cvt_f32_f16_e64 v7, v163
	v_cvt_f32_f16_e32 v8, v88
	v_cvt_f32_f16_e32 v11, v90
	;; [unrolled: 1-line block ×3, first 2 shown]
	v_lshrrev_b32_e32 v16, 16, v87
	s_delay_alu instid0(TRANS32_DEP_1)
	v_fma_f32 v2, -v3, v4, 1.0
	v_cvt_f32_f16_e32 v6, v6
	s_wait_kmcnt 0x0
	v_mad_co_u64_u32 v[0:1], null, s1, v0, s[4:5]
	s_cmp_lg_u32 s1, 1
	v_cvt_f32_f16_e32 v10, v10
	s_cselect_b32 s1, -1, 0
	v_lshrrev_b32_e32 v21, 16, v86
	v_lshrrev_b32_e32 v23, 16, v84
	;; [unrolled: 1-line block ×3, first 2 shown]
	v_lshl_add_u32 v13, v0, 9, v144
	v_fmac_f32_e32 v4, v2, v4
	v_mov_b32_e32 v14, 0
	v_lshrrev_b32_e32 v2, 16, v88
	v_cvt_f32_f16_e32 v21, v21
	v_cvt_f32_f16_e32 v27, v24
	v_mul_f32_e32 v9, v5, v4
	v_cvt_f32_f16_e32 v26, v84
	v_cvt_f32_f16_e32 v22, v2
	;; [unrolled: 1-line block ×3, first 2 shown]
	v_cmp_eq_u32_e64 s0, 0, v125
	v_fma_f32 v1, -v3, v9, v5
	v_mov_b32_e32 v2, v14
	s_wait_alu 0xfffe
	s_and_b32 s0, s0, s1
	s_delay_alu instid0(VALU_DEP_2) | instskip(SKIP_1) | instid1(VALU_DEP_2)
	v_fmac_f32_e32 v9, v1, v4
	v_add_nc_u32_e32 v1, 0x80, v13
	v_fma_f32 v3, -v3, v9, v5
	s_delay_alu instid0(VALU_DEP_2) | instskip(SKIP_1) | instid1(VALU_DEP_2)
	v_lshlrev_b64_e32 v[1:2], 2, v[1:2]
	s_wait_alu 0xfffd
	v_div_fmas_f32 v5, v3, v4, v9
	v_lshlrev_b64_e32 v[3:4], 2, v[13:14]
	v_cvt_f32_f16_e32 v9, v12
	s_delay_alu instid0(VALU_DEP_3) | instskip(NEXT) | instid1(VALU_DEP_3)
	v_div_fixup_f32 v5, v5, v140, 1.0
	v_add_co_u32 v17, vcc_lo, s16, v3
	s_wait_alu 0xfffd
	s_delay_alu instid0(VALU_DEP_4) | instskip(NEXT) | instid1(VALU_DEP_3)
	v_add_co_ci_u32_e64 v18, null, s17, v4, vcc_lo
	v_cndmask_b32_e64 v25, v5, 1.0, s1
	v_add_co_u32 v19, vcc_lo, s16, v1
	s_wait_alu 0xfffd
	v_add_co_ci_u32_e64 v20, null, s17, v2, vcc_lo
	s_delay_alu instid0(VALU_DEP_3)
	v_mul_f32_e32 v4, v25, v6
	v_mul_f32_e32 v3, v25, v7
	;; [unrolled: 1-line block ×7, first 2 shown]
	v_cvt_f32_f16_e32 v11, v16
	v_cvt_f32_f16_e32 v15, v87
	v_dual_mov_b32 v10, v14 :: v_dual_add_nc_u32 v9, 0x100, v13
	v_dual_mul_f32 v2, v25, v22 :: v_dual_add_nc_u32 v13, 0x180, v13
	s_delay_alu instid0(VALU_DEP_4) | instskip(NEXT) | instid1(VALU_DEP_4)
	v_mul_f32_e32 v12, v25, v11
	v_mul_f32_e32 v11, v25, v15
	s_delay_alu instid0(VALU_DEP_4)
	v_lshlrev_b64_e32 v[15:16], 2, v[9:10]
	v_mul_f32_e32 v10, v25, v21
	v_cvt_f32_f16_e32 v22, v86
	s_clause 0x1
	global_store_b128 v[17:18], v[1:4], off
	global_store_b128 v[19:20], v[5:8], off
	v_add_co_u32 v21, vcc_lo, s16, v15
	v_cvt_f32_f16_e32 v15, v23
	v_lshlrev_b64_e32 v[23:24], 2, v[13:14]
	v_mul_f32_e32 v9, v25, v22
	s_wait_alu 0xfffd
	v_add_co_ci_u32_e64 v22, null, s17, v16, vcc_lo
	v_mul_f32_e32 v16, v25, v15
	v_mul_f32_e32 v15, v25, v26
	v_add_co_u32 v23, vcc_lo, s16, v23
	v_mul_f32_e32 v14, v25, v27
	v_mul_f32_e32 v13, v25, v28
	s_wait_alu 0xfffd
	v_add_co_ci_u32_e64 v24, null, s17, v24, vcc_lo
	s_clause 0x1
	global_store_b128 v[21:22], v[9:12], off
	global_store_b128 v[23:24], v[13:16], off
	s_wait_alu 0xfffe
	s_and_saveexec_b32 s1, s0
	s_cbranch_execz .LBB28_26
; %bb.25:
	v_ashrrev_i32_e32 v1, 31, v0
	s_delay_alu instid0(VALU_DEP_1) | instskip(NEXT) | instid1(VALU_DEP_1)
	v_lshlrev_b64_e32 v[0:1], 3, v[0:1]
	v_add_co_u32 v0, vcc_lo, s18, v0
	s_wait_alu 0xfffd
	s_delay_alu instid0(VALU_DEP_2)
	v_add_co_ci_u32_e64 v1, null, s19, v1, vcc_lo
	global_store_b64 v[0:1], v[139:140], off
.LBB28_26:
	s_nop 0
	s_sendmsg sendmsg(MSG_DEALLOC_VGPRS)
	s_endpgm
	.section	.rodata,"a",@progbits
	.p2align	6, 0x0
	.amdhsa_kernel _ZL15flash_attn_tileILi576ELi512ELi1ELi4ELb1EEvPKcS1_S1_S1_S1_PKiPfP15HIP_vector_typeIfLj2EEffffjfiS5_IjLj3EEiiiiiiiiiiiliiliiiiil
		.amdhsa_group_segment_fixed_size 14336
		.amdhsa_private_segment_fixed_size 0
		.amdhsa_kernarg_size 464
		.amdhsa_user_sgpr_count 2
		.amdhsa_user_sgpr_dispatch_ptr 0
		.amdhsa_user_sgpr_queue_ptr 0
		.amdhsa_user_sgpr_kernarg_segment_ptr 1
		.amdhsa_user_sgpr_dispatch_id 0
		.amdhsa_user_sgpr_private_segment_size 0
		.amdhsa_wavefront_size32 1
		.amdhsa_uses_dynamic_stack 0
		.amdhsa_enable_private_segment 0
		.amdhsa_system_sgpr_workgroup_id_x 1
		.amdhsa_system_sgpr_workgroup_id_y 1
		.amdhsa_system_sgpr_workgroup_id_z 1
		.amdhsa_system_sgpr_workgroup_info 0
		.amdhsa_system_vgpr_workitem_id 1
		.amdhsa_next_free_vgpr 239
		.amdhsa_next_free_sgpr 43
		.amdhsa_reserve_vcc 1
		.amdhsa_float_round_mode_32 0
		.amdhsa_float_round_mode_16_64 0
		.amdhsa_float_denorm_mode_32 3
		.amdhsa_float_denorm_mode_16_64 3
		.amdhsa_fp16_overflow 0
		.amdhsa_workgroup_processor_mode 1
		.amdhsa_memory_ordered 1
		.amdhsa_forward_progress 1
		.amdhsa_inst_pref_size 132
		.amdhsa_round_robin_scheduling 0
		.amdhsa_exception_fp_ieee_invalid_op 0
		.amdhsa_exception_fp_denorm_src 0
		.amdhsa_exception_fp_ieee_div_zero 0
		.amdhsa_exception_fp_ieee_overflow 0
		.amdhsa_exception_fp_ieee_underflow 0
		.amdhsa_exception_fp_ieee_inexact 0
		.amdhsa_exception_int_div_zero 0
	.end_amdhsa_kernel
	.section	.text._ZL15flash_attn_tileILi576ELi512ELi1ELi4ELb1EEvPKcS1_S1_S1_S1_PKiPfP15HIP_vector_typeIfLj2EEffffjfiS5_IjLj3EEiiiiiiiiiiiliiliiiiil,"axG",@progbits,_ZL15flash_attn_tileILi576ELi512ELi1ELi4ELb1EEvPKcS1_S1_S1_S1_PKiPfP15HIP_vector_typeIfLj2EEffffjfiS5_IjLj3EEiiiiiiiiiiiliiliiiiil,comdat
.Lfunc_end28:
	.size	_ZL15flash_attn_tileILi576ELi512ELi1ELi4ELb1EEvPKcS1_S1_S1_S1_PKiPfP15HIP_vector_typeIfLj2EEffffjfiS5_IjLj3EEiiiiiiiiiiiliiliiiiil, .Lfunc_end28-_ZL15flash_attn_tileILi576ELi512ELi1ELi4ELb1EEvPKcS1_S1_S1_S1_PKiPfP15HIP_vector_typeIfLj2EEffffjfiS5_IjLj3EEiiiiiiiiiiiliiliiiiil
                                        ; -- End function
	.set _ZL15flash_attn_tileILi576ELi512ELi1ELi4ELb1EEvPKcS1_S1_S1_S1_PKiPfP15HIP_vector_typeIfLj2EEffffjfiS5_IjLj3EEiiiiiiiiiiiliiliiiiil.num_vgpr, 239
	.set _ZL15flash_attn_tileILi576ELi512ELi1ELi4ELb1EEvPKcS1_S1_S1_S1_PKiPfP15HIP_vector_typeIfLj2EEffffjfiS5_IjLj3EEiiiiiiiiiiiliiliiiiil.num_agpr, 0
	.set _ZL15flash_attn_tileILi576ELi512ELi1ELi4ELb1EEvPKcS1_S1_S1_S1_PKiPfP15HIP_vector_typeIfLj2EEffffjfiS5_IjLj3EEiiiiiiiiiiiliiliiiiil.numbered_sgpr, 43
	.set _ZL15flash_attn_tileILi576ELi512ELi1ELi4ELb1EEvPKcS1_S1_S1_S1_PKiPfP15HIP_vector_typeIfLj2EEffffjfiS5_IjLj3EEiiiiiiiiiiiliiliiiiil.num_named_barrier, 0
	.set _ZL15flash_attn_tileILi576ELi512ELi1ELi4ELb1EEvPKcS1_S1_S1_S1_PKiPfP15HIP_vector_typeIfLj2EEffffjfiS5_IjLj3EEiiiiiiiiiiiliiliiiiil.private_seg_size, 0
	.set _ZL15flash_attn_tileILi576ELi512ELi1ELi4ELb1EEvPKcS1_S1_S1_S1_PKiPfP15HIP_vector_typeIfLj2EEffffjfiS5_IjLj3EEiiiiiiiiiiiliiliiiiil.uses_vcc, 1
	.set _ZL15flash_attn_tileILi576ELi512ELi1ELi4ELb1EEvPKcS1_S1_S1_S1_PKiPfP15HIP_vector_typeIfLj2EEffffjfiS5_IjLj3EEiiiiiiiiiiiliiliiiiil.uses_flat_scratch, 0
	.set _ZL15flash_attn_tileILi576ELi512ELi1ELi4ELb1EEvPKcS1_S1_S1_S1_PKiPfP15HIP_vector_typeIfLj2EEffffjfiS5_IjLj3EEiiiiiiiiiiiliiliiiiil.has_dyn_sized_stack, 0
	.set _ZL15flash_attn_tileILi576ELi512ELi1ELi4ELb1EEvPKcS1_S1_S1_S1_PKiPfP15HIP_vector_typeIfLj2EEffffjfiS5_IjLj3EEiiiiiiiiiiiliiliiiiil.has_recursion, 0
	.set _ZL15flash_attn_tileILi576ELi512ELi1ELi4ELb1EEvPKcS1_S1_S1_S1_PKiPfP15HIP_vector_typeIfLj2EEffffjfiS5_IjLj3EEiiiiiiiiiiiliiliiiiil.has_indirect_call, 0
	.section	.AMDGPU.csdata,"",@progbits
; Kernel info:
; codeLenInByte = 16780
; TotalNumSgprs: 45
; NumVgprs: 239
; ScratchSize: 0
; MemoryBound: 0
; FloatMode: 240
; IeeeMode: 1
; LDSByteSize: 14336 bytes/workgroup (compile time only)
; SGPRBlocks: 0
; VGPRBlocks: 29
; NumSGPRsForWavesPerEU: 45
; NumVGPRsForWavesPerEU: 239
; Occupancy: 6
; WaveLimiterHint : 1
; COMPUTE_PGM_RSRC2:SCRATCH_EN: 0
; COMPUTE_PGM_RSRC2:USER_SGPR: 2
; COMPUTE_PGM_RSRC2:TRAP_HANDLER: 0
; COMPUTE_PGM_RSRC2:TGID_X_EN: 1
; COMPUTE_PGM_RSRC2:TGID_Y_EN: 1
; COMPUTE_PGM_RSRC2:TGID_Z_EN: 1
; COMPUTE_PGM_RSRC2:TIDIG_COMP_CNT: 1
	.section	.AMDGPU.gpr_maximums,"",@progbits
	.set amdgpu.max_num_vgpr, 0
	.set amdgpu.max_num_agpr, 0
	.set amdgpu.max_num_sgpr, 0
	.section	.AMDGPU.csdata,"",@progbits
	.type	__hip_cuid_f9aee7a869a097fa,@object ; @__hip_cuid_f9aee7a869a097fa
	.section	.bss,"aw",@nobits
	.globl	__hip_cuid_f9aee7a869a097fa
__hip_cuid_f9aee7a869a097fa:
	.byte	0                               ; 0x0
	.size	__hip_cuid_f9aee7a869a097fa, 1

	.ident	"AMD clang version 22.0.0git (https://github.com/RadeonOpenCompute/llvm-project roc-7.2.4 26084 f58b06dce1f9c15707c5f808fd002e18c2accf7e)"
	.section	".note.GNU-stack","",@progbits
	.addrsig
	.addrsig_sym __hip_cuid_f9aee7a869a097fa
	.amdgpu_metadata
---
amdhsa.kernels:
  - .args:
      - .address_space:  global
        .offset:         0
        .size:           8
        .value_kind:     global_buffer
      - .address_space:  global
        .offset:         8
        .size:           8
        .value_kind:     global_buffer
      - .address_space:  global
        .offset:         16
        .size:           8
        .value_kind:     global_buffer
      - .address_space:  global
        .offset:         24
        .size:           8
        .value_kind:     global_buffer
      - .address_space:  global
        .offset:         32
        .size:           8
        .value_kind:     global_buffer
      - .address_space:  global
        .offset:         40
        .size:           8
        .value_kind:     global_buffer
      - .address_space:  global
        .offset:         48
        .size:           8
        .value_kind:     global_buffer
      - .address_space:  global
        .offset:         56
        .size:           8
        .value_kind:     global_buffer
      - .offset:         64
        .size:           4
        .value_kind:     by_value
      - .offset:         68
        .size:           4
        .value_kind:     by_value
      - .offset:         72
        .size:           4
        .value_kind:     by_value
      - .offset:         76
        .size:           4
        .value_kind:     by_value
      - .offset:         80
        .size:           4
        .value_kind:     by_value
      - .offset:         84
        .size:           4
        .value_kind:     by_value
      - .offset:         88
        .size:           4
        .value_kind:     by_value
      - .offset:         92
        .size:           12
        .value_kind:     by_value
      - .offset:         104
        .size:           4
        .value_kind:     by_value
      - .offset:         108
        .size:           4
        .value_kind:     by_value
      - .offset:         112
        .size:           4
        .value_kind:     by_value
      - .offset:         116
        .size:           4
        .value_kind:     by_value
      - .offset:         120
        .size:           4
        .value_kind:     by_value
      - .offset:         124
        .size:           4
        .value_kind:     by_value
      - .offset:         128
        .size:           4
        .value_kind:     by_value
      - .offset:         132
        .size:           4
        .value_kind:     by_value
      - .offset:         136
        .size:           4
        .value_kind:     by_value
      - .offset:         140
        .size:           4
        .value_kind:     by_value
      - .offset:         144
        .size:           4
        .value_kind:     by_value
      - .offset:         152
        .size:           8
        .value_kind:     by_value
      - .offset:         160
        .size:           4
        .value_kind:     by_value
      - .offset:         164
        .size:           4
        .value_kind:     by_value
      - .offset:         168
        .size:           8
        .value_kind:     by_value
      - .offset:         176
        .size:           4
        .value_kind:     by_value
      - .offset:         180
        .size:           4
        .value_kind:     by_value
      - .offset:         184
        .size:           4
        .value_kind:     by_value
      - .offset:         188
        .size:           4
        .value_kind:     by_value
      - .offset:         192
        .size:           4
        .value_kind:     by_value
      - .offset:         200
        .size:           8
        .value_kind:     by_value
      - .offset:         208
        .size:           4
        .value_kind:     hidden_block_count_x
      - .offset:         212
        .size:           4
        .value_kind:     hidden_block_count_y
      - .offset:         216
        .size:           4
        .value_kind:     hidden_block_count_z
      - .offset:         220
        .size:           2
        .value_kind:     hidden_group_size_x
      - .offset:         222
        .size:           2
        .value_kind:     hidden_group_size_y
      - .offset:         224
        .size:           2
        .value_kind:     hidden_group_size_z
      - .offset:         226
        .size:           2
        .value_kind:     hidden_remainder_x
      - .offset:         228
        .size:           2
        .value_kind:     hidden_remainder_y
      - .offset:         230
        .size:           2
        .value_kind:     hidden_remainder_z
      - .offset:         248
        .size:           8
        .value_kind:     hidden_global_offset_x
      - .offset:         256
        .size:           8
        .value_kind:     hidden_global_offset_y
      - .offset:         264
        .size:           8
        .value_kind:     hidden_global_offset_z
      - .offset:         272
        .size:           2
        .value_kind:     hidden_grid_dims
    .group_segment_fixed_size: 63488
    .kernarg_segment_align: 8
    .kernarg_segment_size: 464
    .language:       OpenCL C
    .language_version:
      - 2
      - 0
    .max_flat_workgroup_size: 256
    .name:           _ZL15flash_attn_tileILi576ELi512ELi2ELi16ELb0EEvPKcS1_S1_S1_S1_PKiPfP15HIP_vector_typeIfLj2EEffffjfiS5_IjLj3EEiiiiiiiiiiiliiliiiiil
    .private_segment_fixed_size: 0
    .sgpr_count:     45
    .sgpr_spill_count: 0
    .symbol:         _ZL15flash_attn_tileILi576ELi512ELi2ELi16ELb0EEvPKcS1_S1_S1_S1_PKiPfP15HIP_vector_typeIfLj2EEffffjfiS5_IjLj3EEiiiiiiiiiiiliiliiiiil.kd
    .uniform_work_group_size: 1
    .uses_dynamic_stack: false
    .vgpr_count:     191
    .vgpr_spill_count: 0
    .wavefront_size: 32
    .workgroup_processor_mode: 1
  - .args:
      - .actual_access:  read_only
        .address_space:  global
        .offset:         0
        .size:           8
        .value_kind:     global_buffer
      - .actual_access:  write_only
        .address_space:  global
        .offset:         8
        .size:           8
        .value_kind:     global_buffer
      - .offset:         16
        .size:           4
        .value_kind:     by_value
      - .offset:         20
        .size:           4
        .value_kind:     by_value
      - .offset:         24
        .size:           4
        .value_kind:     by_value
      - .offset:         32
        .size:           4
        .value_kind:     hidden_block_count_x
      - .offset:         36
        .size:           4
        .value_kind:     hidden_block_count_y
      - .offset:         40
        .size:           4
        .value_kind:     hidden_block_count_z
      - .offset:         44
        .size:           2
        .value_kind:     hidden_group_size_x
      - .offset:         46
        .size:           2
        .value_kind:     hidden_group_size_y
      - .offset:         48
        .size:           2
        .value_kind:     hidden_group_size_z
      - .offset:         50
        .size:           2
        .value_kind:     hidden_remainder_x
      - .offset:         52
        .size:           2
        .value_kind:     hidden_remainder_y
      - .offset:         54
        .size:           2
        .value_kind:     hidden_remainder_z
      - .offset:         72
        .size:           8
        .value_kind:     hidden_global_offset_x
      - .offset:         80
        .size:           8
        .value_kind:     hidden_global_offset_y
      - .offset:         88
        .size:           8
        .value_kind:     hidden_global_offset_z
      - .offset:         96
        .size:           2
        .value_kind:     hidden_grid_dims
    .group_segment_fixed_size: 128
    .kernarg_segment_align: 8
    .kernarg_segment_size: 288
    .language:       OpenCL C
    .language_version:
      - 2
      - 0
    .max_flat_workgroup_size: 128
    .name:           _ZL25flash_attn_mask_to_KV_maxILi2EEvPK7__half2Piiii
    .private_segment_fixed_size: 0
    .sgpr_count:     15
    .sgpr_spill_count: 0
    .symbol:         _ZL25flash_attn_mask_to_KV_maxILi2EEvPK7__half2Piiii.kd
    .uniform_work_group_size: 1
    .uses_dynamic_stack: false
    .vgpr_count:     7
    .vgpr_spill_count: 0
    .wavefront_size: 32
    .workgroup_processor_mode: 1
  - .args:
      - .address_space:  global
        .offset:         0
        .size:           8
        .value_kind:     global_buffer
      - .address_space:  global
        .offset:         8
        .size:           8
        .value_kind:     global_buffer
      - .offset:         16
        .size:           4
        .value_kind:     by_value
      - .offset:         20
        .size:           4
        .value_kind:     by_value
      - .offset:         24
        .size:           4
        .value_kind:     by_value
      - .offset:         28
        .size:           4
        .value_kind:     by_value
      - .offset:         32
        .size:           4
        .value_kind:     by_value
      - .offset:         36
        .size:           4
        .value_kind:     by_value
      - .offset:         40
        .size:           12
        .value_kind:     by_value
      - .offset:         52
        .size:           12
        .value_kind:     by_value
      - .offset:         64
        .size:           12
        .value_kind:     by_value
    .group_segment_fixed_size: 0
    .kernarg_segment_align: 8
    .kernarg_segment_size: 76
    .language:       OpenCL C
    .language_version:
      - 2
      - 0
    .max_flat_workgroup_size: 512
    .name:           _ZL33flash_attn_stream_k_fixup_uniformILi512ELi2ELi16EEvPfPK15HIP_vector_typeIfLj2EEiiiiiiS1_IjLj3EES5_S5_
    .private_segment_fixed_size: 0
    .sgpr_count:     18
    .sgpr_spill_count: 0
    .symbol:         _ZL33flash_attn_stream_k_fixup_uniformILi512ELi2ELi16EEvPfPK15HIP_vector_typeIfLj2EEiiiiiiS1_IjLj3EES5_S5_.kd
    .uniform_work_group_size: 1
    .uses_dynamic_stack: false
    .vgpr_count:     11
    .vgpr_spill_count: 0
    .wavefront_size: 32
    .workgroup_processor_mode: 1
  - .args:
      - .address_space:  global
        .offset:         0
        .size:           8
        .value_kind:     global_buffer
      - .address_space:  global
        .offset:         8
        .size:           8
        .value_kind:     global_buffer
      - .offset:         16
        .size:           4
        .value_kind:     by_value
      - .offset:         20
        .size:           4
        .value_kind:     by_value
      - .offset:         24
        .size:           4
        .value_kind:     by_value
      - .offset:         28
        .size:           4
        .value_kind:     by_value
      - .offset:         32
        .size:           12
        .value_kind:     by_value
      - .offset:         44
        .size:           12
        .value_kind:     by_value
      - .offset:         56
        .size:           12
        .value_kind:     by_value
      - .offset:         68
        .size:           12
        .value_kind:     by_value
      - .offset:         80
        .size:           4
        .value_kind:     hidden_block_count_x
      - .offset:         84
        .size:           4
        .value_kind:     hidden_block_count_y
      - .offset:         88
        .size:           4
        .value_kind:     hidden_block_count_z
      - .offset:         92
        .size:           2
        .value_kind:     hidden_group_size_x
      - .offset:         94
        .size:           2
        .value_kind:     hidden_group_size_y
      - .offset:         96
        .size:           2
        .value_kind:     hidden_group_size_z
      - .offset:         98
        .size:           2
        .value_kind:     hidden_remainder_x
      - .offset:         100
        .size:           2
        .value_kind:     hidden_remainder_y
      - .offset:         102
        .size:           2
        .value_kind:     hidden_remainder_z
      - .offset:         120
        .size:           8
        .value_kind:     hidden_global_offset_x
      - .offset:         128
        .size:           8
        .value_kind:     hidden_global_offset_y
      - .offset:         136
        .size:           8
        .value_kind:     hidden_global_offset_z
      - .offset:         144
        .size:           2
        .value_kind:     hidden_grid_dims
    .group_segment_fixed_size: 0
    .kernarg_segment_align: 8
    .kernarg_segment_size: 336
    .language:       OpenCL C
    .language_version:
      - 2
      - 0
    .max_flat_workgroup_size: 512
    .name:           _ZL33flash_attn_stream_k_fixup_generalILi512ELi2ELi16EEvPfPK15HIP_vector_typeIfLj2EEiiiiS1_IjLj3EES5_S5_S5_
    .private_segment_fixed_size: 0
    .sgpr_count:     46
    .sgpr_spill_count: 0
    .symbol:         _ZL33flash_attn_stream_k_fixup_generalILi512ELi2ELi16EEvPfPK15HIP_vector_typeIfLj2EEiiiiS1_IjLj3EES5_S5_S5_.kd
    .uniform_work_group_size: 1
    .uses_dynamic_stack: false
    .vgpr_count:     9
    .vgpr_spill_count: 0
    .wavefront_size: 32
    .workgroup_processor_mode: 1
  - .args:
      - .address_space:  global
        .offset:         0
        .size:           8
        .value_kind:     global_buffer
      - .address_space:  global
        .offset:         8
        .size:           8
        .value_kind:     global_buffer
      - .address_space:  global
        .offset:         16
        .size:           8
        .value_kind:     global_buffer
      - .offset:         24
        .size:           4
        .value_kind:     by_value
      - .offset:         32
        .size:           4
        .value_kind:     hidden_block_count_x
      - .offset:         36
        .size:           4
        .value_kind:     hidden_block_count_y
      - .offset:         40
        .size:           4
        .value_kind:     hidden_block_count_z
      - .offset:         44
        .size:           2
        .value_kind:     hidden_group_size_x
      - .offset:         46
        .size:           2
        .value_kind:     hidden_group_size_y
      - .offset:         48
        .size:           2
        .value_kind:     hidden_group_size_z
      - .offset:         50
        .size:           2
        .value_kind:     hidden_remainder_x
      - .offset:         52
        .size:           2
        .value_kind:     hidden_remainder_y
      - .offset:         54
        .size:           2
        .value_kind:     hidden_remainder_z
      - .offset:         72
        .size:           8
        .value_kind:     hidden_global_offset_x
      - .offset:         80
        .size:           8
        .value_kind:     hidden_global_offset_y
      - .offset:         88
        .size:           8
        .value_kind:     hidden_global_offset_z
      - .offset:         96
        .size:           2
        .value_kind:     hidden_grid_dims
      - .offset:         152
        .size:           4
        .value_kind:     hidden_dynamic_lds_size
    .group_segment_fixed_size: 0
    .kernarg_segment_align: 8
    .kernarg_segment_size: 288
    .language:       OpenCL C
    .language_version:
      - 2
      - 0
    .max_flat_workgroup_size: 512
    .name:           _ZL26flash_attn_combine_resultsILi512EEvPKfPK15HIP_vector_typeIfLj2EEPfi
    .private_segment_fixed_size: 0
    .sgpr_count:     18
    .sgpr_spill_count: 0
    .symbol:         _ZL26flash_attn_combine_resultsILi512EEvPKfPK15HIP_vector_typeIfLj2EEPfi.kd
    .uniform_work_group_size: 1
    .uses_dynamic_stack: false
    .vgpr_count:     55
    .vgpr_spill_count: 0
    .wavefront_size: 32
    .workgroup_processor_mode: 1
  - .args:
      - .address_space:  global
        .offset:         0
        .size:           8
        .value_kind:     global_buffer
      - .address_space:  global
        .offset:         8
        .size:           8
        .value_kind:     global_buffer
      - .address_space:  global
        .offset:         16
        .size:           8
        .value_kind:     global_buffer
      - .address_space:  global
        .offset:         24
        .size:           8
        .value_kind:     global_buffer
      - .address_space:  global
        .offset:         32
        .size:           8
        .value_kind:     global_buffer
      - .address_space:  global
        .offset:         40
        .size:           8
        .value_kind:     global_buffer
      - .address_space:  global
        .offset:         48
        .size:           8
        .value_kind:     global_buffer
      - .address_space:  global
        .offset:         56
        .size:           8
        .value_kind:     global_buffer
      - .offset:         64
        .size:           4
        .value_kind:     by_value
      - .offset:         68
        .size:           4
        .value_kind:     by_value
      - .offset:         72
        .size:           4
        .value_kind:     by_value
      - .offset:         76
        .size:           4
        .value_kind:     by_value
      - .offset:         80
        .size:           4
        .value_kind:     by_value
      - .offset:         84
        .size:           4
        .value_kind:     by_value
      - .offset:         88
        .size:           4
        .value_kind:     by_value
      - .offset:         92
        .size:           12
        .value_kind:     by_value
      - .offset:         104
        .size:           4
        .value_kind:     by_value
      - .offset:         108
        .size:           4
        .value_kind:     by_value
      - .offset:         112
        .size:           4
        .value_kind:     by_value
      - .offset:         116
        .size:           4
        .value_kind:     by_value
      - .offset:         120
        .size:           4
        .value_kind:     by_value
      - .offset:         124
        .size:           4
        .value_kind:     by_value
      - .offset:         128
        .size:           4
        .value_kind:     by_value
      - .offset:         132
        .size:           4
        .value_kind:     by_value
      - .offset:         136
        .size:           4
        .value_kind:     by_value
      - .offset:         140
        .size:           4
        .value_kind:     by_value
      - .offset:         144
        .size:           4
        .value_kind:     by_value
      - .offset:         152
        .size:           8
        .value_kind:     by_value
      - .offset:         160
        .size:           4
        .value_kind:     by_value
      - .offset:         164
        .size:           4
        .value_kind:     by_value
      - .offset:         168
        .size:           8
        .value_kind:     by_value
      - .offset:         176
        .size:           4
        .value_kind:     by_value
      - .offset:         180
        .size:           4
        .value_kind:     by_value
      - .offset:         184
        .size:           4
        .value_kind:     by_value
      - .offset:         188
        .size:           4
        .value_kind:     by_value
      - .offset:         192
        .size:           4
        .value_kind:     by_value
      - .offset:         200
        .size:           8
        .value_kind:     by_value
      - .offset:         208
        .size:           4
        .value_kind:     hidden_block_count_x
      - .offset:         212
        .size:           4
        .value_kind:     hidden_block_count_y
      - .offset:         216
        .size:           4
        .value_kind:     hidden_block_count_z
      - .offset:         220
        .size:           2
        .value_kind:     hidden_group_size_x
      - .offset:         222
        .size:           2
        .value_kind:     hidden_group_size_y
      - .offset:         224
        .size:           2
        .value_kind:     hidden_group_size_z
      - .offset:         226
        .size:           2
        .value_kind:     hidden_remainder_x
      - .offset:         228
        .size:           2
        .value_kind:     hidden_remainder_y
      - .offset:         230
        .size:           2
        .value_kind:     hidden_remainder_z
      - .offset:         248
        .size:           8
        .value_kind:     hidden_global_offset_x
      - .offset:         256
        .size:           8
        .value_kind:     hidden_global_offset_y
      - .offset:         264
        .size:           8
        .value_kind:     hidden_global_offset_z
      - .offset:         272
        .size:           2
        .value_kind:     hidden_grid_dims
    .group_segment_fixed_size: 29696
    .kernarg_segment_align: 8
    .kernarg_segment_size: 464
    .language:       OpenCL C
    .language_version:
      - 2
      - 0
    .max_flat_workgroup_size: 256
    .name:           _ZL15flash_attn_tileILi576ELi512ELi1ELi16ELb0EEvPKcS1_S1_S1_S1_PKiPfP15HIP_vector_typeIfLj2EEffffjfiS5_IjLj3EEiiiiiiiiiiiliiliiiiil
    .private_segment_fixed_size: 0
    .sgpr_count:     50
    .sgpr_spill_count: 0
    .symbol:         _ZL15flash_attn_tileILi576ELi512ELi1ELi16ELb0EEvPKcS1_S1_S1_S1_PKiPfP15HIP_vector_typeIfLj2EEffffjfiS5_IjLj3EEiiiiiiiiiiiliiliiiiil.kd
    .uniform_work_group_size: 1
    .uses_dynamic_stack: false
    .vgpr_count:     155
    .vgpr_spill_count: 0
    .wavefront_size: 32
    .workgroup_processor_mode: 1
  - .args:
      - .actual_access:  read_only
        .address_space:  global
        .offset:         0
        .size:           8
        .value_kind:     global_buffer
      - .actual_access:  write_only
        .address_space:  global
        .offset:         8
        .size:           8
        .value_kind:     global_buffer
      - .offset:         16
        .size:           4
        .value_kind:     by_value
      - .offset:         20
        .size:           4
        .value_kind:     by_value
      - .offset:         24
        .size:           4
        .value_kind:     by_value
      - .offset:         32
        .size:           4
        .value_kind:     hidden_block_count_x
      - .offset:         36
        .size:           4
        .value_kind:     hidden_block_count_y
      - .offset:         40
        .size:           4
        .value_kind:     hidden_block_count_z
      - .offset:         44
        .size:           2
        .value_kind:     hidden_group_size_x
      - .offset:         46
        .size:           2
        .value_kind:     hidden_group_size_y
      - .offset:         48
        .size:           2
        .value_kind:     hidden_group_size_z
      - .offset:         50
        .size:           2
        .value_kind:     hidden_remainder_x
      - .offset:         52
        .size:           2
        .value_kind:     hidden_remainder_y
      - .offset:         54
        .size:           2
        .value_kind:     hidden_remainder_z
      - .offset:         72
        .size:           8
        .value_kind:     hidden_global_offset_x
      - .offset:         80
        .size:           8
        .value_kind:     hidden_global_offset_y
      - .offset:         88
        .size:           8
        .value_kind:     hidden_global_offset_z
      - .offset:         96
        .size:           2
        .value_kind:     hidden_grid_dims
    .group_segment_fixed_size: 128
    .kernarg_segment_align: 8
    .kernarg_segment_size: 288
    .language:       OpenCL C
    .language_version:
      - 2
      - 0
    .max_flat_workgroup_size: 128
    .name:           _ZL25flash_attn_mask_to_KV_maxILi1EEvPK7__half2Piiii
    .private_segment_fixed_size: 0
    .sgpr_count:     13
    .sgpr_spill_count: 0
    .symbol:         _ZL25flash_attn_mask_to_KV_maxILi1EEvPK7__half2Piiii.kd
    .uniform_work_group_size: 1
    .uses_dynamic_stack: false
    .vgpr_count:     7
    .vgpr_spill_count: 0
    .wavefront_size: 32
    .workgroup_processor_mode: 1
  - .args:
      - .address_space:  global
        .offset:         0
        .size:           8
        .value_kind:     global_buffer
      - .address_space:  global
        .offset:         8
        .size:           8
        .value_kind:     global_buffer
      - .offset:         16
        .size:           4
        .value_kind:     by_value
      - .offset:         20
        .size:           4
        .value_kind:     by_value
      - .offset:         24
        .size:           4
        .value_kind:     by_value
      - .offset:         28
        .size:           4
        .value_kind:     by_value
      - .offset:         32
        .size:           4
        .value_kind:     by_value
      - .offset:         36
        .size:           4
        .value_kind:     by_value
      - .offset:         40
        .size:           12
        .value_kind:     by_value
      - .offset:         52
        .size:           12
        .value_kind:     by_value
      - .offset:         64
        .size:           12
        .value_kind:     by_value
    .group_segment_fixed_size: 0
    .kernarg_segment_align: 8
    .kernarg_segment_size: 76
    .language:       OpenCL C
    .language_version:
      - 2
      - 0
    .max_flat_workgroup_size: 512
    .name:           _ZL33flash_attn_stream_k_fixup_uniformILi512ELi1ELi16EEvPfPK15HIP_vector_typeIfLj2EEiiiiiiS1_IjLj3EES5_S5_
    .private_segment_fixed_size: 0
    .sgpr_count:     22
    .sgpr_spill_count: 0
    .symbol:         _ZL33flash_attn_stream_k_fixup_uniformILi512ELi1ELi16EEvPfPK15HIP_vector_typeIfLj2EEiiiiiiS1_IjLj3EES5_S5_.kd
    .uniform_work_group_size: 1
    .uses_dynamic_stack: false
    .vgpr_count:     11
    .vgpr_spill_count: 0
    .wavefront_size: 32
    .workgroup_processor_mode: 1
  - .args:
      - .address_space:  global
        .offset:         0
        .size:           8
        .value_kind:     global_buffer
      - .address_space:  global
        .offset:         8
        .size:           8
        .value_kind:     global_buffer
      - .offset:         16
        .size:           4
        .value_kind:     by_value
      - .offset:         20
        .size:           4
        .value_kind:     by_value
      - .offset:         24
        .size:           4
        .value_kind:     by_value
      - .offset:         28
        .size:           4
        .value_kind:     by_value
      - .offset:         32
        .size:           12
        .value_kind:     by_value
      - .offset:         44
        .size:           12
        .value_kind:     by_value
      - .offset:         56
        .size:           12
        .value_kind:     by_value
      - .offset:         68
        .size:           12
        .value_kind:     by_value
      - .offset:         80
        .size:           4
        .value_kind:     hidden_block_count_x
      - .offset:         84
        .size:           4
        .value_kind:     hidden_block_count_y
      - .offset:         88
        .size:           4
        .value_kind:     hidden_block_count_z
      - .offset:         92
        .size:           2
        .value_kind:     hidden_group_size_x
      - .offset:         94
        .size:           2
        .value_kind:     hidden_group_size_y
      - .offset:         96
        .size:           2
        .value_kind:     hidden_group_size_z
      - .offset:         98
        .size:           2
        .value_kind:     hidden_remainder_x
      - .offset:         100
        .size:           2
        .value_kind:     hidden_remainder_y
      - .offset:         102
        .size:           2
        .value_kind:     hidden_remainder_z
      - .offset:         120
        .size:           8
        .value_kind:     hidden_global_offset_x
      - .offset:         128
        .size:           8
        .value_kind:     hidden_global_offset_y
      - .offset:         136
        .size:           8
        .value_kind:     hidden_global_offset_z
      - .offset:         144
        .size:           2
        .value_kind:     hidden_grid_dims
    .group_segment_fixed_size: 0
    .kernarg_segment_align: 8
    .kernarg_segment_size: 336
    .language:       OpenCL C
    .language_version:
      - 2
      - 0
    .max_flat_workgroup_size: 512
    .name:           _ZL33flash_attn_stream_k_fixup_generalILi512ELi1ELi16EEvPfPK15HIP_vector_typeIfLj2EEiiiiS1_IjLj3EES5_S5_S5_
    .private_segment_fixed_size: 0
    .sgpr_count:     46
    .sgpr_spill_count: 0
    .symbol:         _ZL33flash_attn_stream_k_fixup_generalILi512ELi1ELi16EEvPfPK15HIP_vector_typeIfLj2EEiiiiS1_IjLj3EES5_S5_S5_.kd
    .uniform_work_group_size: 1
    .uses_dynamic_stack: false
    .vgpr_count:     9
    .vgpr_spill_count: 0
    .wavefront_size: 32
    .workgroup_processor_mode: 1
  - .args:
      - .address_space:  global
        .offset:         0
        .size:           8
        .value_kind:     global_buffer
      - .address_space:  global
        .offset:         8
        .size:           8
        .value_kind:     global_buffer
      - .address_space:  global
        .offset:         16
        .size:           8
        .value_kind:     global_buffer
      - .address_space:  global
        .offset:         24
        .size:           8
        .value_kind:     global_buffer
      - .address_space:  global
        .offset:         32
        .size:           8
        .value_kind:     global_buffer
      - .address_space:  global
        .offset:         40
        .size:           8
        .value_kind:     global_buffer
      - .address_space:  global
        .offset:         48
        .size:           8
        .value_kind:     global_buffer
      - .address_space:  global
        .offset:         56
        .size:           8
        .value_kind:     global_buffer
      - .offset:         64
        .size:           4
        .value_kind:     by_value
      - .offset:         68
        .size:           4
        .value_kind:     by_value
      - .offset:         72
        .size:           4
        .value_kind:     by_value
      - .offset:         76
        .size:           4
        .value_kind:     by_value
      - .offset:         80
        .size:           4
        .value_kind:     by_value
      - .offset:         84
        .size:           4
        .value_kind:     by_value
      - .offset:         88
        .size:           4
        .value_kind:     by_value
      - .offset:         92
        .size:           12
        .value_kind:     by_value
      - .offset:         104
        .size:           4
        .value_kind:     by_value
      - .offset:         108
        .size:           4
        .value_kind:     by_value
      - .offset:         112
        .size:           4
        .value_kind:     by_value
      - .offset:         116
        .size:           4
        .value_kind:     by_value
      - .offset:         120
        .size:           4
        .value_kind:     by_value
      - .offset:         124
        .size:           4
        .value_kind:     by_value
      - .offset:         128
        .size:           4
        .value_kind:     by_value
      - .offset:         132
        .size:           4
        .value_kind:     by_value
      - .offset:         136
        .size:           4
        .value_kind:     by_value
      - .offset:         140
        .size:           4
        .value_kind:     by_value
      - .offset:         144
        .size:           4
        .value_kind:     by_value
      - .offset:         152
        .size:           8
        .value_kind:     by_value
      - .offset:         160
        .size:           4
        .value_kind:     by_value
      - .offset:         164
        .size:           4
        .value_kind:     by_value
      - .offset:         168
        .size:           8
        .value_kind:     by_value
      - .offset:         176
        .size:           4
        .value_kind:     by_value
      - .offset:         180
        .size:           4
        .value_kind:     by_value
      - .offset:         184
        .size:           4
        .value_kind:     by_value
      - .offset:         188
        .size:           4
        .value_kind:     by_value
      - .offset:         192
        .size:           4
        .value_kind:     by_value
      - .offset:         200
        .size:           8
        .value_kind:     by_value
      - .offset:         208
        .size:           4
        .value_kind:     hidden_block_count_x
      - .offset:         212
        .size:           4
        .value_kind:     hidden_block_count_y
      - .offset:         216
        .size:           4
        .value_kind:     hidden_block_count_z
      - .offset:         220
        .size:           2
        .value_kind:     hidden_group_size_x
      - .offset:         222
        .size:           2
        .value_kind:     hidden_group_size_y
      - .offset:         224
        .size:           2
        .value_kind:     hidden_group_size_z
      - .offset:         226
        .size:           2
        .value_kind:     hidden_remainder_x
      - .offset:         228
        .size:           2
        .value_kind:     hidden_remainder_y
      - .offset:         230
        .size:           2
        .value_kind:     hidden_remainder_z
      - .offset:         248
        .size:           8
        .value_kind:     hidden_global_offset_x
      - .offset:         256
        .size:           8
        .value_kind:     hidden_global_offset_y
      - .offset:         264
        .size:           8
        .value_kind:     hidden_global_offset_z
      - .offset:         272
        .size:           2
        .value_kind:     hidden_grid_dims
    .group_segment_fixed_size: 63488
    .kernarg_segment_align: 8
    .kernarg_segment_size: 464
    .language:       OpenCL C
    .language_version:
      - 2
      - 0
    .max_flat_workgroup_size: 256
    .name:           _ZL15flash_attn_tileILi576ELi512ELi8ELi4ELb0EEvPKcS1_S1_S1_S1_PKiPfP15HIP_vector_typeIfLj2EEffffjfiS5_IjLj3EEiiiiiiiiiiiliiliiiiil
    .private_segment_fixed_size: 0
    .sgpr_count:     44
    .sgpr_spill_count: 0
    .symbol:         _ZL15flash_attn_tileILi576ELi512ELi8ELi4ELb0EEvPKcS1_S1_S1_S1_PKiPfP15HIP_vector_typeIfLj2EEffffjfiS5_IjLj3EEiiiiiiiiiiiliiliiiiil.kd
    .uniform_work_group_size: 1
    .uses_dynamic_stack: false
    .vgpr_count:     190
    .vgpr_spill_count: 0
    .wavefront_size: 32
    .workgroup_processor_mode: 1
  - .args:
      - .actual_access:  read_only
        .address_space:  global
        .offset:         0
        .size:           8
        .value_kind:     global_buffer
      - .actual_access:  write_only
        .address_space:  global
        .offset:         8
        .size:           8
        .value_kind:     global_buffer
      - .offset:         16
        .size:           4
        .value_kind:     by_value
      - .offset:         20
        .size:           4
        .value_kind:     by_value
      - .offset:         24
        .size:           4
        .value_kind:     by_value
      - .offset:         32
        .size:           4
        .value_kind:     hidden_block_count_x
      - .offset:         36
        .size:           4
        .value_kind:     hidden_block_count_y
      - .offset:         40
        .size:           4
        .value_kind:     hidden_block_count_z
      - .offset:         44
        .size:           2
        .value_kind:     hidden_group_size_x
      - .offset:         46
        .size:           2
        .value_kind:     hidden_group_size_y
      - .offset:         48
        .size:           2
        .value_kind:     hidden_group_size_z
      - .offset:         50
        .size:           2
        .value_kind:     hidden_remainder_x
      - .offset:         52
        .size:           2
        .value_kind:     hidden_remainder_y
      - .offset:         54
        .size:           2
        .value_kind:     hidden_remainder_z
      - .offset:         72
        .size:           8
        .value_kind:     hidden_global_offset_x
      - .offset:         80
        .size:           8
        .value_kind:     hidden_global_offset_y
      - .offset:         88
        .size:           8
        .value_kind:     hidden_global_offset_z
      - .offset:         96
        .size:           2
        .value_kind:     hidden_grid_dims
    .group_segment_fixed_size: 128
    .kernarg_segment_align: 8
    .kernarg_segment_size: 288
    .language:       OpenCL C
    .language_version:
      - 2
      - 0
    .max_flat_workgroup_size: 128
    .name:           _ZL25flash_attn_mask_to_KV_maxILi8EEvPK7__half2Piiii
    .private_segment_fixed_size: 0
    .sgpr_count:     27
    .sgpr_spill_count: 0
    .symbol:         _ZL25flash_attn_mask_to_KV_maxILi8EEvPK7__half2Piiii.kd
    .uniform_work_group_size: 1
    .uses_dynamic_stack: false
    .vgpr_count:     9
    .vgpr_spill_count: 0
    .wavefront_size: 32
    .workgroup_processor_mode: 1
  - .args:
      - .address_space:  global
        .offset:         0
        .size:           8
        .value_kind:     global_buffer
      - .address_space:  global
        .offset:         8
        .size:           8
        .value_kind:     global_buffer
      - .offset:         16
        .size:           4
        .value_kind:     by_value
      - .offset:         20
        .size:           4
        .value_kind:     by_value
      - .offset:         24
        .size:           4
        .value_kind:     by_value
      - .offset:         28
        .size:           4
        .value_kind:     by_value
      - .offset:         32
        .size:           4
        .value_kind:     by_value
      - .offset:         36
        .size:           4
        .value_kind:     by_value
      - .offset:         40
        .size:           12
        .value_kind:     by_value
      - .offset:         52
        .size:           12
        .value_kind:     by_value
      - .offset:         64
        .size:           12
        .value_kind:     by_value
    .group_segment_fixed_size: 0
    .kernarg_segment_align: 8
    .kernarg_segment_size: 76
    .language:       OpenCL C
    .language_version:
      - 2
      - 0
    .max_flat_workgroup_size: 512
    .name:           _ZL33flash_attn_stream_k_fixup_uniformILi512ELi8ELi4EEvPfPK15HIP_vector_typeIfLj2EEiiiiiiS1_IjLj3EES5_S5_
    .private_segment_fixed_size: 0
    .sgpr_count:     18
    .sgpr_spill_count: 0
    .symbol:         _ZL33flash_attn_stream_k_fixup_uniformILi512ELi8ELi4EEvPfPK15HIP_vector_typeIfLj2EEiiiiiiS1_IjLj3EES5_S5_.kd
    .uniform_work_group_size: 1
    .uses_dynamic_stack: false
    .vgpr_count:     11
    .vgpr_spill_count: 0
    .wavefront_size: 32
    .workgroup_processor_mode: 1
  - .args:
      - .address_space:  global
        .offset:         0
        .size:           8
        .value_kind:     global_buffer
      - .address_space:  global
        .offset:         8
        .size:           8
        .value_kind:     global_buffer
      - .offset:         16
        .size:           4
        .value_kind:     by_value
      - .offset:         20
        .size:           4
        .value_kind:     by_value
      - .offset:         24
        .size:           4
        .value_kind:     by_value
      - .offset:         28
        .size:           4
        .value_kind:     by_value
      - .offset:         32
        .size:           12
        .value_kind:     by_value
      - .offset:         44
        .size:           12
        .value_kind:     by_value
      - .offset:         56
        .size:           12
        .value_kind:     by_value
      - .offset:         68
        .size:           12
        .value_kind:     by_value
      - .offset:         80
        .size:           4
        .value_kind:     hidden_block_count_x
      - .offset:         84
        .size:           4
        .value_kind:     hidden_block_count_y
      - .offset:         88
        .size:           4
        .value_kind:     hidden_block_count_z
      - .offset:         92
        .size:           2
        .value_kind:     hidden_group_size_x
      - .offset:         94
        .size:           2
        .value_kind:     hidden_group_size_y
      - .offset:         96
        .size:           2
        .value_kind:     hidden_group_size_z
      - .offset:         98
        .size:           2
        .value_kind:     hidden_remainder_x
      - .offset:         100
        .size:           2
        .value_kind:     hidden_remainder_y
      - .offset:         102
        .size:           2
        .value_kind:     hidden_remainder_z
      - .offset:         120
        .size:           8
        .value_kind:     hidden_global_offset_x
      - .offset:         128
        .size:           8
        .value_kind:     hidden_global_offset_y
      - .offset:         136
        .size:           8
        .value_kind:     hidden_global_offset_z
      - .offset:         144
        .size:           2
        .value_kind:     hidden_grid_dims
    .group_segment_fixed_size: 0
    .kernarg_segment_align: 8
    .kernarg_segment_size: 336
    .language:       OpenCL C
    .language_version:
      - 2
      - 0
    .max_flat_workgroup_size: 512
    .name:           _ZL33flash_attn_stream_k_fixup_generalILi512ELi8ELi4EEvPfPK15HIP_vector_typeIfLj2EEiiiiS1_IjLj3EES5_S5_S5_
    .private_segment_fixed_size: 0
    .sgpr_count:     46
    .sgpr_spill_count: 0
    .symbol:         _ZL33flash_attn_stream_k_fixup_generalILi512ELi8ELi4EEvPfPK15HIP_vector_typeIfLj2EEiiiiS1_IjLj3EES5_S5_S5_.kd
    .uniform_work_group_size: 1
    .uses_dynamic_stack: false
    .vgpr_count:     9
    .vgpr_spill_count: 0
    .wavefront_size: 32
    .workgroup_processor_mode: 1
  - .args:
      - .address_space:  global
        .offset:         0
        .size:           8
        .value_kind:     global_buffer
      - .address_space:  global
        .offset:         8
        .size:           8
        .value_kind:     global_buffer
      - .address_space:  global
        .offset:         16
        .size:           8
        .value_kind:     global_buffer
      - .address_space:  global
        .offset:         24
        .size:           8
        .value_kind:     global_buffer
      - .address_space:  global
        .offset:         32
        .size:           8
        .value_kind:     global_buffer
      - .address_space:  global
        .offset:         40
        .size:           8
        .value_kind:     global_buffer
      - .address_space:  global
        .offset:         48
        .size:           8
        .value_kind:     global_buffer
      - .address_space:  global
        .offset:         56
        .size:           8
        .value_kind:     global_buffer
      - .offset:         64
        .size:           4
        .value_kind:     by_value
      - .offset:         68
        .size:           4
        .value_kind:     by_value
      - .offset:         72
        .size:           4
        .value_kind:     by_value
      - .offset:         76
        .size:           4
        .value_kind:     by_value
      - .offset:         80
        .size:           4
        .value_kind:     by_value
      - .offset:         84
        .size:           4
        .value_kind:     by_value
      - .offset:         88
        .size:           4
        .value_kind:     by_value
      - .offset:         92
        .size:           12
        .value_kind:     by_value
      - .offset:         104
        .size:           4
        .value_kind:     by_value
      - .offset:         108
        .size:           4
        .value_kind:     by_value
      - .offset:         112
        .size:           4
        .value_kind:     by_value
      - .offset:         116
        .size:           4
        .value_kind:     by_value
      - .offset:         120
        .size:           4
        .value_kind:     by_value
      - .offset:         124
        .size:           4
        .value_kind:     by_value
      - .offset:         128
        .size:           4
        .value_kind:     by_value
      - .offset:         132
        .size:           4
        .value_kind:     by_value
      - .offset:         136
        .size:           4
        .value_kind:     by_value
      - .offset:         140
        .size:           4
        .value_kind:     by_value
      - .offset:         144
        .size:           4
        .value_kind:     by_value
      - .offset:         152
        .size:           8
        .value_kind:     by_value
      - .offset:         160
        .size:           4
        .value_kind:     by_value
      - .offset:         164
        .size:           4
        .value_kind:     by_value
      - .offset:         168
        .size:           8
        .value_kind:     by_value
      - .offset:         176
        .size:           4
        .value_kind:     by_value
      - .offset:         180
        .size:           4
        .value_kind:     by_value
      - .offset:         184
        .size:           4
        .value_kind:     by_value
      - .offset:         188
        .size:           4
        .value_kind:     by_value
      - .offset:         192
        .size:           4
        .value_kind:     by_value
      - .offset:         200
        .size:           8
        .value_kind:     by_value
      - .offset:         208
        .size:           4
        .value_kind:     hidden_block_count_x
      - .offset:         212
        .size:           4
        .value_kind:     hidden_block_count_y
      - .offset:         216
        .size:           4
        .value_kind:     hidden_block_count_z
      - .offset:         220
        .size:           2
        .value_kind:     hidden_group_size_x
      - .offset:         222
        .size:           2
        .value_kind:     hidden_group_size_y
      - .offset:         224
        .size:           2
        .value_kind:     hidden_group_size_z
      - .offset:         226
        .size:           2
        .value_kind:     hidden_remainder_x
      - .offset:         228
        .size:           2
        .value_kind:     hidden_remainder_y
      - .offset:         230
        .size:           2
        .value_kind:     hidden_remainder_z
      - .offset:         248
        .size:           8
        .value_kind:     hidden_global_offset_x
      - .offset:         256
        .size:           8
        .value_kind:     hidden_global_offset_y
      - .offset:         264
        .size:           8
        .value_kind:     hidden_global_offset_z
      - .offset:         272
        .size:           2
        .value_kind:     hidden_grid_dims
    .group_segment_fixed_size: 29696
    .kernarg_segment_align: 8
    .kernarg_segment_size: 464
    .language:       OpenCL C
    .language_version:
      - 2
      - 0
    .max_flat_workgroup_size: 256
    .name:           _ZL15flash_attn_tileILi576ELi512ELi4ELi4ELb0EEvPKcS1_S1_S1_S1_PKiPfP15HIP_vector_typeIfLj2EEffffjfiS5_IjLj3EEiiiiiiiiiiiliiliiiiil
    .private_segment_fixed_size: 0
    .sgpr_count:     50
    .sgpr_spill_count: 0
    .symbol:         _ZL15flash_attn_tileILi576ELi512ELi4ELi4ELb0EEvPKcS1_S1_S1_S1_PKiPfP15HIP_vector_typeIfLj2EEffffjfiS5_IjLj3EEiiiiiiiiiiiliiliiiiil.kd
    .uniform_work_group_size: 1
    .uses_dynamic_stack: false
    .vgpr_count:     155
    .vgpr_spill_count: 0
    .wavefront_size: 32
    .workgroup_processor_mode: 1
  - .args:
      - .actual_access:  read_only
        .address_space:  global
        .offset:         0
        .size:           8
        .value_kind:     global_buffer
      - .actual_access:  write_only
        .address_space:  global
        .offset:         8
        .size:           8
        .value_kind:     global_buffer
      - .offset:         16
        .size:           4
        .value_kind:     by_value
      - .offset:         20
        .size:           4
        .value_kind:     by_value
      - .offset:         24
        .size:           4
        .value_kind:     by_value
      - .offset:         32
        .size:           4
        .value_kind:     hidden_block_count_x
      - .offset:         36
        .size:           4
        .value_kind:     hidden_block_count_y
      - .offset:         40
        .size:           4
        .value_kind:     hidden_block_count_z
      - .offset:         44
        .size:           2
        .value_kind:     hidden_group_size_x
      - .offset:         46
        .size:           2
        .value_kind:     hidden_group_size_y
      - .offset:         48
        .size:           2
        .value_kind:     hidden_group_size_z
      - .offset:         50
        .size:           2
        .value_kind:     hidden_remainder_x
      - .offset:         52
        .size:           2
        .value_kind:     hidden_remainder_y
      - .offset:         54
        .size:           2
        .value_kind:     hidden_remainder_z
      - .offset:         72
        .size:           8
        .value_kind:     hidden_global_offset_x
      - .offset:         80
        .size:           8
        .value_kind:     hidden_global_offset_y
      - .offset:         88
        .size:           8
        .value_kind:     hidden_global_offset_z
      - .offset:         96
        .size:           2
        .value_kind:     hidden_grid_dims
    .group_segment_fixed_size: 128
    .kernarg_segment_align: 8
    .kernarg_segment_size: 288
    .language:       OpenCL C
    .language_version:
      - 2
      - 0
    .max_flat_workgroup_size: 128
    .name:           _ZL25flash_attn_mask_to_KV_maxILi4EEvPK7__half2Piiii
    .private_segment_fixed_size: 0
    .sgpr_count:     19
    .sgpr_spill_count: 0
    .symbol:         _ZL25flash_attn_mask_to_KV_maxILi4EEvPK7__half2Piiii.kd
    .uniform_work_group_size: 1
    .uses_dynamic_stack: false
    .vgpr_count:     9
    .vgpr_spill_count: 0
    .wavefront_size: 32
    .workgroup_processor_mode: 1
  - .args:
      - .address_space:  global
        .offset:         0
        .size:           8
        .value_kind:     global_buffer
      - .address_space:  global
        .offset:         8
        .size:           8
        .value_kind:     global_buffer
      - .offset:         16
        .size:           4
        .value_kind:     by_value
      - .offset:         20
        .size:           4
        .value_kind:     by_value
      - .offset:         24
        .size:           4
        .value_kind:     by_value
      - .offset:         28
        .size:           4
        .value_kind:     by_value
      - .offset:         32
        .size:           4
        .value_kind:     by_value
      - .offset:         36
        .size:           4
        .value_kind:     by_value
      - .offset:         40
        .size:           12
        .value_kind:     by_value
      - .offset:         52
        .size:           12
        .value_kind:     by_value
      - .offset:         64
        .size:           12
        .value_kind:     by_value
    .group_segment_fixed_size: 0
    .kernarg_segment_align: 8
    .kernarg_segment_size: 76
    .language:       OpenCL C
    .language_version:
      - 2
      - 0
    .max_flat_workgroup_size: 512
    .name:           _ZL33flash_attn_stream_k_fixup_uniformILi512ELi4ELi4EEvPfPK15HIP_vector_typeIfLj2EEiiiiiiS1_IjLj3EES5_S5_
    .private_segment_fixed_size: 0
    .sgpr_count:     18
    .sgpr_spill_count: 0
    .symbol:         _ZL33flash_attn_stream_k_fixup_uniformILi512ELi4ELi4EEvPfPK15HIP_vector_typeIfLj2EEiiiiiiS1_IjLj3EES5_S5_.kd
    .uniform_work_group_size: 1
    .uses_dynamic_stack: false
    .vgpr_count:     11
    .vgpr_spill_count: 0
    .wavefront_size: 32
    .workgroup_processor_mode: 1
  - .args:
      - .address_space:  global
        .offset:         0
        .size:           8
        .value_kind:     global_buffer
      - .address_space:  global
        .offset:         8
        .size:           8
        .value_kind:     global_buffer
      - .offset:         16
        .size:           4
        .value_kind:     by_value
      - .offset:         20
        .size:           4
        .value_kind:     by_value
      - .offset:         24
        .size:           4
        .value_kind:     by_value
      - .offset:         28
        .size:           4
        .value_kind:     by_value
      - .offset:         32
        .size:           12
        .value_kind:     by_value
      - .offset:         44
        .size:           12
        .value_kind:     by_value
      - .offset:         56
        .size:           12
        .value_kind:     by_value
      - .offset:         68
        .size:           12
        .value_kind:     by_value
      - .offset:         80
        .size:           4
        .value_kind:     hidden_block_count_x
      - .offset:         84
        .size:           4
        .value_kind:     hidden_block_count_y
      - .offset:         88
        .size:           4
        .value_kind:     hidden_block_count_z
      - .offset:         92
        .size:           2
        .value_kind:     hidden_group_size_x
      - .offset:         94
        .size:           2
        .value_kind:     hidden_group_size_y
      - .offset:         96
        .size:           2
        .value_kind:     hidden_group_size_z
      - .offset:         98
        .size:           2
        .value_kind:     hidden_remainder_x
      - .offset:         100
        .size:           2
        .value_kind:     hidden_remainder_y
      - .offset:         102
        .size:           2
        .value_kind:     hidden_remainder_z
      - .offset:         120
        .size:           8
        .value_kind:     hidden_global_offset_x
      - .offset:         128
        .size:           8
        .value_kind:     hidden_global_offset_y
      - .offset:         136
        .size:           8
        .value_kind:     hidden_global_offset_z
      - .offset:         144
        .size:           2
        .value_kind:     hidden_grid_dims
    .group_segment_fixed_size: 0
    .kernarg_segment_align: 8
    .kernarg_segment_size: 336
    .language:       OpenCL C
    .language_version:
      - 2
      - 0
    .max_flat_workgroup_size: 512
    .name:           _ZL33flash_attn_stream_k_fixup_generalILi512ELi4ELi4EEvPfPK15HIP_vector_typeIfLj2EEiiiiS1_IjLj3EES5_S5_S5_
    .private_segment_fixed_size: 0
    .sgpr_count:     46
    .sgpr_spill_count: 0
    .symbol:         _ZL33flash_attn_stream_k_fixup_generalILi512ELi4ELi4EEvPfPK15HIP_vector_typeIfLj2EEiiiiS1_IjLj3EES5_S5_S5_.kd
    .uniform_work_group_size: 1
    .uses_dynamic_stack: false
    .vgpr_count:     9
    .vgpr_spill_count: 0
    .wavefront_size: 32
    .workgroup_processor_mode: 1
  - .args:
      - .address_space:  global
        .offset:         0
        .size:           8
        .value_kind:     global_buffer
      - .address_space:  global
        .offset:         8
        .size:           8
        .value_kind:     global_buffer
      - .address_space:  global
        .offset:         16
        .size:           8
        .value_kind:     global_buffer
      - .address_space:  global
        .offset:         24
        .size:           8
        .value_kind:     global_buffer
      - .address_space:  global
        .offset:         32
        .size:           8
        .value_kind:     global_buffer
      - .address_space:  global
        .offset:         40
        .size:           8
        .value_kind:     global_buffer
      - .address_space:  global
        .offset:         48
        .size:           8
        .value_kind:     global_buffer
      - .address_space:  global
        .offset:         56
        .size:           8
        .value_kind:     global_buffer
      - .offset:         64
        .size:           4
        .value_kind:     by_value
      - .offset:         68
        .size:           4
        .value_kind:     by_value
      - .offset:         72
        .size:           4
        .value_kind:     by_value
      - .offset:         76
        .size:           4
        .value_kind:     by_value
      - .offset:         80
        .size:           4
        .value_kind:     by_value
      - .offset:         84
        .size:           4
        .value_kind:     by_value
      - .offset:         88
        .size:           4
        .value_kind:     by_value
      - .offset:         92
        .size:           12
        .value_kind:     by_value
      - .offset:         104
        .size:           4
        .value_kind:     by_value
      - .offset:         108
        .size:           4
        .value_kind:     by_value
      - .offset:         112
        .size:           4
        .value_kind:     by_value
      - .offset:         116
        .size:           4
        .value_kind:     by_value
      - .offset:         120
        .size:           4
        .value_kind:     by_value
      - .offset:         124
        .size:           4
        .value_kind:     by_value
      - .offset:         128
        .size:           4
        .value_kind:     by_value
      - .offset:         132
        .size:           4
        .value_kind:     by_value
      - .offset:         136
        .size:           4
        .value_kind:     by_value
      - .offset:         140
        .size:           4
        .value_kind:     by_value
      - .offset:         144
        .size:           4
        .value_kind:     by_value
      - .offset:         152
        .size:           8
        .value_kind:     by_value
      - .offset:         160
        .size:           4
        .value_kind:     by_value
      - .offset:         164
        .size:           4
        .value_kind:     by_value
      - .offset:         168
        .size:           8
        .value_kind:     by_value
      - .offset:         176
        .size:           4
        .value_kind:     by_value
      - .offset:         180
        .size:           4
        .value_kind:     by_value
      - .offset:         184
        .size:           4
        .value_kind:     by_value
      - .offset:         188
        .size:           4
        .value_kind:     by_value
      - .offset:         192
        .size:           4
        .value_kind:     by_value
      - .offset:         200
        .size:           8
        .value_kind:     by_value
      - .offset:         208
        .size:           4
        .value_kind:     hidden_block_count_x
      - .offset:         212
        .size:           4
        .value_kind:     hidden_block_count_y
      - .offset:         216
        .size:           4
        .value_kind:     hidden_block_count_z
      - .offset:         220
        .size:           2
        .value_kind:     hidden_group_size_x
      - .offset:         222
        .size:           2
        .value_kind:     hidden_group_size_y
      - .offset:         224
        .size:           2
        .value_kind:     hidden_group_size_z
      - .offset:         226
        .size:           2
        .value_kind:     hidden_remainder_x
      - .offset:         228
        .size:           2
        .value_kind:     hidden_remainder_y
      - .offset:         230
        .size:           2
        .value_kind:     hidden_remainder_z
      - .offset:         248
        .size:           8
        .value_kind:     hidden_global_offset_x
      - .offset:         256
        .size:           8
        .value_kind:     hidden_global_offset_y
      - .offset:         264
        .size:           8
        .value_kind:     hidden_global_offset_z
      - .offset:         272
        .size:           2
        .value_kind:     hidden_grid_dims
    .group_segment_fixed_size: 19456
    .kernarg_segment_align: 8
    .kernarg_segment_size: 464
    .language:       OpenCL C
    .language_version:
      - 2
      - 0
    .max_flat_workgroup_size: 256
    .name:           _ZL15flash_attn_tileILi576ELi512ELi2ELi4ELb0EEvPKcS1_S1_S1_S1_PKiPfP15HIP_vector_typeIfLj2EEffffjfiS5_IjLj3EEiiiiiiiiiiiliiliiiiil
    .private_segment_fixed_size: 0
    .sgpr_count:     44
    .sgpr_spill_count: 0
    .symbol:         _ZL15flash_attn_tileILi576ELi512ELi2ELi4ELb0EEvPKcS1_S1_S1_S1_PKiPfP15HIP_vector_typeIfLj2EEffffjfiS5_IjLj3EEiiiiiiiiiiiliiliiiiil.kd
    .uniform_work_group_size: 1
    .uses_dynamic_stack: false
    .vgpr_count:     120
    .vgpr_spill_count: 0
    .wavefront_size: 32
    .workgroup_processor_mode: 1
  - .args:
      - .address_space:  global
        .offset:         0
        .size:           8
        .value_kind:     global_buffer
      - .address_space:  global
        .offset:         8
        .size:           8
        .value_kind:     global_buffer
      - .offset:         16
        .size:           4
        .value_kind:     by_value
      - .offset:         20
        .size:           4
        .value_kind:     by_value
      - .offset:         24
        .size:           4
        .value_kind:     by_value
      - .offset:         28
        .size:           4
        .value_kind:     by_value
      - .offset:         32
        .size:           4
        .value_kind:     by_value
      - .offset:         36
        .size:           4
        .value_kind:     by_value
      - .offset:         40
        .size:           12
        .value_kind:     by_value
      - .offset:         52
        .size:           12
        .value_kind:     by_value
      - .offset:         64
        .size:           12
        .value_kind:     by_value
    .group_segment_fixed_size: 0
    .kernarg_segment_align: 8
    .kernarg_segment_size: 76
    .language:       OpenCL C
    .language_version:
      - 2
      - 0
    .max_flat_workgroup_size: 512
    .name:           _ZL33flash_attn_stream_k_fixup_uniformILi512ELi2ELi4EEvPfPK15HIP_vector_typeIfLj2EEiiiiiiS1_IjLj3EES5_S5_
    .private_segment_fixed_size: 0
    .sgpr_count:     18
    .sgpr_spill_count: 0
    .symbol:         _ZL33flash_attn_stream_k_fixup_uniformILi512ELi2ELi4EEvPfPK15HIP_vector_typeIfLj2EEiiiiiiS1_IjLj3EES5_S5_.kd
    .uniform_work_group_size: 1
    .uses_dynamic_stack: false
    .vgpr_count:     11
    .vgpr_spill_count: 0
    .wavefront_size: 32
    .workgroup_processor_mode: 1
  - .args:
      - .address_space:  global
        .offset:         0
        .size:           8
        .value_kind:     global_buffer
      - .address_space:  global
        .offset:         8
        .size:           8
        .value_kind:     global_buffer
      - .offset:         16
        .size:           4
        .value_kind:     by_value
      - .offset:         20
        .size:           4
        .value_kind:     by_value
      - .offset:         24
        .size:           4
        .value_kind:     by_value
      - .offset:         28
        .size:           4
        .value_kind:     by_value
      - .offset:         32
        .size:           12
        .value_kind:     by_value
      - .offset:         44
        .size:           12
        .value_kind:     by_value
      - .offset:         56
        .size:           12
        .value_kind:     by_value
      - .offset:         68
        .size:           12
        .value_kind:     by_value
      - .offset:         80
        .size:           4
        .value_kind:     hidden_block_count_x
      - .offset:         84
        .size:           4
        .value_kind:     hidden_block_count_y
      - .offset:         88
        .size:           4
        .value_kind:     hidden_block_count_z
      - .offset:         92
        .size:           2
        .value_kind:     hidden_group_size_x
      - .offset:         94
        .size:           2
        .value_kind:     hidden_group_size_y
      - .offset:         96
        .size:           2
        .value_kind:     hidden_group_size_z
      - .offset:         98
        .size:           2
        .value_kind:     hidden_remainder_x
      - .offset:         100
        .size:           2
        .value_kind:     hidden_remainder_y
      - .offset:         102
        .size:           2
        .value_kind:     hidden_remainder_z
      - .offset:         120
        .size:           8
        .value_kind:     hidden_global_offset_x
      - .offset:         128
        .size:           8
        .value_kind:     hidden_global_offset_y
      - .offset:         136
        .size:           8
        .value_kind:     hidden_global_offset_z
      - .offset:         144
        .size:           2
        .value_kind:     hidden_grid_dims
    .group_segment_fixed_size: 0
    .kernarg_segment_align: 8
    .kernarg_segment_size: 336
    .language:       OpenCL C
    .language_version:
      - 2
      - 0
    .max_flat_workgroup_size: 512
    .name:           _ZL33flash_attn_stream_k_fixup_generalILi512ELi2ELi4EEvPfPK15HIP_vector_typeIfLj2EEiiiiS1_IjLj3EES5_S5_S5_
    .private_segment_fixed_size: 0
    .sgpr_count:     46
    .sgpr_spill_count: 0
    .symbol:         _ZL33flash_attn_stream_k_fixup_generalILi512ELi2ELi4EEvPfPK15HIP_vector_typeIfLj2EEiiiiS1_IjLj3EES5_S5_S5_.kd
    .uniform_work_group_size: 1
    .uses_dynamic_stack: false
    .vgpr_count:     9
    .vgpr_spill_count: 0
    .wavefront_size: 32
    .workgroup_processor_mode: 1
  - .args:
      - .address_space:  global
        .offset:         0
        .size:           8
        .value_kind:     global_buffer
      - .address_space:  global
        .offset:         8
        .size:           8
        .value_kind:     global_buffer
      - .address_space:  global
        .offset:         16
        .size:           8
        .value_kind:     global_buffer
      - .address_space:  global
        .offset:         24
        .size:           8
        .value_kind:     global_buffer
      - .address_space:  global
        .offset:         32
        .size:           8
        .value_kind:     global_buffer
      - .address_space:  global
        .offset:         40
        .size:           8
        .value_kind:     global_buffer
      - .address_space:  global
        .offset:         48
        .size:           8
        .value_kind:     global_buffer
      - .address_space:  global
        .offset:         56
        .size:           8
        .value_kind:     global_buffer
      - .offset:         64
        .size:           4
        .value_kind:     by_value
      - .offset:         68
        .size:           4
        .value_kind:     by_value
      - .offset:         72
        .size:           4
        .value_kind:     by_value
      - .offset:         76
        .size:           4
        .value_kind:     by_value
      - .offset:         80
        .size:           4
        .value_kind:     by_value
      - .offset:         84
        .size:           4
        .value_kind:     by_value
      - .offset:         88
        .size:           4
        .value_kind:     by_value
      - .offset:         92
        .size:           12
        .value_kind:     by_value
      - .offset:         104
        .size:           4
        .value_kind:     by_value
      - .offset:         108
        .size:           4
        .value_kind:     by_value
      - .offset:         112
        .size:           4
        .value_kind:     by_value
      - .offset:         116
        .size:           4
        .value_kind:     by_value
      - .offset:         120
        .size:           4
        .value_kind:     by_value
      - .offset:         124
        .size:           4
        .value_kind:     by_value
      - .offset:         128
        .size:           4
        .value_kind:     by_value
      - .offset:         132
        .size:           4
        .value_kind:     by_value
      - .offset:         136
        .size:           4
        .value_kind:     by_value
      - .offset:         140
        .size:           4
        .value_kind:     by_value
      - .offset:         144
        .size:           4
        .value_kind:     by_value
      - .offset:         152
        .size:           8
        .value_kind:     by_value
      - .offset:         160
        .size:           4
        .value_kind:     by_value
      - .offset:         164
        .size:           4
        .value_kind:     by_value
      - .offset:         168
        .size:           8
        .value_kind:     by_value
      - .offset:         176
        .size:           4
        .value_kind:     by_value
      - .offset:         180
        .size:           4
        .value_kind:     by_value
      - .offset:         184
        .size:           4
        .value_kind:     by_value
      - .offset:         188
        .size:           4
        .value_kind:     by_value
      - .offset:         192
        .size:           4
        .value_kind:     by_value
      - .offset:         200
        .size:           8
        .value_kind:     by_value
      - .offset:         208
        .size:           4
        .value_kind:     hidden_block_count_x
      - .offset:         212
        .size:           4
        .value_kind:     hidden_block_count_y
      - .offset:         216
        .size:           4
        .value_kind:     hidden_block_count_z
      - .offset:         220
        .size:           2
        .value_kind:     hidden_group_size_x
      - .offset:         222
        .size:           2
        .value_kind:     hidden_group_size_y
      - .offset:         224
        .size:           2
        .value_kind:     hidden_group_size_z
      - .offset:         226
        .size:           2
        .value_kind:     hidden_remainder_x
      - .offset:         228
        .size:           2
        .value_kind:     hidden_remainder_y
      - .offset:         230
        .size:           2
        .value_kind:     hidden_remainder_z
      - .offset:         248
        .size:           8
        .value_kind:     hidden_global_offset_x
      - .offset:         256
        .size:           8
        .value_kind:     hidden_global_offset_y
      - .offset:         264
        .size:           8
        .value_kind:     hidden_global_offset_z
      - .offset:         272
        .size:           2
        .value_kind:     hidden_grid_dims
    .group_segment_fixed_size: 14336
    .kernarg_segment_align: 8
    .kernarg_segment_size: 464
    .language:       OpenCL C
    .language_version:
      - 2
      - 0
    .max_flat_workgroup_size: 128
    .name:           _ZL15flash_attn_tileILi576ELi512ELi1ELi4ELb0EEvPKcS1_S1_S1_S1_PKiPfP15HIP_vector_typeIfLj2EEffffjfiS5_IjLj3EEiiiiiiiiiiiliiliiiiil
    .private_segment_fixed_size: 0
    .sgpr_count:     44
    .sgpr_spill_count: 0
    .symbol:         _ZL15flash_attn_tileILi576ELi512ELi1ELi4ELb0EEvPKcS1_S1_S1_S1_PKiPfP15HIP_vector_typeIfLj2EEffffjfiS5_IjLj3EEiiiiiiiiiiiliiliiiiil.kd
    .uniform_work_group_size: 1
    .uses_dynamic_stack: false
    .vgpr_count:     166
    .vgpr_spill_count: 0
    .wavefront_size: 32
    .workgroup_processor_mode: 1
  - .args:
      - .address_space:  global
        .offset:         0
        .size:           8
        .value_kind:     global_buffer
      - .address_space:  global
        .offset:         8
        .size:           8
        .value_kind:     global_buffer
      - .offset:         16
        .size:           4
        .value_kind:     by_value
      - .offset:         20
        .size:           4
        .value_kind:     by_value
      - .offset:         24
        .size:           4
        .value_kind:     by_value
      - .offset:         28
        .size:           4
        .value_kind:     by_value
      - .offset:         32
        .size:           4
        .value_kind:     by_value
      - .offset:         36
        .size:           4
        .value_kind:     by_value
      - .offset:         40
        .size:           12
        .value_kind:     by_value
      - .offset:         52
        .size:           12
        .value_kind:     by_value
      - .offset:         64
        .size:           12
        .value_kind:     by_value
    .group_segment_fixed_size: 0
    .kernarg_segment_align: 8
    .kernarg_segment_size: 76
    .language:       OpenCL C
    .language_version:
      - 2
      - 0
    .max_flat_workgroup_size: 512
    .name:           _ZL33flash_attn_stream_k_fixup_uniformILi512ELi1ELi4EEvPfPK15HIP_vector_typeIfLj2EEiiiiiiS1_IjLj3EES5_S5_
    .private_segment_fixed_size: 0
    .sgpr_count:     22
    .sgpr_spill_count: 0
    .symbol:         _ZL33flash_attn_stream_k_fixup_uniformILi512ELi1ELi4EEvPfPK15HIP_vector_typeIfLj2EEiiiiiiS1_IjLj3EES5_S5_.kd
    .uniform_work_group_size: 1
    .uses_dynamic_stack: false
    .vgpr_count:     11
    .vgpr_spill_count: 0
    .wavefront_size: 32
    .workgroup_processor_mode: 1
  - .args:
      - .address_space:  global
        .offset:         0
        .size:           8
        .value_kind:     global_buffer
      - .address_space:  global
        .offset:         8
        .size:           8
        .value_kind:     global_buffer
      - .offset:         16
        .size:           4
        .value_kind:     by_value
      - .offset:         20
        .size:           4
        .value_kind:     by_value
      - .offset:         24
        .size:           4
        .value_kind:     by_value
      - .offset:         28
        .size:           4
        .value_kind:     by_value
      - .offset:         32
        .size:           12
        .value_kind:     by_value
      - .offset:         44
        .size:           12
        .value_kind:     by_value
      - .offset:         56
        .size:           12
        .value_kind:     by_value
      - .offset:         68
        .size:           12
        .value_kind:     by_value
      - .offset:         80
        .size:           4
        .value_kind:     hidden_block_count_x
      - .offset:         84
        .size:           4
        .value_kind:     hidden_block_count_y
      - .offset:         88
        .size:           4
        .value_kind:     hidden_block_count_z
      - .offset:         92
        .size:           2
        .value_kind:     hidden_group_size_x
      - .offset:         94
        .size:           2
        .value_kind:     hidden_group_size_y
      - .offset:         96
        .size:           2
        .value_kind:     hidden_group_size_z
      - .offset:         98
        .size:           2
        .value_kind:     hidden_remainder_x
      - .offset:         100
        .size:           2
        .value_kind:     hidden_remainder_y
      - .offset:         102
        .size:           2
        .value_kind:     hidden_remainder_z
      - .offset:         120
        .size:           8
        .value_kind:     hidden_global_offset_x
      - .offset:         128
        .size:           8
        .value_kind:     hidden_global_offset_y
      - .offset:         136
        .size:           8
        .value_kind:     hidden_global_offset_z
      - .offset:         144
        .size:           2
        .value_kind:     hidden_grid_dims
    .group_segment_fixed_size: 0
    .kernarg_segment_align: 8
    .kernarg_segment_size: 336
    .language:       OpenCL C
    .language_version:
      - 2
      - 0
    .max_flat_workgroup_size: 512
    .name:           _ZL33flash_attn_stream_k_fixup_generalILi512ELi1ELi4EEvPfPK15HIP_vector_typeIfLj2EEiiiiS1_IjLj3EES5_S5_S5_
    .private_segment_fixed_size: 0
    .sgpr_count:     46
    .sgpr_spill_count: 0
    .symbol:         _ZL33flash_attn_stream_k_fixup_generalILi512ELi1ELi4EEvPfPK15HIP_vector_typeIfLj2EEiiiiS1_IjLj3EES5_S5_S5_.kd
    .uniform_work_group_size: 1
    .uses_dynamic_stack: false
    .vgpr_count:     9
    .vgpr_spill_count: 0
    .wavefront_size: 32
    .workgroup_processor_mode: 1
  - .args:
      - .address_space:  global
        .offset:         0
        .size:           8
        .value_kind:     global_buffer
      - .address_space:  global
        .offset:         8
        .size:           8
        .value_kind:     global_buffer
      - .address_space:  global
        .offset:         16
        .size:           8
        .value_kind:     global_buffer
      - .address_space:  global
        .offset:         24
        .size:           8
        .value_kind:     global_buffer
      - .address_space:  global
        .offset:         32
        .size:           8
        .value_kind:     global_buffer
      - .address_space:  global
        .offset:         40
        .size:           8
        .value_kind:     global_buffer
      - .address_space:  global
        .offset:         48
        .size:           8
        .value_kind:     global_buffer
      - .address_space:  global
        .offset:         56
        .size:           8
        .value_kind:     global_buffer
      - .offset:         64
        .size:           4
        .value_kind:     by_value
      - .offset:         68
        .size:           4
        .value_kind:     by_value
      - .offset:         72
        .size:           4
        .value_kind:     by_value
      - .offset:         76
        .size:           4
        .value_kind:     by_value
      - .offset:         80
        .size:           4
        .value_kind:     by_value
      - .offset:         84
        .size:           4
        .value_kind:     by_value
      - .offset:         88
        .size:           4
        .value_kind:     by_value
      - .offset:         92
        .size:           12
        .value_kind:     by_value
      - .offset:         104
        .size:           4
        .value_kind:     by_value
      - .offset:         108
        .size:           4
        .value_kind:     by_value
      - .offset:         112
        .size:           4
        .value_kind:     by_value
      - .offset:         116
        .size:           4
        .value_kind:     by_value
      - .offset:         120
        .size:           4
        .value_kind:     by_value
      - .offset:         124
        .size:           4
        .value_kind:     by_value
      - .offset:         128
        .size:           4
        .value_kind:     by_value
      - .offset:         132
        .size:           4
        .value_kind:     by_value
      - .offset:         136
        .size:           4
        .value_kind:     by_value
      - .offset:         140
        .size:           4
        .value_kind:     by_value
      - .offset:         144
        .size:           4
        .value_kind:     by_value
      - .offset:         152
        .size:           8
        .value_kind:     by_value
      - .offset:         160
        .size:           4
        .value_kind:     by_value
      - .offset:         164
        .size:           4
        .value_kind:     by_value
      - .offset:         168
        .size:           8
        .value_kind:     by_value
      - .offset:         176
        .size:           4
        .value_kind:     by_value
      - .offset:         180
        .size:           4
        .value_kind:     by_value
      - .offset:         184
        .size:           4
        .value_kind:     by_value
      - .offset:         188
        .size:           4
        .value_kind:     by_value
      - .offset:         192
        .size:           4
        .value_kind:     by_value
      - .offset:         200
        .size:           8
        .value_kind:     by_value
      - .offset:         208
        .size:           4
        .value_kind:     hidden_block_count_x
      - .offset:         212
        .size:           4
        .value_kind:     hidden_block_count_y
      - .offset:         216
        .size:           4
        .value_kind:     hidden_block_count_z
      - .offset:         220
        .size:           2
        .value_kind:     hidden_group_size_x
      - .offset:         222
        .size:           2
        .value_kind:     hidden_group_size_y
      - .offset:         224
        .size:           2
        .value_kind:     hidden_group_size_z
      - .offset:         226
        .size:           2
        .value_kind:     hidden_remainder_x
      - .offset:         228
        .size:           2
        .value_kind:     hidden_remainder_y
      - .offset:         230
        .size:           2
        .value_kind:     hidden_remainder_z
      - .offset:         248
        .size:           8
        .value_kind:     hidden_global_offset_x
      - .offset:         256
        .size:           8
        .value_kind:     hidden_global_offset_y
      - .offset:         264
        .size:           8
        .value_kind:     hidden_global_offset_z
      - .offset:         272
        .size:           2
        .value_kind:     hidden_grid_dims
    .group_segment_fixed_size: 63488
    .kernarg_segment_align: 8
    .kernarg_segment_size: 464
    .language:       OpenCL C
    .language_version:
      - 2
      - 0
    .max_flat_workgroup_size: 256
    .name:           _ZL15flash_attn_tileILi576ELi512ELi2ELi16ELb1EEvPKcS1_S1_S1_S1_PKiPfP15HIP_vector_typeIfLj2EEffffjfiS5_IjLj3EEiiiiiiiiiiiliiliiiiil
    .private_segment_fixed_size: 0
    .sgpr_count:     45
    .sgpr_spill_count: 0
    .symbol:         _ZL15flash_attn_tileILi576ELi512ELi2ELi16ELb1EEvPKcS1_S1_S1_S1_PKiPfP15HIP_vector_typeIfLj2EEffffjfiS5_IjLj3EEiiiiiiiiiiiliiliiiiil.kd
    .uniform_work_group_size: 1
    .uses_dynamic_stack: false
    .vgpr_count:     194
    .vgpr_spill_count: 0
    .wavefront_size: 32
    .workgroup_processor_mode: 1
  - .args:
      - .address_space:  global
        .offset:         0
        .size:           8
        .value_kind:     global_buffer
      - .address_space:  global
        .offset:         8
        .size:           8
        .value_kind:     global_buffer
      - .address_space:  global
        .offset:         16
        .size:           8
        .value_kind:     global_buffer
      - .address_space:  global
        .offset:         24
        .size:           8
        .value_kind:     global_buffer
      - .address_space:  global
        .offset:         32
        .size:           8
        .value_kind:     global_buffer
      - .address_space:  global
        .offset:         40
        .size:           8
        .value_kind:     global_buffer
      - .address_space:  global
        .offset:         48
        .size:           8
        .value_kind:     global_buffer
      - .address_space:  global
        .offset:         56
        .size:           8
        .value_kind:     global_buffer
      - .offset:         64
        .size:           4
        .value_kind:     by_value
      - .offset:         68
        .size:           4
        .value_kind:     by_value
      - .offset:         72
        .size:           4
        .value_kind:     by_value
      - .offset:         76
        .size:           4
        .value_kind:     by_value
      - .offset:         80
        .size:           4
        .value_kind:     by_value
      - .offset:         84
        .size:           4
        .value_kind:     by_value
      - .offset:         88
        .size:           4
        .value_kind:     by_value
      - .offset:         92
        .size:           12
        .value_kind:     by_value
      - .offset:         104
        .size:           4
        .value_kind:     by_value
      - .offset:         108
        .size:           4
        .value_kind:     by_value
      - .offset:         112
        .size:           4
        .value_kind:     by_value
      - .offset:         116
        .size:           4
        .value_kind:     by_value
      - .offset:         120
        .size:           4
        .value_kind:     by_value
      - .offset:         124
        .size:           4
        .value_kind:     by_value
      - .offset:         128
        .size:           4
        .value_kind:     by_value
      - .offset:         132
        .size:           4
        .value_kind:     by_value
      - .offset:         136
        .size:           4
        .value_kind:     by_value
      - .offset:         140
        .size:           4
        .value_kind:     by_value
      - .offset:         144
        .size:           4
        .value_kind:     by_value
      - .offset:         152
        .size:           8
        .value_kind:     by_value
      - .offset:         160
        .size:           4
        .value_kind:     by_value
      - .offset:         164
        .size:           4
        .value_kind:     by_value
      - .offset:         168
        .size:           8
        .value_kind:     by_value
      - .offset:         176
        .size:           4
        .value_kind:     by_value
      - .offset:         180
        .size:           4
        .value_kind:     by_value
      - .offset:         184
        .size:           4
        .value_kind:     by_value
      - .offset:         188
        .size:           4
        .value_kind:     by_value
      - .offset:         192
        .size:           4
        .value_kind:     by_value
      - .offset:         200
        .size:           8
        .value_kind:     by_value
      - .offset:         208
        .size:           4
        .value_kind:     hidden_block_count_x
      - .offset:         212
        .size:           4
        .value_kind:     hidden_block_count_y
      - .offset:         216
        .size:           4
        .value_kind:     hidden_block_count_z
      - .offset:         220
        .size:           2
        .value_kind:     hidden_group_size_x
      - .offset:         222
        .size:           2
        .value_kind:     hidden_group_size_y
      - .offset:         224
        .size:           2
        .value_kind:     hidden_group_size_z
      - .offset:         226
        .size:           2
        .value_kind:     hidden_remainder_x
      - .offset:         228
        .size:           2
        .value_kind:     hidden_remainder_y
      - .offset:         230
        .size:           2
        .value_kind:     hidden_remainder_z
      - .offset:         248
        .size:           8
        .value_kind:     hidden_global_offset_x
      - .offset:         256
        .size:           8
        .value_kind:     hidden_global_offset_y
      - .offset:         264
        .size:           8
        .value_kind:     hidden_global_offset_z
      - .offset:         272
        .size:           2
        .value_kind:     hidden_grid_dims
    .group_segment_fixed_size: 29696
    .kernarg_segment_align: 8
    .kernarg_segment_size: 464
    .language:       OpenCL C
    .language_version:
      - 2
      - 0
    .max_flat_workgroup_size: 256
    .name:           _ZL15flash_attn_tileILi576ELi512ELi1ELi16ELb1EEvPKcS1_S1_S1_S1_PKiPfP15HIP_vector_typeIfLj2EEffffjfiS5_IjLj3EEiiiiiiiiiiiliiliiiiil
    .private_segment_fixed_size: 0
    .sgpr_count:     45
    .sgpr_spill_count: 0
    .symbol:         _ZL15flash_attn_tileILi576ELi512ELi1ELi16ELb1EEvPKcS1_S1_S1_S1_PKiPfP15HIP_vector_typeIfLj2EEffffjfiS5_IjLj3EEiiiiiiiiiiiliiliiiiil.kd
    .uniform_work_group_size: 1
    .uses_dynamic_stack: false
    .vgpr_count:     235
    .vgpr_spill_count: 0
    .wavefront_size: 32
    .workgroup_processor_mode: 1
  - .args:
      - .address_space:  global
        .offset:         0
        .size:           8
        .value_kind:     global_buffer
      - .address_space:  global
        .offset:         8
        .size:           8
        .value_kind:     global_buffer
      - .address_space:  global
        .offset:         16
        .size:           8
        .value_kind:     global_buffer
      - .address_space:  global
        .offset:         24
        .size:           8
        .value_kind:     global_buffer
      - .address_space:  global
        .offset:         32
        .size:           8
        .value_kind:     global_buffer
      - .address_space:  global
        .offset:         40
        .size:           8
        .value_kind:     global_buffer
      - .address_space:  global
        .offset:         48
        .size:           8
        .value_kind:     global_buffer
      - .address_space:  global
        .offset:         56
        .size:           8
        .value_kind:     global_buffer
      - .offset:         64
        .size:           4
        .value_kind:     by_value
      - .offset:         68
        .size:           4
        .value_kind:     by_value
      - .offset:         72
        .size:           4
        .value_kind:     by_value
      - .offset:         76
        .size:           4
        .value_kind:     by_value
      - .offset:         80
        .size:           4
        .value_kind:     by_value
      - .offset:         84
        .size:           4
        .value_kind:     by_value
      - .offset:         88
        .size:           4
        .value_kind:     by_value
      - .offset:         92
        .size:           12
        .value_kind:     by_value
      - .offset:         104
        .size:           4
        .value_kind:     by_value
      - .offset:         108
        .size:           4
        .value_kind:     by_value
      - .offset:         112
        .size:           4
        .value_kind:     by_value
      - .offset:         116
        .size:           4
        .value_kind:     by_value
      - .offset:         120
        .size:           4
        .value_kind:     by_value
      - .offset:         124
        .size:           4
        .value_kind:     by_value
      - .offset:         128
        .size:           4
        .value_kind:     by_value
      - .offset:         132
        .size:           4
        .value_kind:     by_value
      - .offset:         136
        .size:           4
        .value_kind:     by_value
      - .offset:         140
        .size:           4
        .value_kind:     by_value
      - .offset:         144
        .size:           4
        .value_kind:     by_value
      - .offset:         152
        .size:           8
        .value_kind:     by_value
      - .offset:         160
        .size:           4
        .value_kind:     by_value
      - .offset:         164
        .size:           4
        .value_kind:     by_value
      - .offset:         168
        .size:           8
        .value_kind:     by_value
      - .offset:         176
        .size:           4
        .value_kind:     by_value
      - .offset:         180
        .size:           4
        .value_kind:     by_value
      - .offset:         184
        .size:           4
        .value_kind:     by_value
      - .offset:         188
        .size:           4
        .value_kind:     by_value
      - .offset:         192
        .size:           4
        .value_kind:     by_value
      - .offset:         200
        .size:           8
        .value_kind:     by_value
      - .offset:         208
        .size:           4
        .value_kind:     hidden_block_count_x
      - .offset:         212
        .size:           4
        .value_kind:     hidden_block_count_y
      - .offset:         216
        .size:           4
        .value_kind:     hidden_block_count_z
      - .offset:         220
        .size:           2
        .value_kind:     hidden_group_size_x
      - .offset:         222
        .size:           2
        .value_kind:     hidden_group_size_y
      - .offset:         224
        .size:           2
        .value_kind:     hidden_group_size_z
      - .offset:         226
        .size:           2
        .value_kind:     hidden_remainder_x
      - .offset:         228
        .size:           2
        .value_kind:     hidden_remainder_y
      - .offset:         230
        .size:           2
        .value_kind:     hidden_remainder_z
      - .offset:         248
        .size:           8
        .value_kind:     hidden_global_offset_x
      - .offset:         256
        .size:           8
        .value_kind:     hidden_global_offset_y
      - .offset:         264
        .size:           8
        .value_kind:     hidden_global_offset_z
      - .offset:         272
        .size:           2
        .value_kind:     hidden_grid_dims
    .group_segment_fixed_size: 63488
    .kernarg_segment_align: 8
    .kernarg_segment_size: 464
    .language:       OpenCL C
    .language_version:
      - 2
      - 0
    .max_flat_workgroup_size: 256
    .name:           _ZL15flash_attn_tileILi576ELi512ELi8ELi4ELb1EEvPKcS1_S1_S1_S1_PKiPfP15HIP_vector_typeIfLj2EEffffjfiS5_IjLj3EEiiiiiiiiiiiliiliiiiil
    .private_segment_fixed_size: 0
    .sgpr_count:     44
    .sgpr_spill_count: 0
    .symbol:         _ZL15flash_attn_tileILi576ELi512ELi8ELi4ELb1EEvPKcS1_S1_S1_S1_PKiPfP15HIP_vector_typeIfLj2EEffffjfiS5_IjLj3EEiiiiiiiiiiiliiliiiiil.kd
    .uniform_work_group_size: 1
    .uses_dynamic_stack: false
    .vgpr_count:     193
    .vgpr_spill_count: 0
    .wavefront_size: 32
    .workgroup_processor_mode: 1
  - .args:
      - .address_space:  global
        .offset:         0
        .size:           8
        .value_kind:     global_buffer
      - .address_space:  global
        .offset:         8
        .size:           8
        .value_kind:     global_buffer
      - .address_space:  global
        .offset:         16
        .size:           8
        .value_kind:     global_buffer
      - .address_space:  global
        .offset:         24
        .size:           8
        .value_kind:     global_buffer
      - .address_space:  global
        .offset:         32
        .size:           8
        .value_kind:     global_buffer
      - .address_space:  global
        .offset:         40
        .size:           8
        .value_kind:     global_buffer
      - .address_space:  global
        .offset:         48
        .size:           8
        .value_kind:     global_buffer
      - .address_space:  global
        .offset:         56
        .size:           8
        .value_kind:     global_buffer
      - .offset:         64
        .size:           4
        .value_kind:     by_value
      - .offset:         68
        .size:           4
        .value_kind:     by_value
      - .offset:         72
        .size:           4
        .value_kind:     by_value
      - .offset:         76
        .size:           4
        .value_kind:     by_value
      - .offset:         80
        .size:           4
        .value_kind:     by_value
      - .offset:         84
        .size:           4
        .value_kind:     by_value
      - .offset:         88
        .size:           4
        .value_kind:     by_value
      - .offset:         92
        .size:           12
        .value_kind:     by_value
      - .offset:         104
        .size:           4
        .value_kind:     by_value
      - .offset:         108
        .size:           4
        .value_kind:     by_value
      - .offset:         112
        .size:           4
        .value_kind:     by_value
      - .offset:         116
        .size:           4
        .value_kind:     by_value
      - .offset:         120
        .size:           4
        .value_kind:     by_value
      - .offset:         124
        .size:           4
        .value_kind:     by_value
      - .offset:         128
        .size:           4
        .value_kind:     by_value
      - .offset:         132
        .size:           4
        .value_kind:     by_value
      - .offset:         136
        .size:           4
        .value_kind:     by_value
      - .offset:         140
        .size:           4
        .value_kind:     by_value
      - .offset:         144
        .size:           4
        .value_kind:     by_value
      - .offset:         152
        .size:           8
        .value_kind:     by_value
      - .offset:         160
        .size:           4
        .value_kind:     by_value
      - .offset:         164
        .size:           4
        .value_kind:     by_value
      - .offset:         168
        .size:           8
        .value_kind:     by_value
      - .offset:         176
        .size:           4
        .value_kind:     by_value
      - .offset:         180
        .size:           4
        .value_kind:     by_value
      - .offset:         184
        .size:           4
        .value_kind:     by_value
      - .offset:         188
        .size:           4
        .value_kind:     by_value
      - .offset:         192
        .size:           4
        .value_kind:     by_value
      - .offset:         200
        .size:           8
        .value_kind:     by_value
      - .offset:         208
        .size:           4
        .value_kind:     hidden_block_count_x
      - .offset:         212
        .size:           4
        .value_kind:     hidden_block_count_y
      - .offset:         216
        .size:           4
        .value_kind:     hidden_block_count_z
      - .offset:         220
        .size:           2
        .value_kind:     hidden_group_size_x
      - .offset:         222
        .size:           2
        .value_kind:     hidden_group_size_y
      - .offset:         224
        .size:           2
        .value_kind:     hidden_group_size_z
      - .offset:         226
        .size:           2
        .value_kind:     hidden_remainder_x
      - .offset:         228
        .size:           2
        .value_kind:     hidden_remainder_y
      - .offset:         230
        .size:           2
        .value_kind:     hidden_remainder_z
      - .offset:         248
        .size:           8
        .value_kind:     hidden_global_offset_x
      - .offset:         256
        .size:           8
        .value_kind:     hidden_global_offset_y
      - .offset:         264
        .size:           8
        .value_kind:     hidden_global_offset_z
      - .offset:         272
        .size:           2
        .value_kind:     hidden_grid_dims
    .group_segment_fixed_size: 29696
    .kernarg_segment_align: 8
    .kernarg_segment_size: 464
    .language:       OpenCL C
    .language_version:
      - 2
      - 0
    .max_flat_workgroup_size: 256
    .name:           _ZL15flash_attn_tileILi576ELi512ELi4ELi4ELb1EEvPKcS1_S1_S1_S1_PKiPfP15HIP_vector_typeIfLj2EEffffjfiS5_IjLj3EEiiiiiiiiiiiliiliiiiil
    .private_segment_fixed_size: 0
    .sgpr_count:     45
    .sgpr_spill_count: 0
    .symbol:         _ZL15flash_attn_tileILi576ELi512ELi4ELi4ELb1EEvPKcS1_S1_S1_S1_PKiPfP15HIP_vector_typeIfLj2EEffffjfiS5_IjLj3EEiiiiiiiiiiiliiliiiiil.kd
    .uniform_work_group_size: 1
    .uses_dynamic_stack: false
    .vgpr_count:     235
    .vgpr_spill_count: 0
    .wavefront_size: 32
    .workgroup_processor_mode: 1
  - .args:
      - .address_space:  global
        .offset:         0
        .size:           8
        .value_kind:     global_buffer
      - .address_space:  global
        .offset:         8
        .size:           8
        .value_kind:     global_buffer
      - .address_space:  global
        .offset:         16
        .size:           8
        .value_kind:     global_buffer
      - .address_space:  global
        .offset:         24
        .size:           8
        .value_kind:     global_buffer
      - .address_space:  global
        .offset:         32
        .size:           8
        .value_kind:     global_buffer
      - .address_space:  global
        .offset:         40
        .size:           8
        .value_kind:     global_buffer
      - .address_space:  global
        .offset:         48
        .size:           8
        .value_kind:     global_buffer
      - .address_space:  global
        .offset:         56
        .size:           8
        .value_kind:     global_buffer
      - .offset:         64
        .size:           4
        .value_kind:     by_value
      - .offset:         68
        .size:           4
        .value_kind:     by_value
      - .offset:         72
        .size:           4
        .value_kind:     by_value
      - .offset:         76
        .size:           4
        .value_kind:     by_value
      - .offset:         80
        .size:           4
        .value_kind:     by_value
      - .offset:         84
        .size:           4
        .value_kind:     by_value
      - .offset:         88
        .size:           4
        .value_kind:     by_value
      - .offset:         92
        .size:           12
        .value_kind:     by_value
      - .offset:         104
        .size:           4
        .value_kind:     by_value
      - .offset:         108
        .size:           4
        .value_kind:     by_value
      - .offset:         112
        .size:           4
        .value_kind:     by_value
      - .offset:         116
        .size:           4
        .value_kind:     by_value
      - .offset:         120
        .size:           4
        .value_kind:     by_value
      - .offset:         124
        .size:           4
        .value_kind:     by_value
      - .offset:         128
        .size:           4
        .value_kind:     by_value
      - .offset:         132
        .size:           4
        .value_kind:     by_value
      - .offset:         136
        .size:           4
        .value_kind:     by_value
      - .offset:         140
        .size:           4
        .value_kind:     by_value
      - .offset:         144
        .size:           4
        .value_kind:     by_value
      - .offset:         152
        .size:           8
        .value_kind:     by_value
      - .offset:         160
        .size:           4
        .value_kind:     by_value
      - .offset:         164
        .size:           4
        .value_kind:     by_value
      - .offset:         168
        .size:           8
        .value_kind:     by_value
      - .offset:         176
        .size:           4
        .value_kind:     by_value
      - .offset:         180
        .size:           4
        .value_kind:     by_value
      - .offset:         184
        .size:           4
        .value_kind:     by_value
      - .offset:         188
        .size:           4
        .value_kind:     by_value
      - .offset:         192
        .size:           4
        .value_kind:     by_value
      - .offset:         200
        .size:           8
        .value_kind:     by_value
      - .offset:         208
        .size:           4
        .value_kind:     hidden_block_count_x
      - .offset:         212
        .size:           4
        .value_kind:     hidden_block_count_y
      - .offset:         216
        .size:           4
        .value_kind:     hidden_block_count_z
      - .offset:         220
        .size:           2
        .value_kind:     hidden_group_size_x
      - .offset:         222
        .size:           2
        .value_kind:     hidden_group_size_y
      - .offset:         224
        .size:           2
        .value_kind:     hidden_group_size_z
      - .offset:         226
        .size:           2
        .value_kind:     hidden_remainder_x
      - .offset:         228
        .size:           2
        .value_kind:     hidden_remainder_y
      - .offset:         230
        .size:           2
        .value_kind:     hidden_remainder_z
      - .offset:         248
        .size:           8
        .value_kind:     hidden_global_offset_x
      - .offset:         256
        .size:           8
        .value_kind:     hidden_global_offset_y
      - .offset:         264
        .size:           8
        .value_kind:     hidden_global_offset_z
      - .offset:         272
        .size:           2
        .value_kind:     hidden_grid_dims
    .group_segment_fixed_size: 19456
    .kernarg_segment_align: 8
    .kernarg_segment_size: 464
    .language:       OpenCL C
    .language_version:
      - 2
      - 0
    .max_flat_workgroup_size: 256
    .name:           _ZL15flash_attn_tileILi576ELi512ELi2ELi4ELb1EEvPKcS1_S1_S1_S1_PKiPfP15HIP_vector_typeIfLj2EEffffjfiS5_IjLj3EEiiiiiiiiiiiliiliiiiil
    .private_segment_fixed_size: 0
    .sgpr_count:     45
    .sgpr_spill_count: 0
    .symbol:         _ZL15flash_attn_tileILi576ELi512ELi2ELi4ELb1EEvPKcS1_S1_S1_S1_PKiPfP15HIP_vector_typeIfLj2EEffffjfiS5_IjLj3EEiiiiiiiiiiiliiliiiiil.kd
    .uniform_work_group_size: 1
    .uses_dynamic_stack: false
    .vgpr_count:     153
    .vgpr_spill_count: 0
    .wavefront_size: 32
    .workgroup_processor_mode: 1
  - .args:
      - .address_space:  global
        .offset:         0
        .size:           8
        .value_kind:     global_buffer
      - .address_space:  global
        .offset:         8
        .size:           8
        .value_kind:     global_buffer
      - .address_space:  global
        .offset:         16
        .size:           8
        .value_kind:     global_buffer
      - .address_space:  global
        .offset:         24
        .size:           8
        .value_kind:     global_buffer
      - .address_space:  global
        .offset:         32
        .size:           8
        .value_kind:     global_buffer
      - .address_space:  global
        .offset:         40
        .size:           8
        .value_kind:     global_buffer
      - .address_space:  global
        .offset:         48
        .size:           8
        .value_kind:     global_buffer
      - .address_space:  global
        .offset:         56
        .size:           8
        .value_kind:     global_buffer
      - .offset:         64
        .size:           4
        .value_kind:     by_value
      - .offset:         68
        .size:           4
        .value_kind:     by_value
      - .offset:         72
        .size:           4
        .value_kind:     by_value
      - .offset:         76
        .size:           4
        .value_kind:     by_value
      - .offset:         80
        .size:           4
        .value_kind:     by_value
      - .offset:         84
        .size:           4
        .value_kind:     by_value
      - .offset:         88
        .size:           4
        .value_kind:     by_value
      - .offset:         92
        .size:           12
        .value_kind:     by_value
      - .offset:         104
        .size:           4
        .value_kind:     by_value
      - .offset:         108
        .size:           4
        .value_kind:     by_value
      - .offset:         112
        .size:           4
        .value_kind:     by_value
      - .offset:         116
        .size:           4
        .value_kind:     by_value
      - .offset:         120
        .size:           4
        .value_kind:     by_value
      - .offset:         124
        .size:           4
        .value_kind:     by_value
      - .offset:         128
        .size:           4
        .value_kind:     by_value
      - .offset:         132
        .size:           4
        .value_kind:     by_value
      - .offset:         136
        .size:           4
        .value_kind:     by_value
      - .offset:         140
        .size:           4
        .value_kind:     by_value
      - .offset:         144
        .size:           4
        .value_kind:     by_value
      - .offset:         152
        .size:           8
        .value_kind:     by_value
      - .offset:         160
        .size:           4
        .value_kind:     by_value
      - .offset:         164
        .size:           4
        .value_kind:     by_value
      - .offset:         168
        .size:           8
        .value_kind:     by_value
      - .offset:         176
        .size:           4
        .value_kind:     by_value
      - .offset:         180
        .size:           4
        .value_kind:     by_value
      - .offset:         184
        .size:           4
        .value_kind:     by_value
      - .offset:         188
        .size:           4
        .value_kind:     by_value
      - .offset:         192
        .size:           4
        .value_kind:     by_value
      - .offset:         200
        .size:           8
        .value_kind:     by_value
      - .offset:         208
        .size:           4
        .value_kind:     hidden_block_count_x
      - .offset:         212
        .size:           4
        .value_kind:     hidden_block_count_y
      - .offset:         216
        .size:           4
        .value_kind:     hidden_block_count_z
      - .offset:         220
        .size:           2
        .value_kind:     hidden_group_size_x
      - .offset:         222
        .size:           2
        .value_kind:     hidden_group_size_y
      - .offset:         224
        .size:           2
        .value_kind:     hidden_group_size_z
      - .offset:         226
        .size:           2
        .value_kind:     hidden_remainder_x
      - .offset:         228
        .size:           2
        .value_kind:     hidden_remainder_y
      - .offset:         230
        .size:           2
        .value_kind:     hidden_remainder_z
      - .offset:         248
        .size:           8
        .value_kind:     hidden_global_offset_x
      - .offset:         256
        .size:           8
        .value_kind:     hidden_global_offset_y
      - .offset:         264
        .size:           8
        .value_kind:     hidden_global_offset_z
      - .offset:         272
        .size:           2
        .value_kind:     hidden_grid_dims
    .group_segment_fixed_size: 14336
    .kernarg_segment_align: 8
    .kernarg_segment_size: 464
    .language:       OpenCL C
    .language_version:
      - 2
      - 0
    .max_flat_workgroup_size: 128
    .name:           _ZL15flash_attn_tileILi576ELi512ELi1ELi4ELb1EEvPKcS1_S1_S1_S1_PKiPfP15HIP_vector_typeIfLj2EEffffjfiS5_IjLj3EEiiiiiiiiiiiliiliiiiil
    .private_segment_fixed_size: 0
    .sgpr_count:     45
    .sgpr_spill_count: 0
    .symbol:         _ZL15flash_attn_tileILi576ELi512ELi1ELi4ELb1EEvPKcS1_S1_S1_S1_PKiPfP15HIP_vector_typeIfLj2EEffffjfiS5_IjLj3EEiiiiiiiiiiiliiliiiiil.kd
    .uniform_work_group_size: 1
    .uses_dynamic_stack: false
    .vgpr_count:     239
    .vgpr_spill_count: 0
    .wavefront_size: 32
    .workgroup_processor_mode: 1
amdhsa.target:   amdgcn-amd-amdhsa--gfx1201
amdhsa.version:
  - 1
  - 2
...

	.end_amdgpu_metadata
